;; amdgpu-corpus repo=ROCm/rocBLAS kind=compiled arch=gfx950 opt=O3
	.amdgcn_target "amdgcn-amd-amdhsa--gfx950"
	.amdhsa_code_object_version 6
	.section	.text._ZL29rocblas_internal_gemmt_kernelIiLi16ELi32ELi8ELc78ELc78ELc85ELb0ELb0EfPKfS1_PfEviT_T9_T10_S3_lS5_S3_lS4_T11_S3_li,"axG",@progbits,_ZL29rocblas_internal_gemmt_kernelIiLi16ELi32ELi8ELc78ELc78ELc85ELb0ELb0EfPKfS1_PfEviT_T9_T10_S3_lS5_S3_lS4_T11_S3_li,comdat
	.globl	_ZL29rocblas_internal_gemmt_kernelIiLi16ELi32ELi8ELc78ELc78ELc85ELb0ELb0EfPKfS1_PfEviT_T9_T10_S3_lS5_S3_lS4_T11_S3_li ; -- Begin function _ZL29rocblas_internal_gemmt_kernelIiLi16ELi32ELi8ELc78ELc78ELc85ELb0ELb0EfPKfS1_PfEviT_T9_T10_S3_lS5_S3_lS4_T11_S3_li
	.p2align	8
	.type	_ZL29rocblas_internal_gemmt_kernelIiLi16ELi32ELi8ELc78ELc78ELc85ELb0ELb0EfPKfS1_PfEviT_T9_T10_S3_lS5_S3_lS4_T11_S3_li,@function
_ZL29rocblas_internal_gemmt_kernelIiLi16ELi32ELi8ELc78ELc78ELc85ELb0ELb0EfPKfS1_PfEviT_T9_T10_S3_lS5_S3_lS4_T11_S3_li: ; @_ZL29rocblas_internal_gemmt_kernelIiLi16ELi32ELi8ELc78ELc78ELc85ELb0ELb0EfPKfS1_PfEviT_T9_T10_S3_lS5_S3_lS4_T11_S3_li
; %bb.0:
	s_load_dwordx4 s[8:11], s[0:1], 0x38
	s_load_dwordx4 s[12:15], s[0:1], 0x8
	s_waitcnt lgkmcnt(0)
	s_load_dword s22, s[10:11], 0x0
	s_load_dwordx2 s[20:21], s[0:1], 0x0
	s_load_dword s23, s[12:13], 0x0
	s_waitcnt lgkmcnt(0)
	v_cmp_neq_f32_e64 s[6:7], s22, 1.0
	s_and_b64 vcc, exec, s[6:7]
	s_cbranch_vccnz .LBB0_2
; %bb.1:
	s_cmp_lg_u32 s21, 0
	s_cselect_b64 s[6:7], -1, 0
	v_cmp_neq_f32_e64 s[10:11], s23, 0
	s_and_b64 s[6:7], s[6:7], s[10:11]
.LBB0_2:
	s_andn2_b64 vcc, exec, s[6:7]
	s_cbranch_vccnz .LBB0_26
; %bb.3:
	s_load_dwordx2 s[10:11], s[0:1], 0x48
	s_lshl_b32 s5, s2, 5
	s_lshl_b32 s24, s3, 5
	s_cmp_lt_i32 s21, 1
	v_cmp_eq_f32_e64 s[2:3], s23, 0
	s_cselect_b64 s[6:7], -1, 0
	v_mov_b32_e32 v3, 0
	s_or_b64 s[2:3], s[2:3], s[6:7]
	v_and_b32_e32 v9, 0x3ff, v0
	v_bfe_u32 v8, v0, 10, 10
	s_mov_b32 s25, 0
	s_and_b64 vcc, exec, s[2:3]
	v_mov_b32_e32 v2, v3
	v_mov_b32_e32 v1, v3
	;; [unrolled: 1-line block ×3, first 2 shown]
	s_cbranch_vccnz .LBB0_10
; %bb.4:
	s_load_dword s6, s[0:1], 0x18
	s_load_dwordx4 s[16:19], s[0:1], 0x20
	s_load_dword s26, s[0:1], 0x30
	v_lshl_add_u32 v0, v8, 4, v9
	v_lshrrev_b32_e32 v11, 5, v0
	v_and_b32_e32 v4, 31, v0
	s_waitcnt lgkmcnt(0)
	v_mad_i64_i32 v[2:3], s[12:13], v11, s6, 0
	s_mul_i32 s12, s17, s4
	s_mul_hi_u32 s13, s16, s4
	v_lshrrev_b32_e32 v1, 3, v0
	v_or_b32_e32 v0, s5, v4
	s_add_i32 s13, s13, s12
	s_mul_i32 s12, s16, s4
	v_cmp_gt_i32_e32 vcc, s20, v0
	v_lshlrev_b32_e32 v0, 2, v4
	s_lshl_b64 s[12:13], s[12:13], 2
	v_add_u32_e32 v4, s5, v4
	v_lshl_add_u64 v[2:3], v[2:3], 2, s[12:13]
	v_ashrrev_i32_e32 v5, 31, v4
	s_ashr_i32 s7, s6, 31
	v_add_u32_e32 v6, s24, v1
	v_lshl_add_u64 v[2:3], v[4:5], 2, v[2:3]
	v_and_b32_e32 v10, 7, v9
	v_lshl_add_u64 v[4:5], s[14:15], 0, v[2:3]
	s_lshl_b64 s[12:13], s[6:7], 5
	v_mad_i64_i32 v[2:3], s[6:7], s26, v6, 0
	v_lshl_or_b32 v12, v11, 7, v0
	v_lshlrev_b32_e32 v0, 2, v10
	s_mul_i32 s6, s9, s4
	s_mul_hi_u32 s7, s8, s4
	v_lshl_or_b32 v1, v1, 5, v0
	s_add_i32 s7, s7, s6
	s_mul_i32 s6, s8, s4
	v_add_u32_e32 v13, 0x400, v1
	v_mov_b32_e32 v1, 0x400
	s_lshl_b64 s[6:7], s[6:7], 2
	v_lshl_add_u32 v15, v8, 5, v1
	v_lshl_add_u64 v[2:3], v[2:3], 2, s[6:7]
	v_mov_b32_e32 v1, 0
	v_lshl_add_u64 v[2:3], v[2:3], 0, v[0:1]
	v_cmp_gt_i32_e64 s[2:3], s20, v6
	v_lshlrev_b32_e32 v14, 2, v9
	v_lshl_add_u64 v[6:7], s[18:19], 0, v[2:3]
	v_mov_b32_e32 v0, v1
	v_mov_b32_e32 v2, v1
	;; [unrolled: 1-line block ×3, first 2 shown]
	s_branch .LBB0_6
.LBB0_5:                                ;   in Loop: Header=BB0_6 Depth=1
	s_or_b64 exec, exec, s[6:7]
	s_waitcnt vmcnt(0)
	ds_write_b32 v13, v16
	s_waitcnt lgkmcnt(0)
	s_barrier
	ds_read_b128 v[16:19], v15
	ds_read_b128 v[20:23], v15 offset:16
	ds_read2_b32 v[32:33], v14 offset1:16
	ds_read2_b32 v[34:35], v14 offset0:32 offset1:48
	ds_read2_b32 v[36:37], v14 offset0:64 offset1:80
	;; [unrolled: 1-line block ×4, first 2 shown]
	ds_read_b128 v[24:27], v15 offset:512
	ds_read_b128 v[28:31], v15 offset:528
	ds_read2_b32 v[42:43], v14 offset0:160 offset1:176
	ds_read2_b32 v[44:45], v14 offset0:192 offset1:208
	;; [unrolled: 1-line block ×3, first 2 shown]
	s_waitcnt lgkmcnt(9)
	v_pk_fma_f32 v[2:3], v[32:33], v[16:17], v[2:3] op_sel_hi:[1,0,1]
	s_waitcnt lgkmcnt(4)
	v_pk_fma_f32 v[0:1], v[32:33], v[24:25], v[0:1] op_sel_hi:[1,0,1]
	v_pk_fma_f32 v[2:3], v[34:35], v[16:17], v[2:3] op_sel:[0,1,0]
	v_mov_b32_e32 v16, v19
	v_pk_fma_f32 v[2:3], v[36:37], v[18:19], v[2:3] op_sel_hi:[1,0,1]
	v_pk_fma_f32 v[0:1], v[34:35], v[24:25], v[0:1] op_sel:[0,1,0]
	v_pk_fma_f32 v[2:3], v[38:39], v[16:17], v[2:3] op_sel_hi:[1,0,1]
	v_mov_b32_e32 v16, v23
	v_pk_fma_f32 v[2:3], v[40:41], v[20:21], v[2:3] op_sel_hi:[1,0,1]
	v_pk_fma_f32 v[0:1], v[36:37], v[26:27], v[0:1] op_sel_hi:[1,0,1]
	s_waitcnt lgkmcnt(2)
	v_pk_fma_f32 v[2:3], v[42:43], v[20:21], v[2:3] op_sel:[0,1,0]
	s_add_i32 s25, s25, 8
	s_waitcnt lgkmcnt(1)
	v_pk_fma_f32 v[2:3], v[44:45], v[22:23], v[2:3] op_sel_hi:[1,0,1]
	v_lshl_add_u64 v[4:5], v[4:5], 0, s[12:13]
	s_waitcnt lgkmcnt(0)
	v_pk_fma_f32 v[2:3], v[46:47], v[16:17], v[2:3] op_sel_hi:[1,0,1]
	v_mov_b32_e32 v16, v27
	v_pk_fma_f32 v[0:1], v[38:39], v[16:17], v[0:1] op_sel_hi:[1,0,1]
	v_mov_b32_e32 v16, v31
	v_pk_fma_f32 v[0:1], v[40:41], v[28:29], v[0:1] op_sel_hi:[1,0,1]
	s_cmp_lt_i32 s25, s21
	v_pk_fma_f32 v[0:1], v[42:43], v[28:29], v[0:1] op_sel:[0,1,0]
	v_lshl_add_u64 v[6:7], v[6:7], 0, 32
	v_pk_fma_f32 v[0:1], v[44:45], v[30:31], v[0:1] op_sel_hi:[1,0,1]
	s_nop 0
	v_pk_fma_f32 v[0:1], v[46:47], v[16:17], v[0:1] op_sel_hi:[1,0,1]
	s_barrier
	s_cbranch_scc0 .LBB0_10
.LBB0_6:                                ; =>This Inner Loop Header: Depth=1
	v_add_u32_e32 v16, s25, v11
	v_cmp_gt_i32_e64 s[6:7], s21, v16
	s_and_b64 s[8:9], vcc, s[6:7]
	v_mov_b32_e32 v16, 0
	s_and_saveexec_b64 s[6:7], s[8:9]
	s_cbranch_execz .LBB0_8
; %bb.7:                                ;   in Loop: Header=BB0_6 Depth=1
	global_load_dword v16, v[4:5], off
.LBB0_8:                                ;   in Loop: Header=BB0_6 Depth=1
	s_or_b64 exec, exec, s[6:7]
	s_waitcnt vmcnt(0)
	ds_write_b32 v12, v16
	v_add_u32_e32 v16, s25, v10
	v_cmp_gt_i32_e64 s[6:7], s21, v16
	s_and_b64 s[8:9], s[6:7], s[2:3]
	v_mov_b32_e32 v16, 0
	s_and_saveexec_b64 s[6:7], s[8:9]
	s_cbranch_execz .LBB0_5
; %bb.9:                                ;   in Loop: Header=BB0_6 Depth=1
	global_load_dword v16, v[6:7], off
	s_branch .LBB0_5
.LBB0_10:
	s_load_dwordx2 s[2:3], s[0:1], 0x58
	s_load_dword s8, s[0:1], 0x50
	v_add_u32_e32 v10, s24, v8
	v_add_u32_e32 v4, s5, v9
	v_cmp_le_i32_e32 vcc, v4, v10
	s_waitcnt lgkmcnt(0)
	s_mul_i32 s1, s3, s4
	s_mul_hi_u32 s3, s2, s4
	s_mul_i32 s0, s2, s4
	s_add_i32 s1, s3, s1
	s_lshl_b64 s[0:1], s[0:1], 2
	s_add_u32 s4, s10, s0
	s_addc_u32 s5, s11, s1
	v_mad_i64_i32 v[6:7], s[0:1], v10, s8, 0
	v_cmp_neq_f32_e64 s[0:1], s22, 0
	v_cmp_gt_i32_e64 s[2:3], s20, v10
	v_lshl_add_u64 v[8:9], v[6:7], 2, s[4:5]
	v_cndmask_b32_e64 v6, 0, 1, s[0:1]
	s_and_b64 s[10:11], s[2:3], vcc
	v_ashrrev_i32_e32 v5, 31, v4
	v_cmp_ne_u32_e64 s[0:1], 1, v6
	s_and_saveexec_b64 s[6:7], s[10:11]
	s_cbranch_execz .LBB0_14
; %bb.11:
	v_mul_f32_e32 v2, s23, v2
	s_and_b64 vcc, exec, s[0:1]
	v_lshl_add_u64 v[6:7], v[4:5], 2, v[8:9]
	s_cbranch_vccnz .LBB0_13
; %bb.12:
	global_load_dword v11, v[6:7], off
	s_waitcnt vmcnt(0)
	v_fmac_f32_e32 v2, s22, v11
.LBB0_13:
	global_store_dword v[6:7], v2, off
.LBB0_14:
	s_or_b64 exec, exec, s[6:7]
	v_add_u32_e32 v6, 16, v4
	v_cmp_le_i32_e32 vcc, v6, v10
	s_and_b64 s[6:7], s[2:3], vcc
	v_ashrrev_i32_e32 v7, 31, v6
	s_and_saveexec_b64 s[2:3], s[6:7]
	s_cbranch_execz .LBB0_18
; %bb.15:
	v_mul_f32_e32 v11, s23, v3
	s_and_b64 vcc, exec, s[0:1]
	v_lshl_add_u64 v[2:3], v[6:7], 2, v[8:9]
	s_cbranch_vccnz .LBB0_17
; %bb.16:
	global_load_dword v8, v[2:3], off
	s_waitcnt vmcnt(0)
	v_fmac_f32_e32 v11, s22, v8
.LBB0_17:
	global_store_dword v[2:3], v11, off
.LBB0_18:
	s_or_b64 exec, exec, s[2:3]
	v_add_u32_e32 v8, 16, v10
	v_cmp_gt_i32_e64 s[2:3], s20, v8
	v_mad_i64_i32 v[2:3], s[6:7], v8, s8, 0
	v_cmp_le_i32_e32 vcc, v4, v8
	v_lshl_add_u64 v[2:3], v[2:3], 2, s[4:5]
	s_and_b64 s[6:7], s[2:3], vcc
	s_and_saveexec_b64 s[4:5], s[6:7]
	s_cbranch_execz .LBB0_22
; %bb.19:
	v_mul_f32_e32 v0, s23, v0
	s_and_b64 vcc, exec, s[0:1]
	v_lshl_add_u64 v[4:5], v[4:5], 2, v[2:3]
	s_cbranch_vccnz .LBB0_21
; %bb.20:
	global_load_dword v9, v[4:5], off
	s_waitcnt vmcnt(0)
	v_fmac_f32_e32 v0, s22, v9
.LBB0_21:
	global_store_dword v[4:5], v0, off
.LBB0_22:
	s_or_b64 exec, exec, s[4:5]
	v_cmp_le_i32_e32 vcc, v6, v8
	s_and_b64 s[2:3], s[2:3], vcc
	s_and_saveexec_b64 s[4:5], s[2:3]
	s_cbranch_execz .LBB0_26
; %bb.23:
	v_mul_f32_e32 v4, s23, v1
	s_and_b64 vcc, exec, s[0:1]
	v_lshl_add_u64 v[0:1], v[6:7], 2, v[2:3]
	s_cbranch_vccnz .LBB0_25
; %bb.24:
	global_load_dword v2, v[0:1], off
	s_waitcnt vmcnt(0)
	v_fmac_f32_e32 v4, s22, v2
.LBB0_25:
	global_store_dword v[0:1], v4, off
.LBB0_26:
	s_endpgm
	.section	.rodata,"a",@progbits
	.p2align	6, 0x0
	.amdhsa_kernel _ZL29rocblas_internal_gemmt_kernelIiLi16ELi32ELi8ELc78ELc78ELc85ELb0ELb0EfPKfS1_PfEviT_T9_T10_S3_lS5_S3_lS4_T11_S3_li
		.amdhsa_group_segment_fixed_size 2048
		.amdhsa_private_segment_fixed_size 0
		.amdhsa_kernarg_size 100
		.amdhsa_user_sgpr_count 2
		.amdhsa_user_sgpr_dispatch_ptr 0
		.amdhsa_user_sgpr_queue_ptr 0
		.amdhsa_user_sgpr_kernarg_segment_ptr 1
		.amdhsa_user_sgpr_dispatch_id 0
		.amdhsa_user_sgpr_kernarg_preload_length 0
		.amdhsa_user_sgpr_kernarg_preload_offset 0
		.amdhsa_user_sgpr_private_segment_size 0
		.amdhsa_uses_dynamic_stack 0
		.amdhsa_enable_private_segment 0
		.amdhsa_system_sgpr_workgroup_id_x 1
		.amdhsa_system_sgpr_workgroup_id_y 1
		.amdhsa_system_sgpr_workgroup_id_z 1
		.amdhsa_system_sgpr_workgroup_info 0
		.amdhsa_system_vgpr_workitem_id 1
		.amdhsa_next_free_vgpr 48
		.amdhsa_next_free_sgpr 27
		.amdhsa_accum_offset 48
		.amdhsa_reserve_vcc 1
		.amdhsa_float_round_mode_32 0
		.amdhsa_float_round_mode_16_64 0
		.amdhsa_float_denorm_mode_32 3
		.amdhsa_float_denorm_mode_16_64 3
		.amdhsa_dx10_clamp 1
		.amdhsa_ieee_mode 1
		.amdhsa_fp16_overflow 0
		.amdhsa_tg_split 0
		.amdhsa_exception_fp_ieee_invalid_op 0
		.amdhsa_exception_fp_denorm_src 0
		.amdhsa_exception_fp_ieee_div_zero 0
		.amdhsa_exception_fp_ieee_overflow 0
		.amdhsa_exception_fp_ieee_underflow 0
		.amdhsa_exception_fp_ieee_inexact 0
		.amdhsa_exception_int_div_zero 0
	.end_amdhsa_kernel
	.section	.text._ZL29rocblas_internal_gemmt_kernelIiLi16ELi32ELi8ELc78ELc78ELc85ELb0ELb0EfPKfS1_PfEviT_T9_T10_S3_lS5_S3_lS4_T11_S3_li,"axG",@progbits,_ZL29rocblas_internal_gemmt_kernelIiLi16ELi32ELi8ELc78ELc78ELc85ELb0ELb0EfPKfS1_PfEviT_T9_T10_S3_lS5_S3_lS4_T11_S3_li,comdat
.Lfunc_end0:
	.size	_ZL29rocblas_internal_gemmt_kernelIiLi16ELi32ELi8ELc78ELc78ELc85ELb0ELb0EfPKfS1_PfEviT_T9_T10_S3_lS5_S3_lS4_T11_S3_li, .Lfunc_end0-_ZL29rocblas_internal_gemmt_kernelIiLi16ELi32ELi8ELc78ELc78ELc85ELb0ELb0EfPKfS1_PfEviT_T9_T10_S3_lS5_S3_lS4_T11_S3_li
                                        ; -- End function
	.set _ZL29rocblas_internal_gemmt_kernelIiLi16ELi32ELi8ELc78ELc78ELc85ELb0ELb0EfPKfS1_PfEviT_T9_T10_S3_lS5_S3_lS4_T11_S3_li.num_vgpr, 48
	.set _ZL29rocblas_internal_gemmt_kernelIiLi16ELi32ELi8ELc78ELc78ELc85ELb0ELb0EfPKfS1_PfEviT_T9_T10_S3_lS5_S3_lS4_T11_S3_li.num_agpr, 0
	.set _ZL29rocblas_internal_gemmt_kernelIiLi16ELi32ELi8ELc78ELc78ELc85ELb0ELb0EfPKfS1_PfEviT_T9_T10_S3_lS5_S3_lS4_T11_S3_li.numbered_sgpr, 27
	.set _ZL29rocblas_internal_gemmt_kernelIiLi16ELi32ELi8ELc78ELc78ELc85ELb0ELb0EfPKfS1_PfEviT_T9_T10_S3_lS5_S3_lS4_T11_S3_li.num_named_barrier, 0
	.set _ZL29rocblas_internal_gemmt_kernelIiLi16ELi32ELi8ELc78ELc78ELc85ELb0ELb0EfPKfS1_PfEviT_T9_T10_S3_lS5_S3_lS4_T11_S3_li.private_seg_size, 0
	.set _ZL29rocblas_internal_gemmt_kernelIiLi16ELi32ELi8ELc78ELc78ELc85ELb0ELb0EfPKfS1_PfEviT_T9_T10_S3_lS5_S3_lS4_T11_S3_li.uses_vcc, 1
	.set _ZL29rocblas_internal_gemmt_kernelIiLi16ELi32ELi8ELc78ELc78ELc85ELb0ELb0EfPKfS1_PfEviT_T9_T10_S3_lS5_S3_lS4_T11_S3_li.uses_flat_scratch, 0
	.set _ZL29rocblas_internal_gemmt_kernelIiLi16ELi32ELi8ELc78ELc78ELc85ELb0ELb0EfPKfS1_PfEviT_T9_T10_S3_lS5_S3_lS4_T11_S3_li.has_dyn_sized_stack, 0
	.set _ZL29rocblas_internal_gemmt_kernelIiLi16ELi32ELi8ELc78ELc78ELc85ELb0ELb0EfPKfS1_PfEviT_T9_T10_S3_lS5_S3_lS4_T11_S3_li.has_recursion, 0
	.set _ZL29rocblas_internal_gemmt_kernelIiLi16ELi32ELi8ELc78ELc78ELc85ELb0ELb0EfPKfS1_PfEviT_T9_T10_S3_lS5_S3_lS4_T11_S3_li.has_indirect_call, 0
	.section	.AMDGPU.csdata,"",@progbits
; Kernel info:
; codeLenInByte = 1248
; TotalNumSgprs: 33
; NumVgprs: 48
; NumAgprs: 0
; TotalNumVgprs: 48
; ScratchSize: 0
; MemoryBound: 0
; FloatMode: 240
; IeeeMode: 1
; LDSByteSize: 2048 bytes/workgroup (compile time only)
; SGPRBlocks: 4
; VGPRBlocks: 5
; NumSGPRsForWavesPerEU: 33
; NumVGPRsForWavesPerEU: 48
; AccumOffset: 48
; Occupancy: 8
; WaveLimiterHint : 0
; COMPUTE_PGM_RSRC2:SCRATCH_EN: 0
; COMPUTE_PGM_RSRC2:USER_SGPR: 2
; COMPUTE_PGM_RSRC2:TRAP_HANDLER: 0
; COMPUTE_PGM_RSRC2:TGID_X_EN: 1
; COMPUTE_PGM_RSRC2:TGID_Y_EN: 1
; COMPUTE_PGM_RSRC2:TGID_Z_EN: 1
; COMPUTE_PGM_RSRC2:TIDIG_COMP_CNT: 1
; COMPUTE_PGM_RSRC3_GFX90A:ACCUM_OFFSET: 11
; COMPUTE_PGM_RSRC3_GFX90A:TG_SPLIT: 0
	.section	.text._ZL29rocblas_internal_gemmt_kernelIiLi16ELi32ELi8ELc78ELc84ELc85ELb0ELb0EfPKfS1_PfEviT_T9_T10_S3_lS5_S3_lS4_T11_S3_li,"axG",@progbits,_ZL29rocblas_internal_gemmt_kernelIiLi16ELi32ELi8ELc78ELc84ELc85ELb0ELb0EfPKfS1_PfEviT_T9_T10_S3_lS5_S3_lS4_T11_S3_li,comdat
	.globl	_ZL29rocblas_internal_gemmt_kernelIiLi16ELi32ELi8ELc78ELc84ELc85ELb0ELb0EfPKfS1_PfEviT_T9_T10_S3_lS5_S3_lS4_T11_S3_li ; -- Begin function _ZL29rocblas_internal_gemmt_kernelIiLi16ELi32ELi8ELc78ELc84ELc85ELb0ELb0EfPKfS1_PfEviT_T9_T10_S3_lS5_S3_lS4_T11_S3_li
	.p2align	8
	.type	_ZL29rocblas_internal_gemmt_kernelIiLi16ELi32ELi8ELc78ELc84ELc85ELb0ELb0EfPKfS1_PfEviT_T9_T10_S3_lS5_S3_lS4_T11_S3_li,@function
_ZL29rocblas_internal_gemmt_kernelIiLi16ELi32ELi8ELc78ELc84ELc85ELb0ELb0EfPKfS1_PfEviT_T9_T10_S3_lS5_S3_lS4_T11_S3_li: ; @_ZL29rocblas_internal_gemmt_kernelIiLi16ELi32ELi8ELc78ELc84ELc85ELb0ELb0EfPKfS1_PfEviT_T9_T10_S3_lS5_S3_lS4_T11_S3_li
; %bb.0:
	s_load_dwordx4 s[8:11], s[0:1], 0x38
	s_load_dwordx4 s[12:15], s[0:1], 0x8
	s_waitcnt lgkmcnt(0)
	s_load_dword s22, s[10:11], 0x0
	s_load_dwordx2 s[20:21], s[0:1], 0x0
	s_load_dword s23, s[12:13], 0x0
	s_waitcnt lgkmcnt(0)
	v_cmp_neq_f32_e64 s[6:7], s22, 1.0
	s_and_b64 vcc, exec, s[6:7]
	s_cbranch_vccnz .LBB1_2
; %bb.1:
	s_cmp_lg_u32 s21, 0
	s_cselect_b64 s[6:7], -1, 0
	v_cmp_neq_f32_e64 s[10:11], s23, 0
	s_and_b64 s[6:7], s[6:7], s[10:11]
.LBB1_2:
	s_andn2_b64 vcc, exec, s[6:7]
	s_cbranch_vccnz .LBB1_26
; %bb.3:
	s_load_dwordx2 s[10:11], s[0:1], 0x48
	s_lshl_b32 s5, s2, 5
	s_lshl_b32 s24, s3, 5
	s_cmp_lt_i32 s21, 1
	v_cmp_eq_f32_e64 s[2:3], s23, 0
	s_cselect_b64 s[6:7], -1, 0
	v_mov_b32_e32 v3, 0
	s_or_b64 s[2:3], s[2:3], s[6:7]
	v_and_b32_e32 v9, 0x3ff, v0
	v_bfe_u32 v8, v0, 10, 10
	s_mov_b32 s25, 0
	s_and_b64 vcc, exec, s[2:3]
	v_mov_b32_e32 v2, v3
	v_mov_b32_e32 v1, v3
	;; [unrolled: 1-line block ×3, first 2 shown]
	s_cbranch_vccnz .LBB1_10
; %bb.4:
	v_lshl_add_u32 v1, v8, 4, v9
	v_and_b32_e32 v4, 31, v1
	v_lshrrev_b32_e32 v11, 5, v1
	v_lshrrev_b32_e32 v2, 3, v1
	v_or_b32_e32 v1, s5, v4
	s_load_dword s6, s[0:1], 0x18
	s_load_dwordx4 s[16:19], s[0:1], 0x20
	s_load_dword s26, s[0:1], 0x30
	v_and_b32_e32 v10, 7, v9
	v_cmp_gt_i32_e32 vcc, s20, v1
	v_lshlrev_b32_e32 v1, 2, v4
	v_lshl_or_b32 v12, v11, 7, v1
	v_lshlrev_b32_e32 v1, 2, v10
	v_add_u32_e32 v0, s24, v2
	v_lshl_or_b32 v1, v2, 5, v1
	v_mov_b32_e32 v2, 0x400
	v_lshl_add_u32 v15, v8, 5, v2
	s_waitcnt lgkmcnt(0)
	v_mad_i64_i32 v[2:3], s[12:13], v11, s6, 0
	s_mul_i32 s12, s17, s4
	s_mul_hi_u32 s13, s16, s4
	s_add_i32 s13, s13, s12
	s_mul_i32 s12, s16, s4
	s_lshl_b64 s[12:13], s[12:13], 2
	v_add_u32_e32 v4, s5, v4
	s_ashr_i32 s7, s6, 31
	v_lshl_add_u64 v[2:3], v[2:3], 2, s[12:13]
	v_ashrrev_i32_e32 v5, 31, v4
	v_lshl_add_u64 v[2:3], v[4:5], 2, v[2:3]
	s_lshl_b64 s[12:13], s[6:7], 5
	s_mul_i32 s6, s9, s4
	s_mul_hi_u32 s7, s8, s4
	v_lshl_add_u64 v[4:5], s[14:15], 0, v[2:3]
	s_add_i32 s7, s7, s6
	s_mul_i32 s6, s8, s4
	v_mad_i64_i32 v[2:3], s[8:9], s26, v10, 0
	v_lshlrev_b64 v[2:3], 2, v[2:3]
	v_add_u32_e32 v13, 0x400, v1
	v_ashrrev_i32_e32 v1, 31, v0
	v_lshl_add_u64 v[2:3], s[6:7], 2, v[2:3]
	v_cmp_gt_i32_e64 s[2:3], s20, v0
	v_lshl_add_u64 v[0:1], v[0:1], 2, v[2:3]
	s_ashr_i32 s27, s26, 31
	v_lshl_add_u64 v[6:7], s[18:19], 0, v[0:1]
	v_mov_b32_e32 v0, 0
	v_lshlrev_b32_e32 v14, 2, v9
	s_lshl_b64 s[8:9], s[26:27], 5
	v_mov_b32_e32 v1, v0
	v_mov_b32_e32 v2, v0
	;; [unrolled: 1-line block ×3, first 2 shown]
	s_branch .LBB1_6
.LBB1_5:                                ;   in Loop: Header=BB1_6 Depth=1
	s_or_b64 exec, exec, s[6:7]
	s_waitcnt vmcnt(0)
	ds_write_b32 v13, v16
	s_waitcnt lgkmcnt(0)
	s_barrier
	ds_read_b128 v[16:19], v15
	ds_read_b128 v[20:23], v15 offset:16
	ds_read2_b32 v[32:33], v14 offset1:16
	ds_read2_b32 v[34:35], v14 offset0:32 offset1:48
	ds_read2_b32 v[36:37], v14 offset0:64 offset1:80
	;; [unrolled: 1-line block ×4, first 2 shown]
	ds_read_b128 v[24:27], v15 offset:512
	ds_read_b128 v[28:31], v15 offset:528
	ds_read2_b32 v[42:43], v14 offset0:160 offset1:176
	ds_read2_b32 v[44:45], v14 offset0:192 offset1:208
	;; [unrolled: 1-line block ×3, first 2 shown]
	s_waitcnt lgkmcnt(9)
	v_pk_fma_f32 v[2:3], v[32:33], v[16:17], v[2:3] op_sel_hi:[1,0,1]
	s_waitcnt lgkmcnt(4)
	v_pk_fma_f32 v[0:1], v[32:33], v[24:25], v[0:1] op_sel_hi:[1,0,1]
	v_pk_fma_f32 v[2:3], v[34:35], v[16:17], v[2:3] op_sel:[0,1,0]
	v_mov_b32_e32 v16, v19
	v_pk_fma_f32 v[2:3], v[36:37], v[18:19], v[2:3] op_sel_hi:[1,0,1]
	v_pk_fma_f32 v[0:1], v[34:35], v[24:25], v[0:1] op_sel:[0,1,0]
	v_pk_fma_f32 v[2:3], v[38:39], v[16:17], v[2:3] op_sel_hi:[1,0,1]
	v_mov_b32_e32 v16, v23
	v_pk_fma_f32 v[2:3], v[40:41], v[20:21], v[2:3] op_sel_hi:[1,0,1]
	v_pk_fma_f32 v[0:1], v[36:37], v[26:27], v[0:1] op_sel_hi:[1,0,1]
	s_waitcnt lgkmcnt(2)
	v_pk_fma_f32 v[2:3], v[42:43], v[20:21], v[2:3] op_sel:[0,1,0]
	s_add_i32 s25, s25, 8
	s_waitcnt lgkmcnt(1)
	v_pk_fma_f32 v[2:3], v[44:45], v[22:23], v[2:3] op_sel_hi:[1,0,1]
	v_lshl_add_u64 v[4:5], v[4:5], 0, s[12:13]
	s_waitcnt lgkmcnt(0)
	v_pk_fma_f32 v[2:3], v[46:47], v[16:17], v[2:3] op_sel_hi:[1,0,1]
	v_mov_b32_e32 v16, v27
	v_pk_fma_f32 v[0:1], v[38:39], v[16:17], v[0:1] op_sel_hi:[1,0,1]
	v_mov_b32_e32 v16, v31
	v_pk_fma_f32 v[0:1], v[40:41], v[28:29], v[0:1] op_sel_hi:[1,0,1]
	s_cmp_lt_i32 s25, s21
	v_pk_fma_f32 v[0:1], v[42:43], v[28:29], v[0:1] op_sel:[0,1,0]
	v_lshl_add_u64 v[6:7], v[6:7], 0, s[8:9]
	v_pk_fma_f32 v[0:1], v[44:45], v[30:31], v[0:1] op_sel_hi:[1,0,1]
	s_nop 0
	v_pk_fma_f32 v[0:1], v[46:47], v[16:17], v[0:1] op_sel_hi:[1,0,1]
	s_barrier
	s_cbranch_scc0 .LBB1_10
.LBB1_6:                                ; =>This Inner Loop Header: Depth=1
	v_add_u32_e32 v16, s25, v11
	v_cmp_gt_i32_e64 s[6:7], s21, v16
	s_and_b64 s[14:15], vcc, s[6:7]
	v_mov_b32_e32 v16, 0
	s_and_saveexec_b64 s[6:7], s[14:15]
	s_cbranch_execz .LBB1_8
; %bb.7:                                ;   in Loop: Header=BB1_6 Depth=1
	global_load_dword v16, v[4:5], off
.LBB1_8:                                ;   in Loop: Header=BB1_6 Depth=1
	s_or_b64 exec, exec, s[6:7]
	s_waitcnt vmcnt(0)
	ds_write_b32 v12, v16
	v_add_u32_e32 v16, s25, v10
	v_cmp_gt_i32_e64 s[6:7], s21, v16
	s_and_b64 s[14:15], s[6:7], s[2:3]
	v_mov_b32_e32 v16, 0
	s_and_saveexec_b64 s[6:7], s[14:15]
	s_cbranch_execz .LBB1_5
; %bb.9:                                ;   in Loop: Header=BB1_6 Depth=1
	global_load_dword v16, v[6:7], off
	s_branch .LBB1_5
.LBB1_10:
	s_load_dwordx2 s[2:3], s[0:1], 0x58
	s_load_dword s8, s[0:1], 0x50
	v_add_u32_e32 v10, s24, v8
	v_add_u32_e32 v4, s5, v9
	v_cmp_le_i32_e32 vcc, v4, v10
	s_waitcnt lgkmcnt(0)
	s_mul_i32 s1, s3, s4
	s_mul_hi_u32 s3, s2, s4
	s_mul_i32 s0, s2, s4
	s_add_i32 s1, s3, s1
	s_lshl_b64 s[0:1], s[0:1], 2
	s_add_u32 s4, s10, s0
	s_addc_u32 s5, s11, s1
	v_mad_i64_i32 v[6:7], s[0:1], v10, s8, 0
	v_cmp_neq_f32_e64 s[0:1], s22, 0
	v_cmp_gt_i32_e64 s[2:3], s20, v10
	v_lshl_add_u64 v[8:9], v[6:7], 2, s[4:5]
	v_cndmask_b32_e64 v6, 0, 1, s[0:1]
	s_and_b64 s[10:11], s[2:3], vcc
	v_ashrrev_i32_e32 v5, 31, v4
	v_cmp_ne_u32_e64 s[0:1], 1, v6
	s_and_saveexec_b64 s[6:7], s[10:11]
	s_cbranch_execz .LBB1_14
; %bb.11:
	v_mul_f32_e32 v2, s23, v2
	s_and_b64 vcc, exec, s[0:1]
	v_lshl_add_u64 v[6:7], v[4:5], 2, v[8:9]
	s_cbranch_vccnz .LBB1_13
; %bb.12:
	global_load_dword v11, v[6:7], off
	s_waitcnt vmcnt(0)
	v_fmac_f32_e32 v2, s22, v11
.LBB1_13:
	global_store_dword v[6:7], v2, off
.LBB1_14:
	s_or_b64 exec, exec, s[6:7]
	v_add_u32_e32 v6, 16, v4
	v_cmp_le_i32_e32 vcc, v6, v10
	s_and_b64 s[6:7], s[2:3], vcc
	v_ashrrev_i32_e32 v7, 31, v6
	s_and_saveexec_b64 s[2:3], s[6:7]
	s_cbranch_execz .LBB1_18
; %bb.15:
	v_mul_f32_e32 v11, s23, v3
	s_and_b64 vcc, exec, s[0:1]
	v_lshl_add_u64 v[2:3], v[6:7], 2, v[8:9]
	s_cbranch_vccnz .LBB1_17
; %bb.16:
	global_load_dword v8, v[2:3], off
	s_waitcnt vmcnt(0)
	v_fmac_f32_e32 v11, s22, v8
.LBB1_17:
	global_store_dword v[2:3], v11, off
.LBB1_18:
	s_or_b64 exec, exec, s[2:3]
	v_add_u32_e32 v8, 16, v10
	v_cmp_gt_i32_e64 s[2:3], s20, v8
	v_mad_i64_i32 v[2:3], s[6:7], v8, s8, 0
	v_cmp_le_i32_e32 vcc, v4, v8
	v_lshl_add_u64 v[2:3], v[2:3], 2, s[4:5]
	s_and_b64 s[6:7], s[2:3], vcc
	s_and_saveexec_b64 s[4:5], s[6:7]
	s_cbranch_execz .LBB1_22
; %bb.19:
	v_mul_f32_e32 v0, s23, v0
	s_and_b64 vcc, exec, s[0:1]
	v_lshl_add_u64 v[4:5], v[4:5], 2, v[2:3]
	s_cbranch_vccnz .LBB1_21
; %bb.20:
	global_load_dword v9, v[4:5], off
	s_waitcnt vmcnt(0)
	v_fmac_f32_e32 v0, s22, v9
.LBB1_21:
	global_store_dword v[4:5], v0, off
.LBB1_22:
	s_or_b64 exec, exec, s[4:5]
	v_cmp_le_i32_e32 vcc, v6, v8
	s_and_b64 s[2:3], s[2:3], vcc
	s_and_saveexec_b64 s[4:5], s[2:3]
	s_cbranch_execz .LBB1_26
; %bb.23:
	v_mul_f32_e32 v4, s23, v1
	s_and_b64 vcc, exec, s[0:1]
	v_lshl_add_u64 v[0:1], v[6:7], 2, v[2:3]
	s_cbranch_vccnz .LBB1_25
; %bb.24:
	global_load_dword v2, v[0:1], off
	s_waitcnt vmcnt(0)
	v_fmac_f32_e32 v4, s22, v2
.LBB1_25:
	global_store_dword v[0:1], v4, off
.LBB1_26:
	s_endpgm
	.section	.rodata,"a",@progbits
	.p2align	6, 0x0
	.amdhsa_kernel _ZL29rocblas_internal_gemmt_kernelIiLi16ELi32ELi8ELc78ELc84ELc85ELb0ELb0EfPKfS1_PfEviT_T9_T10_S3_lS5_S3_lS4_T11_S3_li
		.amdhsa_group_segment_fixed_size 2048
		.amdhsa_private_segment_fixed_size 0
		.amdhsa_kernarg_size 100
		.amdhsa_user_sgpr_count 2
		.amdhsa_user_sgpr_dispatch_ptr 0
		.amdhsa_user_sgpr_queue_ptr 0
		.amdhsa_user_sgpr_kernarg_segment_ptr 1
		.amdhsa_user_sgpr_dispatch_id 0
		.amdhsa_user_sgpr_kernarg_preload_length 0
		.amdhsa_user_sgpr_kernarg_preload_offset 0
		.amdhsa_user_sgpr_private_segment_size 0
		.amdhsa_uses_dynamic_stack 0
		.amdhsa_enable_private_segment 0
		.amdhsa_system_sgpr_workgroup_id_x 1
		.amdhsa_system_sgpr_workgroup_id_y 1
		.amdhsa_system_sgpr_workgroup_id_z 1
		.amdhsa_system_sgpr_workgroup_info 0
		.amdhsa_system_vgpr_workitem_id 1
		.amdhsa_next_free_vgpr 48
		.amdhsa_next_free_sgpr 28
		.amdhsa_accum_offset 48
		.amdhsa_reserve_vcc 1
		.amdhsa_float_round_mode_32 0
		.amdhsa_float_round_mode_16_64 0
		.amdhsa_float_denorm_mode_32 3
		.amdhsa_float_denorm_mode_16_64 3
		.amdhsa_dx10_clamp 1
		.amdhsa_ieee_mode 1
		.amdhsa_fp16_overflow 0
		.amdhsa_tg_split 0
		.amdhsa_exception_fp_ieee_invalid_op 0
		.amdhsa_exception_fp_denorm_src 0
		.amdhsa_exception_fp_ieee_div_zero 0
		.amdhsa_exception_fp_ieee_overflow 0
		.amdhsa_exception_fp_ieee_underflow 0
		.amdhsa_exception_fp_ieee_inexact 0
		.amdhsa_exception_int_div_zero 0
	.end_amdhsa_kernel
	.section	.text._ZL29rocblas_internal_gemmt_kernelIiLi16ELi32ELi8ELc78ELc84ELc85ELb0ELb0EfPKfS1_PfEviT_T9_T10_S3_lS5_S3_lS4_T11_S3_li,"axG",@progbits,_ZL29rocblas_internal_gemmt_kernelIiLi16ELi32ELi8ELc78ELc84ELc85ELb0ELb0EfPKfS1_PfEviT_T9_T10_S3_lS5_S3_lS4_T11_S3_li,comdat
.Lfunc_end1:
	.size	_ZL29rocblas_internal_gemmt_kernelIiLi16ELi32ELi8ELc78ELc84ELc85ELb0ELb0EfPKfS1_PfEviT_T9_T10_S3_lS5_S3_lS4_T11_S3_li, .Lfunc_end1-_ZL29rocblas_internal_gemmt_kernelIiLi16ELi32ELi8ELc78ELc84ELc85ELb0ELb0EfPKfS1_PfEviT_T9_T10_S3_lS5_S3_lS4_T11_S3_li
                                        ; -- End function
	.set _ZL29rocblas_internal_gemmt_kernelIiLi16ELi32ELi8ELc78ELc84ELc85ELb0ELb0EfPKfS1_PfEviT_T9_T10_S3_lS5_S3_lS4_T11_S3_li.num_vgpr, 48
	.set _ZL29rocblas_internal_gemmt_kernelIiLi16ELi32ELi8ELc78ELc84ELc85ELb0ELb0EfPKfS1_PfEviT_T9_T10_S3_lS5_S3_lS4_T11_S3_li.num_agpr, 0
	.set _ZL29rocblas_internal_gemmt_kernelIiLi16ELi32ELi8ELc78ELc84ELc85ELb0ELb0EfPKfS1_PfEviT_T9_T10_S3_lS5_S3_lS4_T11_S3_li.numbered_sgpr, 28
	.set _ZL29rocblas_internal_gemmt_kernelIiLi16ELi32ELi8ELc78ELc84ELc85ELb0ELb0EfPKfS1_PfEviT_T9_T10_S3_lS5_S3_lS4_T11_S3_li.num_named_barrier, 0
	.set _ZL29rocblas_internal_gemmt_kernelIiLi16ELi32ELi8ELc78ELc84ELc85ELb0ELb0EfPKfS1_PfEviT_T9_T10_S3_lS5_S3_lS4_T11_S3_li.private_seg_size, 0
	.set _ZL29rocblas_internal_gemmt_kernelIiLi16ELi32ELi8ELc78ELc84ELc85ELb0ELb0EfPKfS1_PfEviT_T9_T10_S3_lS5_S3_lS4_T11_S3_li.uses_vcc, 1
	.set _ZL29rocblas_internal_gemmt_kernelIiLi16ELi32ELi8ELc78ELc84ELc85ELb0ELb0EfPKfS1_PfEviT_T9_T10_S3_lS5_S3_lS4_T11_S3_li.uses_flat_scratch, 0
	.set _ZL29rocblas_internal_gemmt_kernelIiLi16ELi32ELi8ELc78ELc84ELc85ELb0ELb0EfPKfS1_PfEviT_T9_T10_S3_lS5_S3_lS4_T11_S3_li.has_dyn_sized_stack, 0
	.set _ZL29rocblas_internal_gemmt_kernelIiLi16ELi32ELi8ELc78ELc84ELc85ELb0ELb0EfPKfS1_PfEviT_T9_T10_S3_lS5_S3_lS4_T11_S3_li.has_recursion, 0
	.set _ZL29rocblas_internal_gemmt_kernelIiLi16ELi32ELi8ELc78ELc84ELc85ELb0ELb0EfPKfS1_PfEviT_T9_T10_S3_lS5_S3_lS4_T11_S3_li.has_indirect_call, 0
	.section	.AMDGPU.csdata,"",@progbits
; Kernel info:
; codeLenInByte = 1264
; TotalNumSgprs: 34
; NumVgprs: 48
; NumAgprs: 0
; TotalNumVgprs: 48
; ScratchSize: 0
; MemoryBound: 0
; FloatMode: 240
; IeeeMode: 1
; LDSByteSize: 2048 bytes/workgroup (compile time only)
; SGPRBlocks: 4
; VGPRBlocks: 5
; NumSGPRsForWavesPerEU: 34
; NumVGPRsForWavesPerEU: 48
; AccumOffset: 48
; Occupancy: 8
; WaveLimiterHint : 0
; COMPUTE_PGM_RSRC2:SCRATCH_EN: 0
; COMPUTE_PGM_RSRC2:USER_SGPR: 2
; COMPUTE_PGM_RSRC2:TRAP_HANDLER: 0
; COMPUTE_PGM_RSRC2:TGID_X_EN: 1
; COMPUTE_PGM_RSRC2:TGID_Y_EN: 1
; COMPUTE_PGM_RSRC2:TGID_Z_EN: 1
; COMPUTE_PGM_RSRC2:TIDIG_COMP_CNT: 1
; COMPUTE_PGM_RSRC3_GFX90A:ACCUM_OFFSET: 11
; COMPUTE_PGM_RSRC3_GFX90A:TG_SPLIT: 0
	.section	.text._ZL29rocblas_internal_gemmt_kernelIiLi16ELi32ELi8ELc78ELc67ELc85ELb0ELb0EfPKfS1_PfEviT_T9_T10_S3_lS5_S3_lS4_T11_S3_li,"axG",@progbits,_ZL29rocblas_internal_gemmt_kernelIiLi16ELi32ELi8ELc78ELc67ELc85ELb0ELb0EfPKfS1_PfEviT_T9_T10_S3_lS5_S3_lS4_T11_S3_li,comdat
	.globl	_ZL29rocblas_internal_gemmt_kernelIiLi16ELi32ELi8ELc78ELc67ELc85ELb0ELb0EfPKfS1_PfEviT_T9_T10_S3_lS5_S3_lS4_T11_S3_li ; -- Begin function _ZL29rocblas_internal_gemmt_kernelIiLi16ELi32ELi8ELc78ELc67ELc85ELb0ELb0EfPKfS1_PfEviT_T9_T10_S3_lS5_S3_lS4_T11_S3_li
	.p2align	8
	.type	_ZL29rocblas_internal_gemmt_kernelIiLi16ELi32ELi8ELc78ELc67ELc85ELb0ELb0EfPKfS1_PfEviT_T9_T10_S3_lS5_S3_lS4_T11_S3_li,@function
_ZL29rocblas_internal_gemmt_kernelIiLi16ELi32ELi8ELc78ELc67ELc85ELb0ELb0EfPKfS1_PfEviT_T9_T10_S3_lS5_S3_lS4_T11_S3_li: ; @_ZL29rocblas_internal_gemmt_kernelIiLi16ELi32ELi8ELc78ELc67ELc85ELb0ELb0EfPKfS1_PfEviT_T9_T10_S3_lS5_S3_lS4_T11_S3_li
; %bb.0:
	s_load_dwordx4 s[8:11], s[0:1], 0x38
	s_load_dwordx4 s[12:15], s[0:1], 0x8
	s_waitcnt lgkmcnt(0)
	s_load_dword s22, s[10:11], 0x0
	s_load_dwordx2 s[20:21], s[0:1], 0x0
	s_load_dword s23, s[12:13], 0x0
	s_waitcnt lgkmcnt(0)
	v_cmp_neq_f32_e64 s[6:7], s22, 1.0
	s_and_b64 vcc, exec, s[6:7]
	s_cbranch_vccnz .LBB2_2
; %bb.1:
	s_cmp_lg_u32 s21, 0
	s_cselect_b64 s[6:7], -1, 0
	v_cmp_neq_f32_e64 s[10:11], s23, 0
	s_and_b64 s[6:7], s[6:7], s[10:11]
.LBB2_2:
	s_andn2_b64 vcc, exec, s[6:7]
	s_cbranch_vccnz .LBB2_26
; %bb.3:
	s_load_dwordx2 s[10:11], s[0:1], 0x48
	s_lshl_b32 s5, s2, 5
	s_lshl_b32 s24, s3, 5
	s_cmp_lt_i32 s21, 1
	v_cmp_eq_f32_e64 s[2:3], s23, 0
	s_cselect_b64 s[6:7], -1, 0
	v_mov_b32_e32 v3, 0
	s_or_b64 s[2:3], s[2:3], s[6:7]
	v_and_b32_e32 v9, 0x3ff, v0
	v_bfe_u32 v8, v0, 10, 10
	s_mov_b32 s25, 0
	s_and_b64 vcc, exec, s[2:3]
	v_mov_b32_e32 v2, v3
	v_mov_b32_e32 v1, v3
	;; [unrolled: 1-line block ×3, first 2 shown]
	s_cbranch_vccnz .LBB2_10
; %bb.4:
	v_lshl_add_u32 v1, v8, 4, v9
	v_and_b32_e32 v4, 31, v1
	v_lshrrev_b32_e32 v11, 5, v1
	v_lshrrev_b32_e32 v2, 3, v1
	v_or_b32_e32 v1, s5, v4
	s_load_dword s6, s[0:1], 0x18
	s_load_dwordx4 s[16:19], s[0:1], 0x20
	s_load_dword s26, s[0:1], 0x30
	v_and_b32_e32 v10, 7, v9
	v_cmp_gt_i32_e32 vcc, s20, v1
	v_lshlrev_b32_e32 v1, 2, v4
	v_lshl_or_b32 v12, v11, 7, v1
	v_lshlrev_b32_e32 v1, 2, v10
	v_add_u32_e32 v0, s24, v2
	v_lshl_or_b32 v1, v2, 5, v1
	v_mov_b32_e32 v2, 0x400
	v_lshl_add_u32 v15, v8, 5, v2
	s_waitcnt lgkmcnt(0)
	v_mad_i64_i32 v[2:3], s[12:13], v11, s6, 0
	s_mul_i32 s12, s17, s4
	s_mul_hi_u32 s13, s16, s4
	s_add_i32 s13, s13, s12
	s_mul_i32 s12, s16, s4
	s_lshl_b64 s[12:13], s[12:13], 2
	v_add_u32_e32 v4, s5, v4
	s_ashr_i32 s7, s6, 31
	v_lshl_add_u64 v[2:3], v[2:3], 2, s[12:13]
	v_ashrrev_i32_e32 v5, 31, v4
	v_lshl_add_u64 v[2:3], v[4:5], 2, v[2:3]
	s_lshl_b64 s[12:13], s[6:7], 5
	s_mul_i32 s6, s9, s4
	s_mul_hi_u32 s7, s8, s4
	v_lshl_add_u64 v[4:5], s[14:15], 0, v[2:3]
	s_add_i32 s7, s7, s6
	s_mul_i32 s6, s8, s4
	v_mad_i64_i32 v[2:3], s[8:9], s26, v10, 0
	v_lshlrev_b64 v[2:3], 2, v[2:3]
	v_add_u32_e32 v13, 0x400, v1
	v_ashrrev_i32_e32 v1, 31, v0
	v_lshl_add_u64 v[2:3], s[6:7], 2, v[2:3]
	v_cmp_gt_i32_e64 s[2:3], s20, v0
	v_lshl_add_u64 v[0:1], v[0:1], 2, v[2:3]
	s_ashr_i32 s27, s26, 31
	v_lshl_add_u64 v[6:7], s[18:19], 0, v[0:1]
	v_mov_b32_e32 v0, 0
	v_lshlrev_b32_e32 v14, 2, v9
	s_lshl_b64 s[8:9], s[26:27], 5
	v_mov_b32_e32 v1, v0
	v_mov_b32_e32 v2, v0
	;; [unrolled: 1-line block ×3, first 2 shown]
	s_branch .LBB2_6
.LBB2_5:                                ;   in Loop: Header=BB2_6 Depth=1
	s_or_b64 exec, exec, s[6:7]
	s_waitcnt vmcnt(0)
	ds_write_b32 v13, v16
	s_waitcnt lgkmcnt(0)
	s_barrier
	ds_read_b128 v[16:19], v15
	ds_read_b128 v[20:23], v15 offset:16
	ds_read2_b32 v[32:33], v14 offset1:16
	ds_read2_b32 v[34:35], v14 offset0:32 offset1:48
	ds_read2_b32 v[36:37], v14 offset0:64 offset1:80
	;; [unrolled: 1-line block ×4, first 2 shown]
	ds_read_b128 v[24:27], v15 offset:512
	ds_read_b128 v[28:31], v15 offset:528
	ds_read2_b32 v[42:43], v14 offset0:160 offset1:176
	ds_read2_b32 v[44:45], v14 offset0:192 offset1:208
	;; [unrolled: 1-line block ×3, first 2 shown]
	s_waitcnt lgkmcnt(9)
	v_pk_fma_f32 v[2:3], v[32:33], v[16:17], v[2:3] op_sel_hi:[1,0,1]
	s_waitcnt lgkmcnt(4)
	v_pk_fma_f32 v[0:1], v[32:33], v[24:25], v[0:1] op_sel_hi:[1,0,1]
	v_pk_fma_f32 v[2:3], v[34:35], v[16:17], v[2:3] op_sel:[0,1,0]
	v_mov_b32_e32 v16, v19
	v_pk_fma_f32 v[2:3], v[36:37], v[18:19], v[2:3] op_sel_hi:[1,0,1]
	v_pk_fma_f32 v[0:1], v[34:35], v[24:25], v[0:1] op_sel:[0,1,0]
	v_pk_fma_f32 v[2:3], v[38:39], v[16:17], v[2:3] op_sel_hi:[1,0,1]
	v_mov_b32_e32 v16, v23
	v_pk_fma_f32 v[2:3], v[40:41], v[20:21], v[2:3] op_sel_hi:[1,0,1]
	v_pk_fma_f32 v[0:1], v[36:37], v[26:27], v[0:1] op_sel_hi:[1,0,1]
	s_waitcnt lgkmcnt(2)
	v_pk_fma_f32 v[2:3], v[42:43], v[20:21], v[2:3] op_sel:[0,1,0]
	s_add_i32 s25, s25, 8
	s_waitcnt lgkmcnt(1)
	v_pk_fma_f32 v[2:3], v[44:45], v[22:23], v[2:3] op_sel_hi:[1,0,1]
	v_lshl_add_u64 v[4:5], v[4:5], 0, s[12:13]
	s_waitcnt lgkmcnt(0)
	v_pk_fma_f32 v[2:3], v[46:47], v[16:17], v[2:3] op_sel_hi:[1,0,1]
	v_mov_b32_e32 v16, v27
	v_pk_fma_f32 v[0:1], v[38:39], v[16:17], v[0:1] op_sel_hi:[1,0,1]
	v_mov_b32_e32 v16, v31
	v_pk_fma_f32 v[0:1], v[40:41], v[28:29], v[0:1] op_sel_hi:[1,0,1]
	s_cmp_lt_i32 s25, s21
	v_pk_fma_f32 v[0:1], v[42:43], v[28:29], v[0:1] op_sel:[0,1,0]
	v_lshl_add_u64 v[6:7], v[6:7], 0, s[8:9]
	v_pk_fma_f32 v[0:1], v[44:45], v[30:31], v[0:1] op_sel_hi:[1,0,1]
	s_nop 0
	v_pk_fma_f32 v[0:1], v[46:47], v[16:17], v[0:1] op_sel_hi:[1,0,1]
	s_barrier
	s_cbranch_scc0 .LBB2_10
.LBB2_6:                                ; =>This Inner Loop Header: Depth=1
	v_add_u32_e32 v16, s25, v11
	v_cmp_gt_i32_e64 s[6:7], s21, v16
	s_and_b64 s[14:15], vcc, s[6:7]
	v_mov_b32_e32 v16, 0
	s_and_saveexec_b64 s[6:7], s[14:15]
	s_cbranch_execz .LBB2_8
; %bb.7:                                ;   in Loop: Header=BB2_6 Depth=1
	global_load_dword v16, v[4:5], off
.LBB2_8:                                ;   in Loop: Header=BB2_6 Depth=1
	s_or_b64 exec, exec, s[6:7]
	s_waitcnt vmcnt(0)
	ds_write_b32 v12, v16
	v_add_u32_e32 v16, s25, v10
	v_cmp_gt_i32_e64 s[6:7], s21, v16
	s_and_b64 s[14:15], s[6:7], s[2:3]
	v_mov_b32_e32 v16, 0
	s_and_saveexec_b64 s[6:7], s[14:15]
	s_cbranch_execz .LBB2_5
; %bb.9:                                ;   in Loop: Header=BB2_6 Depth=1
	global_load_dword v16, v[6:7], off
	s_branch .LBB2_5
.LBB2_10:
	s_load_dwordx2 s[2:3], s[0:1], 0x58
	s_load_dword s8, s[0:1], 0x50
	v_add_u32_e32 v10, s24, v8
	v_add_u32_e32 v4, s5, v9
	v_cmp_le_i32_e32 vcc, v4, v10
	s_waitcnt lgkmcnt(0)
	s_mul_i32 s1, s3, s4
	s_mul_hi_u32 s3, s2, s4
	s_mul_i32 s0, s2, s4
	s_add_i32 s1, s3, s1
	s_lshl_b64 s[0:1], s[0:1], 2
	s_add_u32 s4, s10, s0
	s_addc_u32 s5, s11, s1
	v_mad_i64_i32 v[6:7], s[0:1], v10, s8, 0
	v_cmp_neq_f32_e64 s[0:1], s22, 0
	v_cmp_gt_i32_e64 s[2:3], s20, v10
	v_lshl_add_u64 v[8:9], v[6:7], 2, s[4:5]
	v_cndmask_b32_e64 v6, 0, 1, s[0:1]
	s_and_b64 s[10:11], s[2:3], vcc
	v_ashrrev_i32_e32 v5, 31, v4
	v_cmp_ne_u32_e64 s[0:1], 1, v6
	s_and_saveexec_b64 s[6:7], s[10:11]
	s_cbranch_execz .LBB2_14
; %bb.11:
	v_mul_f32_e32 v2, s23, v2
	s_and_b64 vcc, exec, s[0:1]
	v_lshl_add_u64 v[6:7], v[4:5], 2, v[8:9]
	s_cbranch_vccnz .LBB2_13
; %bb.12:
	global_load_dword v11, v[6:7], off
	s_waitcnt vmcnt(0)
	v_fmac_f32_e32 v2, s22, v11
.LBB2_13:
	global_store_dword v[6:7], v2, off
.LBB2_14:
	s_or_b64 exec, exec, s[6:7]
	v_add_u32_e32 v6, 16, v4
	v_cmp_le_i32_e32 vcc, v6, v10
	s_and_b64 s[6:7], s[2:3], vcc
	v_ashrrev_i32_e32 v7, 31, v6
	s_and_saveexec_b64 s[2:3], s[6:7]
	s_cbranch_execz .LBB2_18
; %bb.15:
	v_mul_f32_e32 v11, s23, v3
	s_and_b64 vcc, exec, s[0:1]
	v_lshl_add_u64 v[2:3], v[6:7], 2, v[8:9]
	s_cbranch_vccnz .LBB2_17
; %bb.16:
	global_load_dword v8, v[2:3], off
	s_waitcnt vmcnt(0)
	v_fmac_f32_e32 v11, s22, v8
.LBB2_17:
	global_store_dword v[2:3], v11, off
.LBB2_18:
	s_or_b64 exec, exec, s[2:3]
	v_add_u32_e32 v8, 16, v10
	v_cmp_gt_i32_e64 s[2:3], s20, v8
	v_mad_i64_i32 v[2:3], s[6:7], v8, s8, 0
	v_cmp_le_i32_e32 vcc, v4, v8
	v_lshl_add_u64 v[2:3], v[2:3], 2, s[4:5]
	s_and_b64 s[6:7], s[2:3], vcc
	s_and_saveexec_b64 s[4:5], s[6:7]
	s_cbranch_execz .LBB2_22
; %bb.19:
	v_mul_f32_e32 v0, s23, v0
	s_and_b64 vcc, exec, s[0:1]
	v_lshl_add_u64 v[4:5], v[4:5], 2, v[2:3]
	s_cbranch_vccnz .LBB2_21
; %bb.20:
	global_load_dword v9, v[4:5], off
	s_waitcnt vmcnt(0)
	v_fmac_f32_e32 v0, s22, v9
.LBB2_21:
	global_store_dword v[4:5], v0, off
.LBB2_22:
	s_or_b64 exec, exec, s[4:5]
	v_cmp_le_i32_e32 vcc, v6, v8
	s_and_b64 s[2:3], s[2:3], vcc
	s_and_saveexec_b64 s[4:5], s[2:3]
	s_cbranch_execz .LBB2_26
; %bb.23:
	v_mul_f32_e32 v4, s23, v1
	s_and_b64 vcc, exec, s[0:1]
	v_lshl_add_u64 v[0:1], v[6:7], 2, v[2:3]
	s_cbranch_vccnz .LBB2_25
; %bb.24:
	global_load_dword v2, v[0:1], off
	s_waitcnt vmcnt(0)
	v_fmac_f32_e32 v4, s22, v2
.LBB2_25:
	global_store_dword v[0:1], v4, off
.LBB2_26:
	s_endpgm
	.section	.rodata,"a",@progbits
	.p2align	6, 0x0
	.amdhsa_kernel _ZL29rocblas_internal_gemmt_kernelIiLi16ELi32ELi8ELc78ELc67ELc85ELb0ELb0EfPKfS1_PfEviT_T9_T10_S3_lS5_S3_lS4_T11_S3_li
		.amdhsa_group_segment_fixed_size 2048
		.amdhsa_private_segment_fixed_size 0
		.amdhsa_kernarg_size 100
		.amdhsa_user_sgpr_count 2
		.amdhsa_user_sgpr_dispatch_ptr 0
		.amdhsa_user_sgpr_queue_ptr 0
		.amdhsa_user_sgpr_kernarg_segment_ptr 1
		.amdhsa_user_sgpr_dispatch_id 0
		.amdhsa_user_sgpr_kernarg_preload_length 0
		.amdhsa_user_sgpr_kernarg_preload_offset 0
		.amdhsa_user_sgpr_private_segment_size 0
		.amdhsa_uses_dynamic_stack 0
		.amdhsa_enable_private_segment 0
		.amdhsa_system_sgpr_workgroup_id_x 1
		.amdhsa_system_sgpr_workgroup_id_y 1
		.amdhsa_system_sgpr_workgroup_id_z 1
		.amdhsa_system_sgpr_workgroup_info 0
		.amdhsa_system_vgpr_workitem_id 1
		.amdhsa_next_free_vgpr 48
		.amdhsa_next_free_sgpr 28
		.amdhsa_accum_offset 48
		.amdhsa_reserve_vcc 1
		.amdhsa_float_round_mode_32 0
		.amdhsa_float_round_mode_16_64 0
		.amdhsa_float_denorm_mode_32 3
		.amdhsa_float_denorm_mode_16_64 3
		.amdhsa_dx10_clamp 1
		.amdhsa_ieee_mode 1
		.amdhsa_fp16_overflow 0
		.amdhsa_tg_split 0
		.amdhsa_exception_fp_ieee_invalid_op 0
		.amdhsa_exception_fp_denorm_src 0
		.amdhsa_exception_fp_ieee_div_zero 0
		.amdhsa_exception_fp_ieee_overflow 0
		.amdhsa_exception_fp_ieee_underflow 0
		.amdhsa_exception_fp_ieee_inexact 0
		.amdhsa_exception_int_div_zero 0
	.end_amdhsa_kernel
	.section	.text._ZL29rocblas_internal_gemmt_kernelIiLi16ELi32ELi8ELc78ELc67ELc85ELb0ELb0EfPKfS1_PfEviT_T9_T10_S3_lS5_S3_lS4_T11_S3_li,"axG",@progbits,_ZL29rocblas_internal_gemmt_kernelIiLi16ELi32ELi8ELc78ELc67ELc85ELb0ELb0EfPKfS1_PfEviT_T9_T10_S3_lS5_S3_lS4_T11_S3_li,comdat
.Lfunc_end2:
	.size	_ZL29rocblas_internal_gemmt_kernelIiLi16ELi32ELi8ELc78ELc67ELc85ELb0ELb0EfPKfS1_PfEviT_T9_T10_S3_lS5_S3_lS4_T11_S3_li, .Lfunc_end2-_ZL29rocblas_internal_gemmt_kernelIiLi16ELi32ELi8ELc78ELc67ELc85ELb0ELb0EfPKfS1_PfEviT_T9_T10_S3_lS5_S3_lS4_T11_S3_li
                                        ; -- End function
	.set _ZL29rocblas_internal_gemmt_kernelIiLi16ELi32ELi8ELc78ELc67ELc85ELb0ELb0EfPKfS1_PfEviT_T9_T10_S3_lS5_S3_lS4_T11_S3_li.num_vgpr, 48
	.set _ZL29rocblas_internal_gemmt_kernelIiLi16ELi32ELi8ELc78ELc67ELc85ELb0ELb0EfPKfS1_PfEviT_T9_T10_S3_lS5_S3_lS4_T11_S3_li.num_agpr, 0
	.set _ZL29rocblas_internal_gemmt_kernelIiLi16ELi32ELi8ELc78ELc67ELc85ELb0ELb0EfPKfS1_PfEviT_T9_T10_S3_lS5_S3_lS4_T11_S3_li.numbered_sgpr, 28
	.set _ZL29rocblas_internal_gemmt_kernelIiLi16ELi32ELi8ELc78ELc67ELc85ELb0ELb0EfPKfS1_PfEviT_T9_T10_S3_lS5_S3_lS4_T11_S3_li.num_named_barrier, 0
	.set _ZL29rocblas_internal_gemmt_kernelIiLi16ELi32ELi8ELc78ELc67ELc85ELb0ELb0EfPKfS1_PfEviT_T9_T10_S3_lS5_S3_lS4_T11_S3_li.private_seg_size, 0
	.set _ZL29rocblas_internal_gemmt_kernelIiLi16ELi32ELi8ELc78ELc67ELc85ELb0ELb0EfPKfS1_PfEviT_T9_T10_S3_lS5_S3_lS4_T11_S3_li.uses_vcc, 1
	.set _ZL29rocblas_internal_gemmt_kernelIiLi16ELi32ELi8ELc78ELc67ELc85ELb0ELb0EfPKfS1_PfEviT_T9_T10_S3_lS5_S3_lS4_T11_S3_li.uses_flat_scratch, 0
	.set _ZL29rocblas_internal_gemmt_kernelIiLi16ELi32ELi8ELc78ELc67ELc85ELb0ELb0EfPKfS1_PfEviT_T9_T10_S3_lS5_S3_lS4_T11_S3_li.has_dyn_sized_stack, 0
	.set _ZL29rocblas_internal_gemmt_kernelIiLi16ELi32ELi8ELc78ELc67ELc85ELb0ELb0EfPKfS1_PfEviT_T9_T10_S3_lS5_S3_lS4_T11_S3_li.has_recursion, 0
	.set _ZL29rocblas_internal_gemmt_kernelIiLi16ELi32ELi8ELc78ELc67ELc85ELb0ELb0EfPKfS1_PfEviT_T9_T10_S3_lS5_S3_lS4_T11_S3_li.has_indirect_call, 0
	.section	.AMDGPU.csdata,"",@progbits
; Kernel info:
; codeLenInByte = 1264
; TotalNumSgprs: 34
; NumVgprs: 48
; NumAgprs: 0
; TotalNumVgprs: 48
; ScratchSize: 0
; MemoryBound: 0
; FloatMode: 240
; IeeeMode: 1
; LDSByteSize: 2048 bytes/workgroup (compile time only)
; SGPRBlocks: 4
; VGPRBlocks: 5
; NumSGPRsForWavesPerEU: 34
; NumVGPRsForWavesPerEU: 48
; AccumOffset: 48
; Occupancy: 8
; WaveLimiterHint : 0
; COMPUTE_PGM_RSRC2:SCRATCH_EN: 0
; COMPUTE_PGM_RSRC2:USER_SGPR: 2
; COMPUTE_PGM_RSRC2:TRAP_HANDLER: 0
; COMPUTE_PGM_RSRC2:TGID_X_EN: 1
; COMPUTE_PGM_RSRC2:TGID_Y_EN: 1
; COMPUTE_PGM_RSRC2:TGID_Z_EN: 1
; COMPUTE_PGM_RSRC2:TIDIG_COMP_CNT: 1
; COMPUTE_PGM_RSRC3_GFX90A:ACCUM_OFFSET: 11
; COMPUTE_PGM_RSRC3_GFX90A:TG_SPLIT: 0
	.section	.text._ZL29rocblas_internal_gemmt_kernelIiLi16ELi32ELi8ELc84ELc78ELc85ELb0ELb0EfPKfS1_PfEviT_T9_T10_S3_lS5_S3_lS4_T11_S3_li,"axG",@progbits,_ZL29rocblas_internal_gemmt_kernelIiLi16ELi32ELi8ELc84ELc78ELc85ELb0ELb0EfPKfS1_PfEviT_T9_T10_S3_lS5_S3_lS4_T11_S3_li,comdat
	.globl	_ZL29rocblas_internal_gemmt_kernelIiLi16ELi32ELi8ELc84ELc78ELc85ELb0ELb0EfPKfS1_PfEviT_T9_T10_S3_lS5_S3_lS4_T11_S3_li ; -- Begin function _ZL29rocblas_internal_gemmt_kernelIiLi16ELi32ELi8ELc84ELc78ELc85ELb0ELb0EfPKfS1_PfEviT_T9_T10_S3_lS5_S3_lS4_T11_S3_li
	.p2align	8
	.type	_ZL29rocblas_internal_gemmt_kernelIiLi16ELi32ELi8ELc84ELc78ELc85ELb0ELb0EfPKfS1_PfEviT_T9_T10_S3_lS5_S3_lS4_T11_S3_li,@function
_ZL29rocblas_internal_gemmt_kernelIiLi16ELi32ELi8ELc84ELc78ELc85ELb0ELb0EfPKfS1_PfEviT_T9_T10_S3_lS5_S3_lS4_T11_S3_li: ; @_ZL29rocblas_internal_gemmt_kernelIiLi16ELi32ELi8ELc84ELc78ELc85ELb0ELb0EfPKfS1_PfEviT_T9_T10_S3_lS5_S3_lS4_T11_S3_li
; %bb.0:
	s_load_dwordx4 s[8:11], s[0:1], 0x38
	s_load_dwordx4 s[12:15], s[0:1], 0x8
	s_waitcnt lgkmcnt(0)
	s_load_dword s22, s[10:11], 0x0
	s_load_dwordx2 s[20:21], s[0:1], 0x0
	s_load_dword s23, s[12:13], 0x0
	s_waitcnt lgkmcnt(0)
	v_cmp_neq_f32_e64 s[6:7], s22, 1.0
	s_and_b64 vcc, exec, s[6:7]
	s_cbranch_vccnz .LBB3_2
; %bb.1:
	s_cmp_lg_u32 s21, 0
	s_cselect_b64 s[6:7], -1, 0
	v_cmp_neq_f32_e64 s[10:11], s23, 0
	s_and_b64 s[6:7], s[6:7], s[10:11]
.LBB3_2:
	s_andn2_b64 vcc, exec, s[6:7]
	s_cbranch_vccnz .LBB3_26
; %bb.3:
	s_load_dwordx2 s[10:11], s[0:1], 0x48
	s_lshl_b32 s5, s2, 5
	s_lshl_b32 s12, s3, 5
	s_cmp_lt_i32 s21, 1
	v_cmp_eq_f32_e64 s[2:3], s23, 0
	s_cselect_b64 s[6:7], -1, 0
	v_mov_b32_e32 v3, 0
	s_or_b64 s[2:3], s[2:3], s[6:7]
	v_and_b32_e32 v9, 0x3ff, v0
	v_bfe_u32 v8, v0, 10, 10
	s_mov_b32 s13, 0
	s_and_b64 vcc, exec, s[2:3]
	v_mov_b32_e32 v2, v3
	v_mov_b32_e32 v1, v3
	;; [unrolled: 1-line block ×3, first 2 shown]
	s_cbranch_vccnz .LBB3_10
; %bb.4:
	v_lshl_add_u32 v0, v8, 4, v9
	v_lshrrev_b32_e32 v11, 5, v0
	v_lshrrev_b32_e32 v1, 3, v0
	v_and_b32_e32 v0, 31, v0
	v_or_b32_e32 v2, s5, v0
	v_and_b32_e32 v10, 7, v9
	v_cmp_gt_i32_e32 vcc, s20, v2
	v_lshlrev_b32_e32 v2, 2, v0
	s_load_dword s6, s[0:1], 0x18
	s_load_dwordx4 s[16:19], s[0:1], 0x20
	s_load_dword s24, s[0:1], 0x30
	v_lshl_or_b32 v12, v11, 7, v2
	v_lshlrev_b32_e32 v2, 2, v10
	v_add_u32_e32 v3, s12, v1
	v_lshl_or_b32 v1, v1, 5, v2
	v_add_u32_e32 v13, 0x400, v1
	v_mov_b32_e32 v1, 0x400
	v_add_u32_e32 v0, s5, v0
	v_lshl_add_u32 v15, v8, 5, v1
	s_waitcnt lgkmcnt(0)
	v_mad_i64_i32 v[0:1], s[6:7], s6, v0, 0
	s_mul_i32 s6, s17, s4
	s_mul_hi_u32 s7, s16, s4
	s_add_i32 s7, s7, s6
	s_mul_i32 s6, s16, s4
	s_lshl_b64 s[6:7], s[6:7], 2
	v_lshl_add_u64 v[4:5], v[0:1], 2, s[6:7]
	v_mad_i64_i32 v[6:7], s[6:7], s24, v3, 0
	s_mul_i32 s6, s9, s4
	s_mul_hi_u32 s7, s8, s4
	s_add_i32 s7, s7, s6
	s_mul_i32 s6, s8, s4
	v_mov_b32_e32 v1, 0
	s_lshl_b64 s[6:7], s[6:7], 2
	v_cmp_gt_i32_e64 s[2:3], s20, v3
	v_lshlrev_b32_e32 v0, 2, v11
	v_lshl_add_u64 v[6:7], v[6:7], 2, s[6:7]
	v_mov_b32_e32 v3, v1
	v_lshl_add_u64 v[4:5], v[4:5], 0, v[0:1]
	v_lshl_add_u64 v[2:3], v[6:7], 0, v[2:3]
	v_lshlrev_b32_e32 v14, 2, v9
	v_lshl_add_u64 v[4:5], s[14:15], 0, v[4:5]
	v_lshl_add_u64 v[6:7], s[18:19], 0, v[2:3]
	v_mov_b32_e32 v0, v1
	v_mov_b32_e32 v2, v1
	;; [unrolled: 1-line block ×3, first 2 shown]
	s_branch .LBB3_6
.LBB3_5:                                ;   in Loop: Header=BB3_6 Depth=1
	s_or_b64 exec, exec, s[6:7]
	s_waitcnt vmcnt(0)
	ds_write_b32 v13, v16
	s_waitcnt lgkmcnt(0)
	s_barrier
	ds_read_b128 v[16:19], v15
	ds_read_b128 v[20:23], v15 offset:16
	ds_read2_b32 v[32:33], v14 offset1:16
	ds_read2_b32 v[34:35], v14 offset0:32 offset1:48
	ds_read2_b32 v[36:37], v14 offset0:64 offset1:80
	ds_read2_b32 v[38:39], v14 offset0:96 offset1:112
	ds_read2_b32 v[40:41], v14 offset0:128 offset1:144
	ds_read_b128 v[24:27], v15 offset:512
	ds_read_b128 v[28:31], v15 offset:528
	ds_read2_b32 v[42:43], v14 offset0:160 offset1:176
	ds_read2_b32 v[44:45], v14 offset0:192 offset1:208
	;; [unrolled: 1-line block ×3, first 2 shown]
	s_waitcnt lgkmcnt(9)
	v_pk_fma_f32 v[2:3], v[32:33], v[16:17], v[2:3] op_sel_hi:[1,0,1]
	s_waitcnt lgkmcnt(4)
	v_pk_fma_f32 v[0:1], v[32:33], v[24:25], v[0:1] op_sel_hi:[1,0,1]
	v_pk_fma_f32 v[2:3], v[34:35], v[16:17], v[2:3] op_sel:[0,1,0]
	v_mov_b32_e32 v16, v19
	v_pk_fma_f32 v[2:3], v[36:37], v[18:19], v[2:3] op_sel_hi:[1,0,1]
	v_pk_fma_f32 v[0:1], v[34:35], v[24:25], v[0:1] op_sel:[0,1,0]
	v_pk_fma_f32 v[2:3], v[38:39], v[16:17], v[2:3] op_sel_hi:[1,0,1]
	v_mov_b32_e32 v16, v23
	v_pk_fma_f32 v[2:3], v[40:41], v[20:21], v[2:3] op_sel_hi:[1,0,1]
	v_pk_fma_f32 v[0:1], v[36:37], v[26:27], v[0:1] op_sel_hi:[1,0,1]
	s_waitcnt lgkmcnt(2)
	v_pk_fma_f32 v[2:3], v[42:43], v[20:21], v[2:3] op_sel:[0,1,0]
	s_add_i32 s13, s13, 8
	s_waitcnt lgkmcnt(1)
	v_pk_fma_f32 v[2:3], v[44:45], v[22:23], v[2:3] op_sel_hi:[1,0,1]
	v_lshl_add_u64 v[4:5], v[4:5], 0, 32
	s_waitcnt lgkmcnt(0)
	v_pk_fma_f32 v[2:3], v[46:47], v[16:17], v[2:3] op_sel_hi:[1,0,1]
	v_mov_b32_e32 v16, v27
	v_pk_fma_f32 v[0:1], v[38:39], v[16:17], v[0:1] op_sel_hi:[1,0,1]
	v_mov_b32_e32 v16, v31
	v_pk_fma_f32 v[0:1], v[40:41], v[28:29], v[0:1] op_sel_hi:[1,0,1]
	s_cmp_lt_i32 s13, s21
	v_pk_fma_f32 v[0:1], v[42:43], v[28:29], v[0:1] op_sel:[0,1,0]
	v_lshl_add_u64 v[6:7], v[6:7], 0, 32
	v_pk_fma_f32 v[0:1], v[44:45], v[30:31], v[0:1] op_sel_hi:[1,0,1]
	s_nop 0
	v_pk_fma_f32 v[0:1], v[46:47], v[16:17], v[0:1] op_sel_hi:[1,0,1]
	s_barrier
	s_cbranch_scc0 .LBB3_10
.LBB3_6:                                ; =>This Inner Loop Header: Depth=1
	v_add_u32_e32 v16, s13, v11
	v_cmp_gt_i32_e64 s[6:7], s21, v16
	s_and_b64 s[8:9], vcc, s[6:7]
	v_mov_b32_e32 v16, 0
	s_and_saveexec_b64 s[6:7], s[8:9]
	s_cbranch_execz .LBB3_8
; %bb.7:                                ;   in Loop: Header=BB3_6 Depth=1
	global_load_dword v16, v[4:5], off
.LBB3_8:                                ;   in Loop: Header=BB3_6 Depth=1
	s_or_b64 exec, exec, s[6:7]
	s_waitcnt vmcnt(0)
	ds_write_b32 v12, v16
	v_add_u32_e32 v16, s13, v10
	v_cmp_gt_i32_e64 s[6:7], s21, v16
	s_and_b64 s[8:9], s[6:7], s[2:3]
	v_mov_b32_e32 v16, 0
	s_and_saveexec_b64 s[6:7], s[8:9]
	s_cbranch_execz .LBB3_5
; %bb.9:                                ;   in Loop: Header=BB3_6 Depth=1
	global_load_dword v16, v[6:7], off
	s_branch .LBB3_5
.LBB3_10:
	s_load_dwordx2 s[2:3], s[0:1], 0x58
	s_load_dword s8, s[0:1], 0x50
	v_add_u32_e32 v10, s12, v8
	v_add_u32_e32 v4, s5, v9
	v_cmp_le_i32_e32 vcc, v4, v10
	s_waitcnt lgkmcnt(0)
	s_mul_i32 s1, s3, s4
	s_mul_hi_u32 s3, s2, s4
	s_mul_i32 s0, s2, s4
	s_add_i32 s1, s3, s1
	s_lshl_b64 s[0:1], s[0:1], 2
	s_add_u32 s4, s10, s0
	s_addc_u32 s5, s11, s1
	v_mad_i64_i32 v[6:7], s[0:1], v10, s8, 0
	v_cmp_neq_f32_e64 s[0:1], s22, 0
	v_cmp_gt_i32_e64 s[2:3], s20, v10
	v_lshl_add_u64 v[8:9], v[6:7], 2, s[4:5]
	v_cndmask_b32_e64 v6, 0, 1, s[0:1]
	s_and_b64 s[10:11], s[2:3], vcc
	v_ashrrev_i32_e32 v5, 31, v4
	v_cmp_ne_u32_e64 s[0:1], 1, v6
	s_and_saveexec_b64 s[6:7], s[10:11]
	s_cbranch_execz .LBB3_14
; %bb.11:
	v_mul_f32_e32 v2, s23, v2
	s_and_b64 vcc, exec, s[0:1]
	v_lshl_add_u64 v[6:7], v[4:5], 2, v[8:9]
	s_cbranch_vccnz .LBB3_13
; %bb.12:
	global_load_dword v11, v[6:7], off
	s_waitcnt vmcnt(0)
	v_fmac_f32_e32 v2, s22, v11
.LBB3_13:
	global_store_dword v[6:7], v2, off
.LBB3_14:
	s_or_b64 exec, exec, s[6:7]
	v_add_u32_e32 v6, 16, v4
	v_cmp_le_i32_e32 vcc, v6, v10
	s_and_b64 s[6:7], s[2:3], vcc
	v_ashrrev_i32_e32 v7, 31, v6
	s_and_saveexec_b64 s[2:3], s[6:7]
	s_cbranch_execz .LBB3_18
; %bb.15:
	v_mul_f32_e32 v11, s23, v3
	s_and_b64 vcc, exec, s[0:1]
	v_lshl_add_u64 v[2:3], v[6:7], 2, v[8:9]
	s_cbranch_vccnz .LBB3_17
; %bb.16:
	global_load_dword v8, v[2:3], off
	s_waitcnt vmcnt(0)
	v_fmac_f32_e32 v11, s22, v8
.LBB3_17:
	global_store_dword v[2:3], v11, off
.LBB3_18:
	s_or_b64 exec, exec, s[2:3]
	v_add_u32_e32 v8, 16, v10
	v_cmp_gt_i32_e64 s[2:3], s20, v8
	v_mad_i64_i32 v[2:3], s[6:7], v8, s8, 0
	v_cmp_le_i32_e32 vcc, v4, v8
	v_lshl_add_u64 v[2:3], v[2:3], 2, s[4:5]
	s_and_b64 s[6:7], s[2:3], vcc
	s_and_saveexec_b64 s[4:5], s[6:7]
	s_cbranch_execz .LBB3_22
; %bb.19:
	v_mul_f32_e32 v0, s23, v0
	s_and_b64 vcc, exec, s[0:1]
	v_lshl_add_u64 v[4:5], v[4:5], 2, v[2:3]
	s_cbranch_vccnz .LBB3_21
; %bb.20:
	global_load_dword v9, v[4:5], off
	s_waitcnt vmcnt(0)
	v_fmac_f32_e32 v0, s22, v9
.LBB3_21:
	global_store_dword v[4:5], v0, off
.LBB3_22:
	s_or_b64 exec, exec, s[4:5]
	v_cmp_le_i32_e32 vcc, v6, v8
	s_and_b64 s[2:3], s[2:3], vcc
	s_and_saveexec_b64 s[4:5], s[2:3]
	s_cbranch_execz .LBB3_26
; %bb.23:
	v_mul_f32_e32 v4, s23, v1
	s_and_b64 vcc, exec, s[0:1]
	v_lshl_add_u64 v[0:1], v[6:7], 2, v[2:3]
	s_cbranch_vccnz .LBB3_25
; %bb.24:
	global_load_dword v2, v[0:1], off
	s_waitcnt vmcnt(0)
	v_fmac_f32_e32 v4, s22, v2
.LBB3_25:
	global_store_dword v[0:1], v4, off
.LBB3_26:
	s_endpgm
	.section	.rodata,"a",@progbits
	.p2align	6, 0x0
	.amdhsa_kernel _ZL29rocblas_internal_gemmt_kernelIiLi16ELi32ELi8ELc84ELc78ELc85ELb0ELb0EfPKfS1_PfEviT_T9_T10_S3_lS5_S3_lS4_T11_S3_li
		.amdhsa_group_segment_fixed_size 2048
		.amdhsa_private_segment_fixed_size 0
		.amdhsa_kernarg_size 100
		.amdhsa_user_sgpr_count 2
		.amdhsa_user_sgpr_dispatch_ptr 0
		.amdhsa_user_sgpr_queue_ptr 0
		.amdhsa_user_sgpr_kernarg_segment_ptr 1
		.amdhsa_user_sgpr_dispatch_id 0
		.amdhsa_user_sgpr_kernarg_preload_length 0
		.amdhsa_user_sgpr_kernarg_preload_offset 0
		.amdhsa_user_sgpr_private_segment_size 0
		.amdhsa_uses_dynamic_stack 0
		.amdhsa_enable_private_segment 0
		.amdhsa_system_sgpr_workgroup_id_x 1
		.amdhsa_system_sgpr_workgroup_id_y 1
		.amdhsa_system_sgpr_workgroup_id_z 1
		.amdhsa_system_sgpr_workgroup_info 0
		.amdhsa_system_vgpr_workitem_id 1
		.amdhsa_next_free_vgpr 48
		.amdhsa_next_free_sgpr 25
		.amdhsa_accum_offset 48
		.amdhsa_reserve_vcc 1
		.amdhsa_float_round_mode_32 0
		.amdhsa_float_round_mode_16_64 0
		.amdhsa_float_denorm_mode_32 3
		.amdhsa_float_denorm_mode_16_64 3
		.amdhsa_dx10_clamp 1
		.amdhsa_ieee_mode 1
		.amdhsa_fp16_overflow 0
		.amdhsa_tg_split 0
		.amdhsa_exception_fp_ieee_invalid_op 0
		.amdhsa_exception_fp_denorm_src 0
		.amdhsa_exception_fp_ieee_div_zero 0
		.amdhsa_exception_fp_ieee_overflow 0
		.amdhsa_exception_fp_ieee_underflow 0
		.amdhsa_exception_fp_ieee_inexact 0
		.amdhsa_exception_int_div_zero 0
	.end_amdhsa_kernel
	.section	.text._ZL29rocblas_internal_gemmt_kernelIiLi16ELi32ELi8ELc84ELc78ELc85ELb0ELb0EfPKfS1_PfEviT_T9_T10_S3_lS5_S3_lS4_T11_S3_li,"axG",@progbits,_ZL29rocblas_internal_gemmt_kernelIiLi16ELi32ELi8ELc84ELc78ELc85ELb0ELb0EfPKfS1_PfEviT_T9_T10_S3_lS5_S3_lS4_T11_S3_li,comdat
.Lfunc_end3:
	.size	_ZL29rocblas_internal_gemmt_kernelIiLi16ELi32ELi8ELc84ELc78ELc85ELb0ELb0EfPKfS1_PfEviT_T9_T10_S3_lS5_S3_lS4_T11_S3_li, .Lfunc_end3-_ZL29rocblas_internal_gemmt_kernelIiLi16ELi32ELi8ELc84ELc78ELc85ELb0ELb0EfPKfS1_PfEviT_T9_T10_S3_lS5_S3_lS4_T11_S3_li
                                        ; -- End function
	.set _ZL29rocblas_internal_gemmt_kernelIiLi16ELi32ELi8ELc84ELc78ELc85ELb0ELb0EfPKfS1_PfEviT_T9_T10_S3_lS5_S3_lS4_T11_S3_li.num_vgpr, 48
	.set _ZL29rocblas_internal_gemmt_kernelIiLi16ELi32ELi8ELc84ELc78ELc85ELb0ELb0EfPKfS1_PfEviT_T9_T10_S3_lS5_S3_lS4_T11_S3_li.num_agpr, 0
	.set _ZL29rocblas_internal_gemmt_kernelIiLi16ELi32ELi8ELc84ELc78ELc85ELb0ELb0EfPKfS1_PfEviT_T9_T10_S3_lS5_S3_lS4_T11_S3_li.numbered_sgpr, 25
	.set _ZL29rocblas_internal_gemmt_kernelIiLi16ELi32ELi8ELc84ELc78ELc85ELb0ELb0EfPKfS1_PfEviT_T9_T10_S3_lS5_S3_lS4_T11_S3_li.num_named_barrier, 0
	.set _ZL29rocblas_internal_gemmt_kernelIiLi16ELi32ELi8ELc84ELc78ELc85ELb0ELb0EfPKfS1_PfEviT_T9_T10_S3_lS5_S3_lS4_T11_S3_li.private_seg_size, 0
	.set _ZL29rocblas_internal_gemmt_kernelIiLi16ELi32ELi8ELc84ELc78ELc85ELb0ELb0EfPKfS1_PfEviT_T9_T10_S3_lS5_S3_lS4_T11_S3_li.uses_vcc, 1
	.set _ZL29rocblas_internal_gemmt_kernelIiLi16ELi32ELi8ELc84ELc78ELc85ELb0ELb0EfPKfS1_PfEviT_T9_T10_S3_lS5_S3_lS4_T11_S3_li.uses_flat_scratch, 0
	.set _ZL29rocblas_internal_gemmt_kernelIiLi16ELi32ELi8ELc84ELc78ELc85ELb0ELb0EfPKfS1_PfEviT_T9_T10_S3_lS5_S3_lS4_T11_S3_li.has_dyn_sized_stack, 0
	.set _ZL29rocblas_internal_gemmt_kernelIiLi16ELi32ELi8ELc84ELc78ELc85ELb0ELb0EfPKfS1_PfEviT_T9_T10_S3_lS5_S3_lS4_T11_S3_li.has_recursion, 0
	.set _ZL29rocblas_internal_gemmt_kernelIiLi16ELi32ELi8ELc84ELc78ELc85ELb0ELb0EfPKfS1_PfEviT_T9_T10_S3_lS5_S3_lS4_T11_S3_li.has_indirect_call, 0
	.section	.AMDGPU.csdata,"",@progbits
; Kernel info:
; codeLenInByte = 1244
; TotalNumSgprs: 31
; NumVgprs: 48
; NumAgprs: 0
; TotalNumVgprs: 48
; ScratchSize: 0
; MemoryBound: 0
; FloatMode: 240
; IeeeMode: 1
; LDSByteSize: 2048 bytes/workgroup (compile time only)
; SGPRBlocks: 3
; VGPRBlocks: 5
; NumSGPRsForWavesPerEU: 31
; NumVGPRsForWavesPerEU: 48
; AccumOffset: 48
; Occupancy: 8
; WaveLimiterHint : 0
; COMPUTE_PGM_RSRC2:SCRATCH_EN: 0
; COMPUTE_PGM_RSRC2:USER_SGPR: 2
; COMPUTE_PGM_RSRC2:TRAP_HANDLER: 0
; COMPUTE_PGM_RSRC2:TGID_X_EN: 1
; COMPUTE_PGM_RSRC2:TGID_Y_EN: 1
; COMPUTE_PGM_RSRC2:TGID_Z_EN: 1
; COMPUTE_PGM_RSRC2:TIDIG_COMP_CNT: 1
; COMPUTE_PGM_RSRC3_GFX90A:ACCUM_OFFSET: 11
; COMPUTE_PGM_RSRC3_GFX90A:TG_SPLIT: 0
	.section	.text._ZL29rocblas_internal_gemmt_kernelIiLi16ELi32ELi8ELc84ELc84ELc85ELb0ELb0EfPKfS1_PfEviT_T9_T10_S3_lS5_S3_lS4_T11_S3_li,"axG",@progbits,_ZL29rocblas_internal_gemmt_kernelIiLi16ELi32ELi8ELc84ELc84ELc85ELb0ELb0EfPKfS1_PfEviT_T9_T10_S3_lS5_S3_lS4_T11_S3_li,comdat
	.globl	_ZL29rocblas_internal_gemmt_kernelIiLi16ELi32ELi8ELc84ELc84ELc85ELb0ELb0EfPKfS1_PfEviT_T9_T10_S3_lS5_S3_lS4_T11_S3_li ; -- Begin function _ZL29rocblas_internal_gemmt_kernelIiLi16ELi32ELi8ELc84ELc84ELc85ELb0ELb0EfPKfS1_PfEviT_T9_T10_S3_lS5_S3_lS4_T11_S3_li
	.p2align	8
	.type	_ZL29rocblas_internal_gemmt_kernelIiLi16ELi32ELi8ELc84ELc84ELc85ELb0ELb0EfPKfS1_PfEviT_T9_T10_S3_lS5_S3_lS4_T11_S3_li,@function
_ZL29rocblas_internal_gemmt_kernelIiLi16ELi32ELi8ELc84ELc84ELc85ELb0ELb0EfPKfS1_PfEviT_T9_T10_S3_lS5_S3_lS4_T11_S3_li: ; @_ZL29rocblas_internal_gemmt_kernelIiLi16ELi32ELi8ELc84ELc84ELc85ELb0ELb0EfPKfS1_PfEviT_T9_T10_S3_lS5_S3_lS4_T11_S3_li
; %bb.0:
	s_load_dwordx4 s[8:11], s[0:1], 0x38
	s_load_dwordx4 s[12:15], s[0:1], 0x8
	s_waitcnt lgkmcnt(0)
	s_load_dword s22, s[10:11], 0x0
	s_load_dwordx2 s[20:21], s[0:1], 0x0
	s_load_dword s23, s[12:13], 0x0
	s_waitcnt lgkmcnt(0)
	v_cmp_neq_f32_e64 s[6:7], s22, 1.0
	s_and_b64 vcc, exec, s[6:7]
	s_cbranch_vccnz .LBB4_2
; %bb.1:
	s_cmp_lg_u32 s21, 0
	s_cselect_b64 s[6:7], -1, 0
	v_cmp_neq_f32_e64 s[10:11], s23, 0
	s_and_b64 s[6:7], s[6:7], s[10:11]
.LBB4_2:
	s_andn2_b64 vcc, exec, s[6:7]
	s_cbranch_vccnz .LBB4_26
; %bb.3:
	s_load_dwordx2 s[10:11], s[0:1], 0x48
	s_lshl_b32 s5, s2, 5
	s_lshl_b32 s12, s3, 5
	s_cmp_lt_i32 s21, 1
	v_cmp_eq_f32_e64 s[2:3], s23, 0
	s_cselect_b64 s[6:7], -1, 0
	v_mov_b32_e32 v3, 0
	s_or_b64 s[2:3], s[2:3], s[6:7]
	v_and_b32_e32 v9, 0x3ff, v0
	v_bfe_u32 v8, v0, 10, 10
	s_mov_b32 s13, 0
	s_and_b64 vcc, exec, s[2:3]
	v_mov_b32_e32 v2, v3
	v_mov_b32_e32 v1, v3
	;; [unrolled: 1-line block ×3, first 2 shown]
	s_cbranch_vccnz .LBB4_10
; %bb.4:
	v_lshl_add_u32 v0, v8, 4, v9
	v_lshrrev_b32_e32 v11, 5, v0
	v_lshrrev_b32_e32 v1, 3, v0
	v_and_b32_e32 v0, 31, v0
	v_or_b32_e32 v3, s5, v0
	s_load_dword s24, s[0:1], 0x18
	s_load_dword s6, s[0:1], 0x30
	s_load_dwordx4 s[16:19], s[0:1], 0x20
	v_and_b32_e32 v10, 7, v9
	v_cmp_gt_i32_e32 vcc, s20, v3
	v_lshlrev_b32_e32 v3, 2, v0
	v_lshl_or_b32 v12, v11, 7, v3
	v_lshlrev_b32_e32 v3, 2, v10
	v_add_u32_e32 v2, s12, v1
	v_lshl_or_b32 v1, v1, 5, v3
	v_add_u32_e32 v13, 0x400, v1
	v_mov_b32_e32 v1, 0x400
	v_add_u32_e32 v0, s5, v0
	v_lshl_add_u32 v15, v8, 5, v1
	s_waitcnt lgkmcnt(0)
	v_mad_i64_i32 v[0:1], s[24:25], s24, v0, 0
	s_mul_i32 s17, s17, s4
	s_mul_hi_u32 s24, s16, s4
	s_add_i32 s17, s24, s17
	s_mul_i32 s16, s16, s4
	s_lshl_b64 s[16:17], s[16:17], 2
	v_lshl_add_u64 v[4:5], v[0:1], 2, s[16:17]
	v_lshlrev_b32_e32 v0, 2, v11
	v_mov_b32_e32 v1, 0
	v_lshl_add_u64 v[4:5], v[4:5], 0, v[0:1]
	v_lshl_add_u64 v[4:5], s[14:15], 0, v[4:5]
	s_mul_i32 s9, s9, s4
	s_mul_hi_u32 s14, s8, s4
	s_add_i32 s9, s14, s9
	v_mad_i64_i32 v[6:7], s[14:15], s6, v10, 0
	s_mul_i32 s8, s8, s4
	v_lshlrev_b64 v[6:7], 2, v[6:7]
	v_ashrrev_i32_e32 v3, 31, v2
	v_lshl_add_u64 v[6:7], s[8:9], 2, v[6:7]
	s_ashr_i32 s7, s6, 31
	v_cmp_gt_i32_e64 s[2:3], s20, v2
	v_lshl_add_u64 v[2:3], v[2:3], 2, v[6:7]
	v_lshlrev_b32_e32 v14, 2, v9
	v_lshl_add_u64 v[6:7], s[18:19], 0, v[2:3]
	s_lshl_b64 s[8:9], s[6:7], 5
	v_mov_b32_e32 v0, v1
	v_mov_b32_e32 v2, v1
	;; [unrolled: 1-line block ×3, first 2 shown]
	s_branch .LBB4_6
.LBB4_5:                                ;   in Loop: Header=BB4_6 Depth=1
	s_or_b64 exec, exec, s[6:7]
	s_waitcnt vmcnt(0)
	ds_write_b32 v13, v16
	s_waitcnt lgkmcnt(0)
	s_barrier
	ds_read_b128 v[16:19], v15
	ds_read_b128 v[20:23], v15 offset:16
	ds_read2_b32 v[32:33], v14 offset1:16
	ds_read2_b32 v[34:35], v14 offset0:32 offset1:48
	ds_read2_b32 v[36:37], v14 offset0:64 offset1:80
	;; [unrolled: 1-line block ×4, first 2 shown]
	ds_read_b128 v[24:27], v15 offset:512
	ds_read_b128 v[28:31], v15 offset:528
	ds_read2_b32 v[42:43], v14 offset0:160 offset1:176
	ds_read2_b32 v[44:45], v14 offset0:192 offset1:208
	ds_read2_b32 v[46:47], v14 offset0:224 offset1:240
	s_waitcnt lgkmcnt(9)
	v_pk_fma_f32 v[2:3], v[32:33], v[16:17], v[2:3] op_sel_hi:[1,0,1]
	s_waitcnt lgkmcnt(4)
	v_pk_fma_f32 v[0:1], v[32:33], v[24:25], v[0:1] op_sel_hi:[1,0,1]
	v_pk_fma_f32 v[2:3], v[34:35], v[16:17], v[2:3] op_sel:[0,1,0]
	v_mov_b32_e32 v16, v19
	v_pk_fma_f32 v[2:3], v[36:37], v[18:19], v[2:3] op_sel_hi:[1,0,1]
	v_pk_fma_f32 v[0:1], v[34:35], v[24:25], v[0:1] op_sel:[0,1,0]
	v_pk_fma_f32 v[2:3], v[38:39], v[16:17], v[2:3] op_sel_hi:[1,0,1]
	v_mov_b32_e32 v16, v23
	v_pk_fma_f32 v[2:3], v[40:41], v[20:21], v[2:3] op_sel_hi:[1,0,1]
	v_pk_fma_f32 v[0:1], v[36:37], v[26:27], v[0:1] op_sel_hi:[1,0,1]
	s_waitcnt lgkmcnt(2)
	v_pk_fma_f32 v[2:3], v[42:43], v[20:21], v[2:3] op_sel:[0,1,0]
	s_add_i32 s13, s13, 8
	s_waitcnt lgkmcnt(1)
	v_pk_fma_f32 v[2:3], v[44:45], v[22:23], v[2:3] op_sel_hi:[1,0,1]
	v_lshl_add_u64 v[4:5], v[4:5], 0, 32
	s_waitcnt lgkmcnt(0)
	v_pk_fma_f32 v[2:3], v[46:47], v[16:17], v[2:3] op_sel_hi:[1,0,1]
	v_mov_b32_e32 v16, v27
	v_pk_fma_f32 v[0:1], v[38:39], v[16:17], v[0:1] op_sel_hi:[1,0,1]
	v_mov_b32_e32 v16, v31
	v_pk_fma_f32 v[0:1], v[40:41], v[28:29], v[0:1] op_sel_hi:[1,0,1]
	s_cmp_lt_i32 s13, s21
	v_pk_fma_f32 v[0:1], v[42:43], v[28:29], v[0:1] op_sel:[0,1,0]
	v_lshl_add_u64 v[6:7], v[6:7], 0, s[8:9]
	v_pk_fma_f32 v[0:1], v[44:45], v[30:31], v[0:1] op_sel_hi:[1,0,1]
	s_nop 0
	v_pk_fma_f32 v[0:1], v[46:47], v[16:17], v[0:1] op_sel_hi:[1,0,1]
	s_barrier
	s_cbranch_scc0 .LBB4_10
.LBB4_6:                                ; =>This Inner Loop Header: Depth=1
	v_add_u32_e32 v16, s13, v11
	v_cmp_gt_i32_e64 s[6:7], s21, v16
	s_and_b64 s[14:15], vcc, s[6:7]
	v_mov_b32_e32 v16, 0
	s_and_saveexec_b64 s[6:7], s[14:15]
	s_cbranch_execz .LBB4_8
; %bb.7:                                ;   in Loop: Header=BB4_6 Depth=1
	global_load_dword v16, v[4:5], off
.LBB4_8:                                ;   in Loop: Header=BB4_6 Depth=1
	s_or_b64 exec, exec, s[6:7]
	s_waitcnt vmcnt(0)
	ds_write_b32 v12, v16
	v_add_u32_e32 v16, s13, v10
	v_cmp_gt_i32_e64 s[6:7], s21, v16
	s_and_b64 s[14:15], s[6:7], s[2:3]
	v_mov_b32_e32 v16, 0
	s_and_saveexec_b64 s[6:7], s[14:15]
	s_cbranch_execz .LBB4_5
; %bb.9:                                ;   in Loop: Header=BB4_6 Depth=1
	global_load_dword v16, v[6:7], off
	s_branch .LBB4_5
.LBB4_10:
	s_load_dwordx2 s[2:3], s[0:1], 0x58
	s_load_dword s8, s[0:1], 0x50
	v_add_u32_e32 v10, s12, v8
	v_add_u32_e32 v4, s5, v9
	v_cmp_le_i32_e32 vcc, v4, v10
	s_waitcnt lgkmcnt(0)
	s_mul_i32 s1, s3, s4
	s_mul_hi_u32 s3, s2, s4
	s_mul_i32 s0, s2, s4
	s_add_i32 s1, s3, s1
	s_lshl_b64 s[0:1], s[0:1], 2
	s_add_u32 s4, s10, s0
	s_addc_u32 s5, s11, s1
	v_mad_i64_i32 v[6:7], s[0:1], v10, s8, 0
	v_cmp_neq_f32_e64 s[0:1], s22, 0
	v_cmp_gt_i32_e64 s[2:3], s20, v10
	v_lshl_add_u64 v[8:9], v[6:7], 2, s[4:5]
	v_cndmask_b32_e64 v6, 0, 1, s[0:1]
	s_and_b64 s[10:11], s[2:3], vcc
	v_ashrrev_i32_e32 v5, 31, v4
	v_cmp_ne_u32_e64 s[0:1], 1, v6
	s_and_saveexec_b64 s[6:7], s[10:11]
	s_cbranch_execz .LBB4_14
; %bb.11:
	v_mul_f32_e32 v2, s23, v2
	s_and_b64 vcc, exec, s[0:1]
	v_lshl_add_u64 v[6:7], v[4:5], 2, v[8:9]
	s_cbranch_vccnz .LBB4_13
; %bb.12:
	global_load_dword v11, v[6:7], off
	s_waitcnt vmcnt(0)
	v_fmac_f32_e32 v2, s22, v11
.LBB4_13:
	global_store_dword v[6:7], v2, off
.LBB4_14:
	s_or_b64 exec, exec, s[6:7]
	v_add_u32_e32 v6, 16, v4
	v_cmp_le_i32_e32 vcc, v6, v10
	s_and_b64 s[6:7], s[2:3], vcc
	v_ashrrev_i32_e32 v7, 31, v6
	s_and_saveexec_b64 s[2:3], s[6:7]
	s_cbranch_execz .LBB4_18
; %bb.15:
	v_mul_f32_e32 v11, s23, v3
	s_and_b64 vcc, exec, s[0:1]
	v_lshl_add_u64 v[2:3], v[6:7], 2, v[8:9]
	s_cbranch_vccnz .LBB4_17
; %bb.16:
	global_load_dword v8, v[2:3], off
	s_waitcnt vmcnt(0)
	v_fmac_f32_e32 v11, s22, v8
.LBB4_17:
	global_store_dword v[2:3], v11, off
.LBB4_18:
	s_or_b64 exec, exec, s[2:3]
	v_add_u32_e32 v8, 16, v10
	v_cmp_gt_i32_e64 s[2:3], s20, v8
	v_mad_i64_i32 v[2:3], s[6:7], v8, s8, 0
	v_cmp_le_i32_e32 vcc, v4, v8
	v_lshl_add_u64 v[2:3], v[2:3], 2, s[4:5]
	s_and_b64 s[6:7], s[2:3], vcc
	s_and_saveexec_b64 s[4:5], s[6:7]
	s_cbranch_execz .LBB4_22
; %bb.19:
	v_mul_f32_e32 v0, s23, v0
	s_and_b64 vcc, exec, s[0:1]
	v_lshl_add_u64 v[4:5], v[4:5], 2, v[2:3]
	s_cbranch_vccnz .LBB4_21
; %bb.20:
	global_load_dword v9, v[4:5], off
	s_waitcnt vmcnt(0)
	v_fmac_f32_e32 v0, s22, v9
.LBB4_21:
	global_store_dword v[4:5], v0, off
.LBB4_22:
	s_or_b64 exec, exec, s[4:5]
	v_cmp_le_i32_e32 vcc, v6, v8
	s_and_b64 s[2:3], s[2:3], vcc
	s_and_saveexec_b64 s[4:5], s[2:3]
	s_cbranch_execz .LBB4_26
; %bb.23:
	v_mul_f32_e32 v4, s23, v1
	s_and_b64 vcc, exec, s[0:1]
	v_lshl_add_u64 v[0:1], v[6:7], 2, v[2:3]
	s_cbranch_vccnz .LBB4_25
; %bb.24:
	global_load_dword v2, v[0:1], off
	s_waitcnt vmcnt(0)
	v_fmac_f32_e32 v4, s22, v2
.LBB4_25:
	global_store_dword v[0:1], v4, off
.LBB4_26:
	s_endpgm
	.section	.rodata,"a",@progbits
	.p2align	6, 0x0
	.amdhsa_kernel _ZL29rocblas_internal_gemmt_kernelIiLi16ELi32ELi8ELc84ELc84ELc85ELb0ELb0EfPKfS1_PfEviT_T9_T10_S3_lS5_S3_lS4_T11_S3_li
		.amdhsa_group_segment_fixed_size 2048
		.amdhsa_private_segment_fixed_size 0
		.amdhsa_kernarg_size 100
		.amdhsa_user_sgpr_count 2
		.amdhsa_user_sgpr_dispatch_ptr 0
		.amdhsa_user_sgpr_queue_ptr 0
		.amdhsa_user_sgpr_kernarg_segment_ptr 1
		.amdhsa_user_sgpr_dispatch_id 0
		.amdhsa_user_sgpr_kernarg_preload_length 0
		.amdhsa_user_sgpr_kernarg_preload_offset 0
		.amdhsa_user_sgpr_private_segment_size 0
		.amdhsa_uses_dynamic_stack 0
		.amdhsa_enable_private_segment 0
		.amdhsa_system_sgpr_workgroup_id_x 1
		.amdhsa_system_sgpr_workgroup_id_y 1
		.amdhsa_system_sgpr_workgroup_id_z 1
		.amdhsa_system_sgpr_workgroup_info 0
		.amdhsa_system_vgpr_workitem_id 1
		.amdhsa_next_free_vgpr 48
		.amdhsa_next_free_sgpr 26
		.amdhsa_accum_offset 48
		.amdhsa_reserve_vcc 1
		.amdhsa_float_round_mode_32 0
		.amdhsa_float_round_mode_16_64 0
		.amdhsa_float_denorm_mode_32 3
		.amdhsa_float_denorm_mode_16_64 3
		.amdhsa_dx10_clamp 1
		.amdhsa_ieee_mode 1
		.amdhsa_fp16_overflow 0
		.amdhsa_tg_split 0
		.amdhsa_exception_fp_ieee_invalid_op 0
		.amdhsa_exception_fp_denorm_src 0
		.amdhsa_exception_fp_ieee_div_zero 0
		.amdhsa_exception_fp_ieee_overflow 0
		.amdhsa_exception_fp_ieee_underflow 0
		.amdhsa_exception_fp_ieee_inexact 0
		.amdhsa_exception_int_div_zero 0
	.end_amdhsa_kernel
	.section	.text._ZL29rocblas_internal_gemmt_kernelIiLi16ELi32ELi8ELc84ELc84ELc85ELb0ELb0EfPKfS1_PfEviT_T9_T10_S3_lS5_S3_lS4_T11_S3_li,"axG",@progbits,_ZL29rocblas_internal_gemmt_kernelIiLi16ELi32ELi8ELc84ELc84ELc85ELb0ELb0EfPKfS1_PfEviT_T9_T10_S3_lS5_S3_lS4_T11_S3_li,comdat
.Lfunc_end4:
	.size	_ZL29rocblas_internal_gemmt_kernelIiLi16ELi32ELi8ELc84ELc84ELc85ELb0ELb0EfPKfS1_PfEviT_T9_T10_S3_lS5_S3_lS4_T11_S3_li, .Lfunc_end4-_ZL29rocblas_internal_gemmt_kernelIiLi16ELi32ELi8ELc84ELc84ELc85ELb0ELb0EfPKfS1_PfEviT_T9_T10_S3_lS5_S3_lS4_T11_S3_li
                                        ; -- End function
	.set _ZL29rocblas_internal_gemmt_kernelIiLi16ELi32ELi8ELc84ELc84ELc85ELb0ELb0EfPKfS1_PfEviT_T9_T10_S3_lS5_S3_lS4_T11_S3_li.num_vgpr, 48
	.set _ZL29rocblas_internal_gemmt_kernelIiLi16ELi32ELi8ELc84ELc84ELc85ELb0ELb0EfPKfS1_PfEviT_T9_T10_S3_lS5_S3_lS4_T11_S3_li.num_agpr, 0
	.set _ZL29rocblas_internal_gemmt_kernelIiLi16ELi32ELi8ELc84ELc84ELc85ELb0ELb0EfPKfS1_PfEviT_T9_T10_S3_lS5_S3_lS4_T11_S3_li.numbered_sgpr, 26
	.set _ZL29rocblas_internal_gemmt_kernelIiLi16ELi32ELi8ELc84ELc84ELc85ELb0ELb0EfPKfS1_PfEviT_T9_T10_S3_lS5_S3_lS4_T11_S3_li.num_named_barrier, 0
	.set _ZL29rocblas_internal_gemmt_kernelIiLi16ELi32ELi8ELc84ELc84ELc85ELb0ELb0EfPKfS1_PfEviT_T9_T10_S3_lS5_S3_lS4_T11_S3_li.private_seg_size, 0
	.set _ZL29rocblas_internal_gemmt_kernelIiLi16ELi32ELi8ELc84ELc84ELc85ELb0ELb0EfPKfS1_PfEviT_T9_T10_S3_lS5_S3_lS4_T11_S3_li.uses_vcc, 1
	.set _ZL29rocblas_internal_gemmt_kernelIiLi16ELi32ELi8ELc84ELc84ELc85ELb0ELb0EfPKfS1_PfEviT_T9_T10_S3_lS5_S3_lS4_T11_S3_li.uses_flat_scratch, 0
	.set _ZL29rocblas_internal_gemmt_kernelIiLi16ELi32ELi8ELc84ELc84ELc85ELb0ELb0EfPKfS1_PfEviT_T9_T10_S3_lS5_S3_lS4_T11_S3_li.has_dyn_sized_stack, 0
	.set _ZL29rocblas_internal_gemmt_kernelIiLi16ELi32ELi8ELc84ELc84ELc85ELb0ELb0EfPKfS1_PfEviT_T9_T10_S3_lS5_S3_lS4_T11_S3_li.has_recursion, 0
	.set _ZL29rocblas_internal_gemmt_kernelIiLi16ELi32ELi8ELc84ELc84ELc85ELb0ELb0EfPKfS1_PfEviT_T9_T10_S3_lS5_S3_lS4_T11_S3_li.has_indirect_call, 0
	.section	.AMDGPU.csdata,"",@progbits
; Kernel info:
; codeLenInByte = 1256
; TotalNumSgprs: 32
; NumVgprs: 48
; NumAgprs: 0
; TotalNumVgprs: 48
; ScratchSize: 0
; MemoryBound: 0
; FloatMode: 240
; IeeeMode: 1
; LDSByteSize: 2048 bytes/workgroup (compile time only)
; SGPRBlocks: 3
; VGPRBlocks: 5
; NumSGPRsForWavesPerEU: 32
; NumVGPRsForWavesPerEU: 48
; AccumOffset: 48
; Occupancy: 8
; WaveLimiterHint : 0
; COMPUTE_PGM_RSRC2:SCRATCH_EN: 0
; COMPUTE_PGM_RSRC2:USER_SGPR: 2
; COMPUTE_PGM_RSRC2:TRAP_HANDLER: 0
; COMPUTE_PGM_RSRC2:TGID_X_EN: 1
; COMPUTE_PGM_RSRC2:TGID_Y_EN: 1
; COMPUTE_PGM_RSRC2:TGID_Z_EN: 1
; COMPUTE_PGM_RSRC2:TIDIG_COMP_CNT: 1
; COMPUTE_PGM_RSRC3_GFX90A:ACCUM_OFFSET: 11
; COMPUTE_PGM_RSRC3_GFX90A:TG_SPLIT: 0
	.section	.text._ZL29rocblas_internal_gemmt_kernelIiLi16ELi32ELi8ELc84ELc67ELc85ELb0ELb0EfPKfS1_PfEviT_T9_T10_S3_lS5_S3_lS4_T11_S3_li,"axG",@progbits,_ZL29rocblas_internal_gemmt_kernelIiLi16ELi32ELi8ELc84ELc67ELc85ELb0ELb0EfPKfS1_PfEviT_T9_T10_S3_lS5_S3_lS4_T11_S3_li,comdat
	.globl	_ZL29rocblas_internal_gemmt_kernelIiLi16ELi32ELi8ELc84ELc67ELc85ELb0ELb0EfPKfS1_PfEviT_T9_T10_S3_lS5_S3_lS4_T11_S3_li ; -- Begin function _ZL29rocblas_internal_gemmt_kernelIiLi16ELi32ELi8ELc84ELc67ELc85ELb0ELb0EfPKfS1_PfEviT_T9_T10_S3_lS5_S3_lS4_T11_S3_li
	.p2align	8
	.type	_ZL29rocblas_internal_gemmt_kernelIiLi16ELi32ELi8ELc84ELc67ELc85ELb0ELb0EfPKfS1_PfEviT_T9_T10_S3_lS5_S3_lS4_T11_S3_li,@function
_ZL29rocblas_internal_gemmt_kernelIiLi16ELi32ELi8ELc84ELc67ELc85ELb0ELb0EfPKfS1_PfEviT_T9_T10_S3_lS5_S3_lS4_T11_S3_li: ; @_ZL29rocblas_internal_gemmt_kernelIiLi16ELi32ELi8ELc84ELc67ELc85ELb0ELb0EfPKfS1_PfEviT_T9_T10_S3_lS5_S3_lS4_T11_S3_li
; %bb.0:
	s_load_dwordx4 s[8:11], s[0:1], 0x38
	s_load_dwordx4 s[12:15], s[0:1], 0x8
	s_waitcnt lgkmcnt(0)
	s_load_dword s22, s[10:11], 0x0
	s_load_dwordx2 s[20:21], s[0:1], 0x0
	s_load_dword s23, s[12:13], 0x0
	s_waitcnt lgkmcnt(0)
	v_cmp_neq_f32_e64 s[6:7], s22, 1.0
	s_and_b64 vcc, exec, s[6:7]
	s_cbranch_vccnz .LBB5_2
; %bb.1:
	s_cmp_lg_u32 s21, 0
	s_cselect_b64 s[6:7], -1, 0
	v_cmp_neq_f32_e64 s[10:11], s23, 0
	s_and_b64 s[6:7], s[6:7], s[10:11]
.LBB5_2:
	s_andn2_b64 vcc, exec, s[6:7]
	s_cbranch_vccnz .LBB5_26
; %bb.3:
	s_load_dwordx2 s[10:11], s[0:1], 0x48
	s_lshl_b32 s5, s2, 5
	s_lshl_b32 s12, s3, 5
	s_cmp_lt_i32 s21, 1
	v_cmp_eq_f32_e64 s[2:3], s23, 0
	s_cselect_b64 s[6:7], -1, 0
	v_mov_b32_e32 v3, 0
	s_or_b64 s[2:3], s[2:3], s[6:7]
	v_and_b32_e32 v9, 0x3ff, v0
	v_bfe_u32 v8, v0, 10, 10
	s_mov_b32 s13, 0
	s_and_b64 vcc, exec, s[2:3]
	v_mov_b32_e32 v2, v3
	v_mov_b32_e32 v1, v3
	;; [unrolled: 1-line block ×3, first 2 shown]
	s_cbranch_vccnz .LBB5_10
; %bb.4:
	v_lshl_add_u32 v0, v8, 4, v9
	v_lshrrev_b32_e32 v11, 5, v0
	v_lshrrev_b32_e32 v1, 3, v0
	v_and_b32_e32 v0, 31, v0
	v_or_b32_e32 v3, s5, v0
	s_load_dword s24, s[0:1], 0x18
	s_load_dword s6, s[0:1], 0x30
	s_load_dwordx4 s[16:19], s[0:1], 0x20
	v_and_b32_e32 v10, 7, v9
	v_cmp_gt_i32_e32 vcc, s20, v3
	v_lshlrev_b32_e32 v3, 2, v0
	v_lshl_or_b32 v12, v11, 7, v3
	v_lshlrev_b32_e32 v3, 2, v10
	v_add_u32_e32 v2, s12, v1
	v_lshl_or_b32 v1, v1, 5, v3
	v_add_u32_e32 v13, 0x400, v1
	v_mov_b32_e32 v1, 0x400
	v_add_u32_e32 v0, s5, v0
	v_lshl_add_u32 v15, v8, 5, v1
	s_waitcnt lgkmcnt(0)
	v_mad_i64_i32 v[0:1], s[24:25], s24, v0, 0
	s_mul_i32 s17, s17, s4
	s_mul_hi_u32 s24, s16, s4
	s_add_i32 s17, s24, s17
	s_mul_i32 s16, s16, s4
	s_lshl_b64 s[16:17], s[16:17], 2
	v_lshl_add_u64 v[4:5], v[0:1], 2, s[16:17]
	v_lshlrev_b32_e32 v0, 2, v11
	v_mov_b32_e32 v1, 0
	v_lshl_add_u64 v[4:5], v[4:5], 0, v[0:1]
	v_lshl_add_u64 v[4:5], s[14:15], 0, v[4:5]
	s_mul_i32 s9, s9, s4
	s_mul_hi_u32 s14, s8, s4
	s_add_i32 s9, s14, s9
	v_mad_i64_i32 v[6:7], s[14:15], s6, v10, 0
	s_mul_i32 s8, s8, s4
	v_lshlrev_b64 v[6:7], 2, v[6:7]
	v_ashrrev_i32_e32 v3, 31, v2
	v_lshl_add_u64 v[6:7], s[8:9], 2, v[6:7]
	s_ashr_i32 s7, s6, 31
	v_cmp_gt_i32_e64 s[2:3], s20, v2
	v_lshl_add_u64 v[2:3], v[2:3], 2, v[6:7]
	v_lshlrev_b32_e32 v14, 2, v9
	v_lshl_add_u64 v[6:7], s[18:19], 0, v[2:3]
	s_lshl_b64 s[8:9], s[6:7], 5
	v_mov_b32_e32 v0, v1
	v_mov_b32_e32 v2, v1
	;; [unrolled: 1-line block ×3, first 2 shown]
	s_branch .LBB5_6
.LBB5_5:                                ;   in Loop: Header=BB5_6 Depth=1
	s_or_b64 exec, exec, s[6:7]
	s_waitcnt vmcnt(0)
	ds_write_b32 v13, v16
	s_waitcnt lgkmcnt(0)
	s_barrier
	ds_read_b128 v[16:19], v15
	ds_read_b128 v[20:23], v15 offset:16
	ds_read2_b32 v[32:33], v14 offset1:16
	ds_read2_b32 v[34:35], v14 offset0:32 offset1:48
	ds_read2_b32 v[36:37], v14 offset0:64 offset1:80
	;; [unrolled: 1-line block ×4, first 2 shown]
	ds_read_b128 v[24:27], v15 offset:512
	ds_read_b128 v[28:31], v15 offset:528
	ds_read2_b32 v[42:43], v14 offset0:160 offset1:176
	ds_read2_b32 v[44:45], v14 offset0:192 offset1:208
	;; [unrolled: 1-line block ×3, first 2 shown]
	s_waitcnt lgkmcnt(9)
	v_pk_fma_f32 v[2:3], v[32:33], v[16:17], v[2:3] op_sel_hi:[1,0,1]
	s_waitcnt lgkmcnt(4)
	v_pk_fma_f32 v[0:1], v[32:33], v[24:25], v[0:1] op_sel_hi:[1,0,1]
	v_pk_fma_f32 v[2:3], v[34:35], v[16:17], v[2:3] op_sel:[0,1,0]
	v_mov_b32_e32 v16, v19
	v_pk_fma_f32 v[2:3], v[36:37], v[18:19], v[2:3] op_sel_hi:[1,0,1]
	v_pk_fma_f32 v[0:1], v[34:35], v[24:25], v[0:1] op_sel:[0,1,0]
	v_pk_fma_f32 v[2:3], v[38:39], v[16:17], v[2:3] op_sel_hi:[1,0,1]
	v_mov_b32_e32 v16, v23
	v_pk_fma_f32 v[2:3], v[40:41], v[20:21], v[2:3] op_sel_hi:[1,0,1]
	v_pk_fma_f32 v[0:1], v[36:37], v[26:27], v[0:1] op_sel_hi:[1,0,1]
	s_waitcnt lgkmcnt(2)
	v_pk_fma_f32 v[2:3], v[42:43], v[20:21], v[2:3] op_sel:[0,1,0]
	s_add_i32 s13, s13, 8
	s_waitcnt lgkmcnt(1)
	v_pk_fma_f32 v[2:3], v[44:45], v[22:23], v[2:3] op_sel_hi:[1,0,1]
	v_lshl_add_u64 v[4:5], v[4:5], 0, 32
	s_waitcnt lgkmcnt(0)
	v_pk_fma_f32 v[2:3], v[46:47], v[16:17], v[2:3] op_sel_hi:[1,0,1]
	v_mov_b32_e32 v16, v27
	v_pk_fma_f32 v[0:1], v[38:39], v[16:17], v[0:1] op_sel_hi:[1,0,1]
	v_mov_b32_e32 v16, v31
	v_pk_fma_f32 v[0:1], v[40:41], v[28:29], v[0:1] op_sel_hi:[1,0,1]
	s_cmp_lt_i32 s13, s21
	v_pk_fma_f32 v[0:1], v[42:43], v[28:29], v[0:1] op_sel:[0,1,0]
	v_lshl_add_u64 v[6:7], v[6:7], 0, s[8:9]
	v_pk_fma_f32 v[0:1], v[44:45], v[30:31], v[0:1] op_sel_hi:[1,0,1]
	s_nop 0
	v_pk_fma_f32 v[0:1], v[46:47], v[16:17], v[0:1] op_sel_hi:[1,0,1]
	s_barrier
	s_cbranch_scc0 .LBB5_10
.LBB5_6:                                ; =>This Inner Loop Header: Depth=1
	v_add_u32_e32 v16, s13, v11
	v_cmp_gt_i32_e64 s[6:7], s21, v16
	s_and_b64 s[14:15], vcc, s[6:7]
	v_mov_b32_e32 v16, 0
	s_and_saveexec_b64 s[6:7], s[14:15]
	s_cbranch_execz .LBB5_8
; %bb.7:                                ;   in Loop: Header=BB5_6 Depth=1
	global_load_dword v16, v[4:5], off
.LBB5_8:                                ;   in Loop: Header=BB5_6 Depth=1
	s_or_b64 exec, exec, s[6:7]
	s_waitcnt vmcnt(0)
	ds_write_b32 v12, v16
	v_add_u32_e32 v16, s13, v10
	v_cmp_gt_i32_e64 s[6:7], s21, v16
	s_and_b64 s[14:15], s[6:7], s[2:3]
	v_mov_b32_e32 v16, 0
	s_and_saveexec_b64 s[6:7], s[14:15]
	s_cbranch_execz .LBB5_5
; %bb.9:                                ;   in Loop: Header=BB5_6 Depth=1
	global_load_dword v16, v[6:7], off
	s_branch .LBB5_5
.LBB5_10:
	s_load_dwordx2 s[2:3], s[0:1], 0x58
	s_load_dword s8, s[0:1], 0x50
	v_add_u32_e32 v10, s12, v8
	v_add_u32_e32 v4, s5, v9
	v_cmp_le_i32_e32 vcc, v4, v10
	s_waitcnt lgkmcnt(0)
	s_mul_i32 s1, s3, s4
	s_mul_hi_u32 s3, s2, s4
	s_mul_i32 s0, s2, s4
	s_add_i32 s1, s3, s1
	s_lshl_b64 s[0:1], s[0:1], 2
	s_add_u32 s4, s10, s0
	s_addc_u32 s5, s11, s1
	v_mad_i64_i32 v[6:7], s[0:1], v10, s8, 0
	v_cmp_neq_f32_e64 s[0:1], s22, 0
	v_cmp_gt_i32_e64 s[2:3], s20, v10
	v_lshl_add_u64 v[8:9], v[6:7], 2, s[4:5]
	v_cndmask_b32_e64 v6, 0, 1, s[0:1]
	s_and_b64 s[10:11], s[2:3], vcc
	v_ashrrev_i32_e32 v5, 31, v4
	v_cmp_ne_u32_e64 s[0:1], 1, v6
	s_and_saveexec_b64 s[6:7], s[10:11]
	s_cbranch_execz .LBB5_14
; %bb.11:
	v_mul_f32_e32 v2, s23, v2
	s_and_b64 vcc, exec, s[0:1]
	v_lshl_add_u64 v[6:7], v[4:5], 2, v[8:9]
	s_cbranch_vccnz .LBB5_13
; %bb.12:
	global_load_dword v11, v[6:7], off
	s_waitcnt vmcnt(0)
	v_fmac_f32_e32 v2, s22, v11
.LBB5_13:
	global_store_dword v[6:7], v2, off
.LBB5_14:
	s_or_b64 exec, exec, s[6:7]
	v_add_u32_e32 v6, 16, v4
	v_cmp_le_i32_e32 vcc, v6, v10
	s_and_b64 s[6:7], s[2:3], vcc
	v_ashrrev_i32_e32 v7, 31, v6
	s_and_saveexec_b64 s[2:3], s[6:7]
	s_cbranch_execz .LBB5_18
; %bb.15:
	v_mul_f32_e32 v11, s23, v3
	s_and_b64 vcc, exec, s[0:1]
	v_lshl_add_u64 v[2:3], v[6:7], 2, v[8:9]
	s_cbranch_vccnz .LBB5_17
; %bb.16:
	global_load_dword v8, v[2:3], off
	s_waitcnt vmcnt(0)
	v_fmac_f32_e32 v11, s22, v8
.LBB5_17:
	global_store_dword v[2:3], v11, off
.LBB5_18:
	s_or_b64 exec, exec, s[2:3]
	v_add_u32_e32 v8, 16, v10
	v_cmp_gt_i32_e64 s[2:3], s20, v8
	v_mad_i64_i32 v[2:3], s[6:7], v8, s8, 0
	v_cmp_le_i32_e32 vcc, v4, v8
	v_lshl_add_u64 v[2:3], v[2:3], 2, s[4:5]
	s_and_b64 s[6:7], s[2:3], vcc
	s_and_saveexec_b64 s[4:5], s[6:7]
	s_cbranch_execz .LBB5_22
; %bb.19:
	v_mul_f32_e32 v0, s23, v0
	s_and_b64 vcc, exec, s[0:1]
	v_lshl_add_u64 v[4:5], v[4:5], 2, v[2:3]
	s_cbranch_vccnz .LBB5_21
; %bb.20:
	global_load_dword v9, v[4:5], off
	s_waitcnt vmcnt(0)
	v_fmac_f32_e32 v0, s22, v9
.LBB5_21:
	global_store_dword v[4:5], v0, off
.LBB5_22:
	s_or_b64 exec, exec, s[4:5]
	v_cmp_le_i32_e32 vcc, v6, v8
	s_and_b64 s[2:3], s[2:3], vcc
	s_and_saveexec_b64 s[4:5], s[2:3]
	s_cbranch_execz .LBB5_26
; %bb.23:
	v_mul_f32_e32 v4, s23, v1
	s_and_b64 vcc, exec, s[0:1]
	v_lshl_add_u64 v[0:1], v[6:7], 2, v[2:3]
	s_cbranch_vccnz .LBB5_25
; %bb.24:
	global_load_dword v2, v[0:1], off
	s_waitcnt vmcnt(0)
	v_fmac_f32_e32 v4, s22, v2
.LBB5_25:
	global_store_dword v[0:1], v4, off
.LBB5_26:
	s_endpgm
	.section	.rodata,"a",@progbits
	.p2align	6, 0x0
	.amdhsa_kernel _ZL29rocblas_internal_gemmt_kernelIiLi16ELi32ELi8ELc84ELc67ELc85ELb0ELb0EfPKfS1_PfEviT_T9_T10_S3_lS5_S3_lS4_T11_S3_li
		.amdhsa_group_segment_fixed_size 2048
		.amdhsa_private_segment_fixed_size 0
		.amdhsa_kernarg_size 100
		.amdhsa_user_sgpr_count 2
		.amdhsa_user_sgpr_dispatch_ptr 0
		.amdhsa_user_sgpr_queue_ptr 0
		.amdhsa_user_sgpr_kernarg_segment_ptr 1
		.amdhsa_user_sgpr_dispatch_id 0
		.amdhsa_user_sgpr_kernarg_preload_length 0
		.amdhsa_user_sgpr_kernarg_preload_offset 0
		.amdhsa_user_sgpr_private_segment_size 0
		.amdhsa_uses_dynamic_stack 0
		.amdhsa_enable_private_segment 0
		.amdhsa_system_sgpr_workgroup_id_x 1
		.amdhsa_system_sgpr_workgroup_id_y 1
		.amdhsa_system_sgpr_workgroup_id_z 1
		.amdhsa_system_sgpr_workgroup_info 0
		.amdhsa_system_vgpr_workitem_id 1
		.amdhsa_next_free_vgpr 48
		.amdhsa_next_free_sgpr 26
		.amdhsa_accum_offset 48
		.amdhsa_reserve_vcc 1
		.amdhsa_float_round_mode_32 0
		.amdhsa_float_round_mode_16_64 0
		.amdhsa_float_denorm_mode_32 3
		.amdhsa_float_denorm_mode_16_64 3
		.amdhsa_dx10_clamp 1
		.amdhsa_ieee_mode 1
		.amdhsa_fp16_overflow 0
		.amdhsa_tg_split 0
		.amdhsa_exception_fp_ieee_invalid_op 0
		.amdhsa_exception_fp_denorm_src 0
		.amdhsa_exception_fp_ieee_div_zero 0
		.amdhsa_exception_fp_ieee_overflow 0
		.amdhsa_exception_fp_ieee_underflow 0
		.amdhsa_exception_fp_ieee_inexact 0
		.amdhsa_exception_int_div_zero 0
	.end_amdhsa_kernel
	.section	.text._ZL29rocblas_internal_gemmt_kernelIiLi16ELi32ELi8ELc84ELc67ELc85ELb0ELb0EfPKfS1_PfEviT_T9_T10_S3_lS5_S3_lS4_T11_S3_li,"axG",@progbits,_ZL29rocblas_internal_gemmt_kernelIiLi16ELi32ELi8ELc84ELc67ELc85ELb0ELb0EfPKfS1_PfEviT_T9_T10_S3_lS5_S3_lS4_T11_S3_li,comdat
.Lfunc_end5:
	.size	_ZL29rocblas_internal_gemmt_kernelIiLi16ELi32ELi8ELc84ELc67ELc85ELb0ELb0EfPKfS1_PfEviT_T9_T10_S3_lS5_S3_lS4_T11_S3_li, .Lfunc_end5-_ZL29rocblas_internal_gemmt_kernelIiLi16ELi32ELi8ELc84ELc67ELc85ELb0ELb0EfPKfS1_PfEviT_T9_T10_S3_lS5_S3_lS4_T11_S3_li
                                        ; -- End function
	.set _ZL29rocblas_internal_gemmt_kernelIiLi16ELi32ELi8ELc84ELc67ELc85ELb0ELb0EfPKfS1_PfEviT_T9_T10_S3_lS5_S3_lS4_T11_S3_li.num_vgpr, 48
	.set _ZL29rocblas_internal_gemmt_kernelIiLi16ELi32ELi8ELc84ELc67ELc85ELb0ELb0EfPKfS1_PfEviT_T9_T10_S3_lS5_S3_lS4_T11_S3_li.num_agpr, 0
	.set _ZL29rocblas_internal_gemmt_kernelIiLi16ELi32ELi8ELc84ELc67ELc85ELb0ELb0EfPKfS1_PfEviT_T9_T10_S3_lS5_S3_lS4_T11_S3_li.numbered_sgpr, 26
	.set _ZL29rocblas_internal_gemmt_kernelIiLi16ELi32ELi8ELc84ELc67ELc85ELb0ELb0EfPKfS1_PfEviT_T9_T10_S3_lS5_S3_lS4_T11_S3_li.num_named_barrier, 0
	.set _ZL29rocblas_internal_gemmt_kernelIiLi16ELi32ELi8ELc84ELc67ELc85ELb0ELb0EfPKfS1_PfEviT_T9_T10_S3_lS5_S3_lS4_T11_S3_li.private_seg_size, 0
	.set _ZL29rocblas_internal_gemmt_kernelIiLi16ELi32ELi8ELc84ELc67ELc85ELb0ELb0EfPKfS1_PfEviT_T9_T10_S3_lS5_S3_lS4_T11_S3_li.uses_vcc, 1
	.set _ZL29rocblas_internal_gemmt_kernelIiLi16ELi32ELi8ELc84ELc67ELc85ELb0ELb0EfPKfS1_PfEviT_T9_T10_S3_lS5_S3_lS4_T11_S3_li.uses_flat_scratch, 0
	.set _ZL29rocblas_internal_gemmt_kernelIiLi16ELi32ELi8ELc84ELc67ELc85ELb0ELb0EfPKfS1_PfEviT_T9_T10_S3_lS5_S3_lS4_T11_S3_li.has_dyn_sized_stack, 0
	.set _ZL29rocblas_internal_gemmt_kernelIiLi16ELi32ELi8ELc84ELc67ELc85ELb0ELb0EfPKfS1_PfEviT_T9_T10_S3_lS5_S3_lS4_T11_S3_li.has_recursion, 0
	.set _ZL29rocblas_internal_gemmt_kernelIiLi16ELi32ELi8ELc84ELc67ELc85ELb0ELb0EfPKfS1_PfEviT_T9_T10_S3_lS5_S3_lS4_T11_S3_li.has_indirect_call, 0
	.section	.AMDGPU.csdata,"",@progbits
; Kernel info:
; codeLenInByte = 1256
; TotalNumSgprs: 32
; NumVgprs: 48
; NumAgprs: 0
; TotalNumVgprs: 48
; ScratchSize: 0
; MemoryBound: 0
; FloatMode: 240
; IeeeMode: 1
; LDSByteSize: 2048 bytes/workgroup (compile time only)
; SGPRBlocks: 3
; VGPRBlocks: 5
; NumSGPRsForWavesPerEU: 32
; NumVGPRsForWavesPerEU: 48
; AccumOffset: 48
; Occupancy: 8
; WaveLimiterHint : 0
; COMPUTE_PGM_RSRC2:SCRATCH_EN: 0
; COMPUTE_PGM_RSRC2:USER_SGPR: 2
; COMPUTE_PGM_RSRC2:TRAP_HANDLER: 0
; COMPUTE_PGM_RSRC2:TGID_X_EN: 1
; COMPUTE_PGM_RSRC2:TGID_Y_EN: 1
; COMPUTE_PGM_RSRC2:TGID_Z_EN: 1
; COMPUTE_PGM_RSRC2:TIDIG_COMP_CNT: 1
; COMPUTE_PGM_RSRC3_GFX90A:ACCUM_OFFSET: 11
; COMPUTE_PGM_RSRC3_GFX90A:TG_SPLIT: 0
	.section	.text._ZL29rocblas_internal_gemmt_kernelIiLi16ELi32ELi8ELc67ELc78ELc85ELb0ELb0EfPKfS1_PfEviT_T9_T10_S3_lS5_S3_lS4_T11_S3_li,"axG",@progbits,_ZL29rocblas_internal_gemmt_kernelIiLi16ELi32ELi8ELc67ELc78ELc85ELb0ELb0EfPKfS1_PfEviT_T9_T10_S3_lS5_S3_lS4_T11_S3_li,comdat
	.globl	_ZL29rocblas_internal_gemmt_kernelIiLi16ELi32ELi8ELc67ELc78ELc85ELb0ELb0EfPKfS1_PfEviT_T9_T10_S3_lS5_S3_lS4_T11_S3_li ; -- Begin function _ZL29rocblas_internal_gemmt_kernelIiLi16ELi32ELi8ELc67ELc78ELc85ELb0ELb0EfPKfS1_PfEviT_T9_T10_S3_lS5_S3_lS4_T11_S3_li
	.p2align	8
	.type	_ZL29rocblas_internal_gemmt_kernelIiLi16ELi32ELi8ELc67ELc78ELc85ELb0ELb0EfPKfS1_PfEviT_T9_T10_S3_lS5_S3_lS4_T11_S3_li,@function
_ZL29rocblas_internal_gemmt_kernelIiLi16ELi32ELi8ELc67ELc78ELc85ELb0ELb0EfPKfS1_PfEviT_T9_T10_S3_lS5_S3_lS4_T11_S3_li: ; @_ZL29rocblas_internal_gemmt_kernelIiLi16ELi32ELi8ELc67ELc78ELc85ELb0ELb0EfPKfS1_PfEviT_T9_T10_S3_lS5_S3_lS4_T11_S3_li
; %bb.0:
	s_load_dwordx4 s[8:11], s[0:1], 0x38
	s_load_dwordx4 s[12:15], s[0:1], 0x8
	s_waitcnt lgkmcnt(0)
	s_load_dword s22, s[10:11], 0x0
	s_load_dwordx2 s[20:21], s[0:1], 0x0
	s_load_dword s23, s[12:13], 0x0
	s_waitcnt lgkmcnt(0)
	v_cmp_neq_f32_e64 s[6:7], s22, 1.0
	s_and_b64 vcc, exec, s[6:7]
	s_cbranch_vccnz .LBB6_2
; %bb.1:
	s_cmp_lg_u32 s21, 0
	s_cselect_b64 s[6:7], -1, 0
	v_cmp_neq_f32_e64 s[10:11], s23, 0
	s_and_b64 s[6:7], s[6:7], s[10:11]
.LBB6_2:
	s_andn2_b64 vcc, exec, s[6:7]
	s_cbranch_vccnz .LBB6_26
; %bb.3:
	s_load_dwordx2 s[10:11], s[0:1], 0x48
	s_lshl_b32 s5, s2, 5
	s_lshl_b32 s12, s3, 5
	s_cmp_lt_i32 s21, 1
	v_cmp_eq_f32_e64 s[2:3], s23, 0
	s_cselect_b64 s[6:7], -1, 0
	v_mov_b32_e32 v3, 0
	s_or_b64 s[2:3], s[2:3], s[6:7]
	v_and_b32_e32 v9, 0x3ff, v0
	v_bfe_u32 v8, v0, 10, 10
	s_mov_b32 s13, 0
	s_and_b64 vcc, exec, s[2:3]
	v_mov_b32_e32 v2, v3
	v_mov_b32_e32 v1, v3
	;; [unrolled: 1-line block ×3, first 2 shown]
	s_cbranch_vccnz .LBB6_10
; %bb.4:
	v_lshl_add_u32 v0, v8, 4, v9
	v_lshrrev_b32_e32 v11, 5, v0
	v_lshrrev_b32_e32 v1, 3, v0
	v_and_b32_e32 v0, 31, v0
	v_or_b32_e32 v2, s5, v0
	v_and_b32_e32 v10, 7, v9
	v_cmp_gt_i32_e32 vcc, s20, v2
	v_lshlrev_b32_e32 v2, 2, v0
	s_load_dword s6, s[0:1], 0x18
	s_load_dwordx4 s[16:19], s[0:1], 0x20
	s_load_dword s24, s[0:1], 0x30
	v_lshl_or_b32 v12, v11, 7, v2
	v_lshlrev_b32_e32 v2, 2, v10
	v_add_u32_e32 v3, s12, v1
	v_lshl_or_b32 v1, v1, 5, v2
	v_add_u32_e32 v13, 0x400, v1
	v_mov_b32_e32 v1, 0x400
	v_add_u32_e32 v0, s5, v0
	v_lshl_add_u32 v15, v8, 5, v1
	s_waitcnt lgkmcnt(0)
	v_mad_i64_i32 v[0:1], s[6:7], s6, v0, 0
	s_mul_i32 s6, s17, s4
	s_mul_hi_u32 s7, s16, s4
	s_add_i32 s7, s7, s6
	s_mul_i32 s6, s16, s4
	s_lshl_b64 s[6:7], s[6:7], 2
	v_lshl_add_u64 v[4:5], v[0:1], 2, s[6:7]
	v_mad_i64_i32 v[6:7], s[6:7], s24, v3, 0
	s_mul_i32 s6, s9, s4
	s_mul_hi_u32 s7, s8, s4
	s_add_i32 s7, s7, s6
	s_mul_i32 s6, s8, s4
	v_mov_b32_e32 v1, 0
	s_lshl_b64 s[6:7], s[6:7], 2
	v_cmp_gt_i32_e64 s[2:3], s20, v3
	v_lshlrev_b32_e32 v0, 2, v11
	v_lshl_add_u64 v[6:7], v[6:7], 2, s[6:7]
	v_mov_b32_e32 v3, v1
	v_lshl_add_u64 v[4:5], v[4:5], 0, v[0:1]
	v_lshl_add_u64 v[2:3], v[6:7], 0, v[2:3]
	v_lshlrev_b32_e32 v14, 2, v9
	v_lshl_add_u64 v[4:5], s[14:15], 0, v[4:5]
	v_lshl_add_u64 v[6:7], s[18:19], 0, v[2:3]
	v_mov_b32_e32 v0, v1
	v_mov_b32_e32 v2, v1
	;; [unrolled: 1-line block ×3, first 2 shown]
	s_branch .LBB6_6
.LBB6_5:                                ;   in Loop: Header=BB6_6 Depth=1
	s_or_b64 exec, exec, s[6:7]
	s_waitcnt vmcnt(0)
	ds_write_b32 v13, v16
	s_waitcnt lgkmcnt(0)
	s_barrier
	ds_read_b128 v[16:19], v15
	ds_read_b128 v[20:23], v15 offset:16
	ds_read2_b32 v[32:33], v14 offset1:16
	ds_read2_b32 v[34:35], v14 offset0:32 offset1:48
	ds_read2_b32 v[36:37], v14 offset0:64 offset1:80
	;; [unrolled: 1-line block ×4, first 2 shown]
	ds_read_b128 v[24:27], v15 offset:512
	ds_read_b128 v[28:31], v15 offset:528
	ds_read2_b32 v[42:43], v14 offset0:160 offset1:176
	ds_read2_b32 v[44:45], v14 offset0:192 offset1:208
	;; [unrolled: 1-line block ×3, first 2 shown]
	s_waitcnt lgkmcnt(9)
	v_pk_fma_f32 v[2:3], v[32:33], v[16:17], v[2:3] op_sel_hi:[1,0,1]
	s_waitcnt lgkmcnt(4)
	v_pk_fma_f32 v[0:1], v[32:33], v[24:25], v[0:1] op_sel_hi:[1,0,1]
	v_pk_fma_f32 v[2:3], v[34:35], v[16:17], v[2:3] op_sel:[0,1,0]
	v_mov_b32_e32 v16, v19
	v_pk_fma_f32 v[2:3], v[36:37], v[18:19], v[2:3] op_sel_hi:[1,0,1]
	v_pk_fma_f32 v[0:1], v[34:35], v[24:25], v[0:1] op_sel:[0,1,0]
	v_pk_fma_f32 v[2:3], v[38:39], v[16:17], v[2:3] op_sel_hi:[1,0,1]
	v_mov_b32_e32 v16, v23
	v_pk_fma_f32 v[2:3], v[40:41], v[20:21], v[2:3] op_sel_hi:[1,0,1]
	v_pk_fma_f32 v[0:1], v[36:37], v[26:27], v[0:1] op_sel_hi:[1,0,1]
	s_waitcnt lgkmcnt(2)
	v_pk_fma_f32 v[2:3], v[42:43], v[20:21], v[2:3] op_sel:[0,1,0]
	s_add_i32 s13, s13, 8
	s_waitcnt lgkmcnt(1)
	v_pk_fma_f32 v[2:3], v[44:45], v[22:23], v[2:3] op_sel_hi:[1,0,1]
	v_lshl_add_u64 v[4:5], v[4:5], 0, 32
	s_waitcnt lgkmcnt(0)
	v_pk_fma_f32 v[2:3], v[46:47], v[16:17], v[2:3] op_sel_hi:[1,0,1]
	v_mov_b32_e32 v16, v27
	v_pk_fma_f32 v[0:1], v[38:39], v[16:17], v[0:1] op_sel_hi:[1,0,1]
	v_mov_b32_e32 v16, v31
	v_pk_fma_f32 v[0:1], v[40:41], v[28:29], v[0:1] op_sel_hi:[1,0,1]
	s_cmp_lt_i32 s13, s21
	v_pk_fma_f32 v[0:1], v[42:43], v[28:29], v[0:1] op_sel:[0,1,0]
	v_lshl_add_u64 v[6:7], v[6:7], 0, 32
	v_pk_fma_f32 v[0:1], v[44:45], v[30:31], v[0:1] op_sel_hi:[1,0,1]
	s_nop 0
	v_pk_fma_f32 v[0:1], v[46:47], v[16:17], v[0:1] op_sel_hi:[1,0,1]
	s_barrier
	s_cbranch_scc0 .LBB6_10
.LBB6_6:                                ; =>This Inner Loop Header: Depth=1
	v_add_u32_e32 v16, s13, v11
	v_cmp_gt_i32_e64 s[6:7], s21, v16
	s_and_b64 s[8:9], vcc, s[6:7]
	v_mov_b32_e32 v16, 0
	s_and_saveexec_b64 s[6:7], s[8:9]
	s_cbranch_execz .LBB6_8
; %bb.7:                                ;   in Loop: Header=BB6_6 Depth=1
	global_load_dword v16, v[4:5], off
.LBB6_8:                                ;   in Loop: Header=BB6_6 Depth=1
	s_or_b64 exec, exec, s[6:7]
	s_waitcnt vmcnt(0)
	ds_write_b32 v12, v16
	v_add_u32_e32 v16, s13, v10
	v_cmp_gt_i32_e64 s[6:7], s21, v16
	s_and_b64 s[8:9], s[6:7], s[2:3]
	v_mov_b32_e32 v16, 0
	s_and_saveexec_b64 s[6:7], s[8:9]
	s_cbranch_execz .LBB6_5
; %bb.9:                                ;   in Loop: Header=BB6_6 Depth=1
	global_load_dword v16, v[6:7], off
	s_branch .LBB6_5
.LBB6_10:
	s_load_dwordx2 s[2:3], s[0:1], 0x58
	s_load_dword s8, s[0:1], 0x50
	v_add_u32_e32 v10, s12, v8
	v_add_u32_e32 v4, s5, v9
	v_cmp_le_i32_e32 vcc, v4, v10
	s_waitcnt lgkmcnt(0)
	s_mul_i32 s1, s3, s4
	s_mul_hi_u32 s3, s2, s4
	s_mul_i32 s0, s2, s4
	s_add_i32 s1, s3, s1
	s_lshl_b64 s[0:1], s[0:1], 2
	s_add_u32 s4, s10, s0
	s_addc_u32 s5, s11, s1
	v_mad_i64_i32 v[6:7], s[0:1], v10, s8, 0
	v_cmp_neq_f32_e64 s[0:1], s22, 0
	v_cmp_gt_i32_e64 s[2:3], s20, v10
	v_lshl_add_u64 v[8:9], v[6:7], 2, s[4:5]
	v_cndmask_b32_e64 v6, 0, 1, s[0:1]
	s_and_b64 s[10:11], s[2:3], vcc
	v_ashrrev_i32_e32 v5, 31, v4
	v_cmp_ne_u32_e64 s[0:1], 1, v6
	s_and_saveexec_b64 s[6:7], s[10:11]
	s_cbranch_execz .LBB6_14
; %bb.11:
	v_mul_f32_e32 v2, s23, v2
	s_and_b64 vcc, exec, s[0:1]
	v_lshl_add_u64 v[6:7], v[4:5], 2, v[8:9]
	s_cbranch_vccnz .LBB6_13
; %bb.12:
	global_load_dword v11, v[6:7], off
	s_waitcnt vmcnt(0)
	v_fmac_f32_e32 v2, s22, v11
.LBB6_13:
	global_store_dword v[6:7], v2, off
.LBB6_14:
	s_or_b64 exec, exec, s[6:7]
	v_add_u32_e32 v6, 16, v4
	v_cmp_le_i32_e32 vcc, v6, v10
	s_and_b64 s[6:7], s[2:3], vcc
	v_ashrrev_i32_e32 v7, 31, v6
	s_and_saveexec_b64 s[2:3], s[6:7]
	s_cbranch_execz .LBB6_18
; %bb.15:
	v_mul_f32_e32 v11, s23, v3
	s_and_b64 vcc, exec, s[0:1]
	v_lshl_add_u64 v[2:3], v[6:7], 2, v[8:9]
	s_cbranch_vccnz .LBB6_17
; %bb.16:
	global_load_dword v8, v[2:3], off
	s_waitcnt vmcnt(0)
	v_fmac_f32_e32 v11, s22, v8
.LBB6_17:
	global_store_dword v[2:3], v11, off
.LBB6_18:
	s_or_b64 exec, exec, s[2:3]
	v_add_u32_e32 v8, 16, v10
	v_cmp_gt_i32_e64 s[2:3], s20, v8
	v_mad_i64_i32 v[2:3], s[6:7], v8, s8, 0
	v_cmp_le_i32_e32 vcc, v4, v8
	v_lshl_add_u64 v[2:3], v[2:3], 2, s[4:5]
	s_and_b64 s[6:7], s[2:3], vcc
	s_and_saveexec_b64 s[4:5], s[6:7]
	s_cbranch_execz .LBB6_22
; %bb.19:
	v_mul_f32_e32 v0, s23, v0
	s_and_b64 vcc, exec, s[0:1]
	v_lshl_add_u64 v[4:5], v[4:5], 2, v[2:3]
	s_cbranch_vccnz .LBB6_21
; %bb.20:
	global_load_dword v9, v[4:5], off
	s_waitcnt vmcnt(0)
	v_fmac_f32_e32 v0, s22, v9
.LBB6_21:
	global_store_dword v[4:5], v0, off
.LBB6_22:
	s_or_b64 exec, exec, s[4:5]
	v_cmp_le_i32_e32 vcc, v6, v8
	s_and_b64 s[2:3], s[2:3], vcc
	s_and_saveexec_b64 s[4:5], s[2:3]
	s_cbranch_execz .LBB6_26
; %bb.23:
	v_mul_f32_e32 v4, s23, v1
	s_and_b64 vcc, exec, s[0:1]
	v_lshl_add_u64 v[0:1], v[6:7], 2, v[2:3]
	s_cbranch_vccnz .LBB6_25
; %bb.24:
	global_load_dword v2, v[0:1], off
	s_waitcnt vmcnt(0)
	v_fmac_f32_e32 v4, s22, v2
.LBB6_25:
	global_store_dword v[0:1], v4, off
.LBB6_26:
	s_endpgm
	.section	.rodata,"a",@progbits
	.p2align	6, 0x0
	.amdhsa_kernel _ZL29rocblas_internal_gemmt_kernelIiLi16ELi32ELi8ELc67ELc78ELc85ELb0ELb0EfPKfS1_PfEviT_T9_T10_S3_lS5_S3_lS4_T11_S3_li
		.amdhsa_group_segment_fixed_size 2048
		.amdhsa_private_segment_fixed_size 0
		.amdhsa_kernarg_size 100
		.amdhsa_user_sgpr_count 2
		.amdhsa_user_sgpr_dispatch_ptr 0
		.amdhsa_user_sgpr_queue_ptr 0
		.amdhsa_user_sgpr_kernarg_segment_ptr 1
		.amdhsa_user_sgpr_dispatch_id 0
		.amdhsa_user_sgpr_kernarg_preload_length 0
		.amdhsa_user_sgpr_kernarg_preload_offset 0
		.amdhsa_user_sgpr_private_segment_size 0
		.amdhsa_uses_dynamic_stack 0
		.amdhsa_enable_private_segment 0
		.amdhsa_system_sgpr_workgroup_id_x 1
		.amdhsa_system_sgpr_workgroup_id_y 1
		.amdhsa_system_sgpr_workgroup_id_z 1
		.amdhsa_system_sgpr_workgroup_info 0
		.amdhsa_system_vgpr_workitem_id 1
		.amdhsa_next_free_vgpr 48
		.amdhsa_next_free_sgpr 25
		.amdhsa_accum_offset 48
		.amdhsa_reserve_vcc 1
		.amdhsa_float_round_mode_32 0
		.amdhsa_float_round_mode_16_64 0
		.amdhsa_float_denorm_mode_32 3
		.amdhsa_float_denorm_mode_16_64 3
		.amdhsa_dx10_clamp 1
		.amdhsa_ieee_mode 1
		.amdhsa_fp16_overflow 0
		.amdhsa_tg_split 0
		.amdhsa_exception_fp_ieee_invalid_op 0
		.amdhsa_exception_fp_denorm_src 0
		.amdhsa_exception_fp_ieee_div_zero 0
		.amdhsa_exception_fp_ieee_overflow 0
		.amdhsa_exception_fp_ieee_underflow 0
		.amdhsa_exception_fp_ieee_inexact 0
		.amdhsa_exception_int_div_zero 0
	.end_amdhsa_kernel
	.section	.text._ZL29rocblas_internal_gemmt_kernelIiLi16ELi32ELi8ELc67ELc78ELc85ELb0ELb0EfPKfS1_PfEviT_T9_T10_S3_lS5_S3_lS4_T11_S3_li,"axG",@progbits,_ZL29rocblas_internal_gemmt_kernelIiLi16ELi32ELi8ELc67ELc78ELc85ELb0ELb0EfPKfS1_PfEviT_T9_T10_S3_lS5_S3_lS4_T11_S3_li,comdat
.Lfunc_end6:
	.size	_ZL29rocblas_internal_gemmt_kernelIiLi16ELi32ELi8ELc67ELc78ELc85ELb0ELb0EfPKfS1_PfEviT_T9_T10_S3_lS5_S3_lS4_T11_S3_li, .Lfunc_end6-_ZL29rocblas_internal_gemmt_kernelIiLi16ELi32ELi8ELc67ELc78ELc85ELb0ELb0EfPKfS1_PfEviT_T9_T10_S3_lS5_S3_lS4_T11_S3_li
                                        ; -- End function
	.set _ZL29rocblas_internal_gemmt_kernelIiLi16ELi32ELi8ELc67ELc78ELc85ELb0ELb0EfPKfS1_PfEviT_T9_T10_S3_lS5_S3_lS4_T11_S3_li.num_vgpr, 48
	.set _ZL29rocblas_internal_gemmt_kernelIiLi16ELi32ELi8ELc67ELc78ELc85ELb0ELb0EfPKfS1_PfEviT_T9_T10_S3_lS5_S3_lS4_T11_S3_li.num_agpr, 0
	.set _ZL29rocblas_internal_gemmt_kernelIiLi16ELi32ELi8ELc67ELc78ELc85ELb0ELb0EfPKfS1_PfEviT_T9_T10_S3_lS5_S3_lS4_T11_S3_li.numbered_sgpr, 25
	.set _ZL29rocblas_internal_gemmt_kernelIiLi16ELi32ELi8ELc67ELc78ELc85ELb0ELb0EfPKfS1_PfEviT_T9_T10_S3_lS5_S3_lS4_T11_S3_li.num_named_barrier, 0
	.set _ZL29rocblas_internal_gemmt_kernelIiLi16ELi32ELi8ELc67ELc78ELc85ELb0ELb0EfPKfS1_PfEviT_T9_T10_S3_lS5_S3_lS4_T11_S3_li.private_seg_size, 0
	.set _ZL29rocblas_internal_gemmt_kernelIiLi16ELi32ELi8ELc67ELc78ELc85ELb0ELb0EfPKfS1_PfEviT_T9_T10_S3_lS5_S3_lS4_T11_S3_li.uses_vcc, 1
	.set _ZL29rocblas_internal_gemmt_kernelIiLi16ELi32ELi8ELc67ELc78ELc85ELb0ELb0EfPKfS1_PfEviT_T9_T10_S3_lS5_S3_lS4_T11_S3_li.uses_flat_scratch, 0
	.set _ZL29rocblas_internal_gemmt_kernelIiLi16ELi32ELi8ELc67ELc78ELc85ELb0ELb0EfPKfS1_PfEviT_T9_T10_S3_lS5_S3_lS4_T11_S3_li.has_dyn_sized_stack, 0
	.set _ZL29rocblas_internal_gemmt_kernelIiLi16ELi32ELi8ELc67ELc78ELc85ELb0ELb0EfPKfS1_PfEviT_T9_T10_S3_lS5_S3_lS4_T11_S3_li.has_recursion, 0
	.set _ZL29rocblas_internal_gemmt_kernelIiLi16ELi32ELi8ELc67ELc78ELc85ELb0ELb0EfPKfS1_PfEviT_T9_T10_S3_lS5_S3_lS4_T11_S3_li.has_indirect_call, 0
	.section	.AMDGPU.csdata,"",@progbits
; Kernel info:
; codeLenInByte = 1244
; TotalNumSgprs: 31
; NumVgprs: 48
; NumAgprs: 0
; TotalNumVgprs: 48
; ScratchSize: 0
; MemoryBound: 0
; FloatMode: 240
; IeeeMode: 1
; LDSByteSize: 2048 bytes/workgroup (compile time only)
; SGPRBlocks: 3
; VGPRBlocks: 5
; NumSGPRsForWavesPerEU: 31
; NumVGPRsForWavesPerEU: 48
; AccumOffset: 48
; Occupancy: 8
; WaveLimiterHint : 0
; COMPUTE_PGM_RSRC2:SCRATCH_EN: 0
; COMPUTE_PGM_RSRC2:USER_SGPR: 2
; COMPUTE_PGM_RSRC2:TRAP_HANDLER: 0
; COMPUTE_PGM_RSRC2:TGID_X_EN: 1
; COMPUTE_PGM_RSRC2:TGID_Y_EN: 1
; COMPUTE_PGM_RSRC2:TGID_Z_EN: 1
; COMPUTE_PGM_RSRC2:TIDIG_COMP_CNT: 1
; COMPUTE_PGM_RSRC3_GFX90A:ACCUM_OFFSET: 11
; COMPUTE_PGM_RSRC3_GFX90A:TG_SPLIT: 0
	.section	.text._ZL29rocblas_internal_gemmt_kernelIiLi16ELi32ELi8ELc67ELc84ELc85ELb0ELb0EfPKfS1_PfEviT_T9_T10_S3_lS5_S3_lS4_T11_S3_li,"axG",@progbits,_ZL29rocblas_internal_gemmt_kernelIiLi16ELi32ELi8ELc67ELc84ELc85ELb0ELb0EfPKfS1_PfEviT_T9_T10_S3_lS5_S3_lS4_T11_S3_li,comdat
	.globl	_ZL29rocblas_internal_gemmt_kernelIiLi16ELi32ELi8ELc67ELc84ELc85ELb0ELb0EfPKfS1_PfEviT_T9_T10_S3_lS5_S3_lS4_T11_S3_li ; -- Begin function _ZL29rocblas_internal_gemmt_kernelIiLi16ELi32ELi8ELc67ELc84ELc85ELb0ELb0EfPKfS1_PfEviT_T9_T10_S3_lS5_S3_lS4_T11_S3_li
	.p2align	8
	.type	_ZL29rocblas_internal_gemmt_kernelIiLi16ELi32ELi8ELc67ELc84ELc85ELb0ELb0EfPKfS1_PfEviT_T9_T10_S3_lS5_S3_lS4_T11_S3_li,@function
_ZL29rocblas_internal_gemmt_kernelIiLi16ELi32ELi8ELc67ELc84ELc85ELb0ELb0EfPKfS1_PfEviT_T9_T10_S3_lS5_S3_lS4_T11_S3_li: ; @_ZL29rocblas_internal_gemmt_kernelIiLi16ELi32ELi8ELc67ELc84ELc85ELb0ELb0EfPKfS1_PfEviT_T9_T10_S3_lS5_S3_lS4_T11_S3_li
; %bb.0:
	s_load_dwordx4 s[8:11], s[0:1], 0x38
	s_load_dwordx4 s[12:15], s[0:1], 0x8
	s_waitcnt lgkmcnt(0)
	s_load_dword s22, s[10:11], 0x0
	s_load_dwordx2 s[20:21], s[0:1], 0x0
	s_load_dword s23, s[12:13], 0x0
	s_waitcnt lgkmcnt(0)
	v_cmp_neq_f32_e64 s[6:7], s22, 1.0
	s_and_b64 vcc, exec, s[6:7]
	s_cbranch_vccnz .LBB7_2
; %bb.1:
	s_cmp_lg_u32 s21, 0
	s_cselect_b64 s[6:7], -1, 0
	v_cmp_neq_f32_e64 s[10:11], s23, 0
	s_and_b64 s[6:7], s[6:7], s[10:11]
.LBB7_2:
	s_andn2_b64 vcc, exec, s[6:7]
	s_cbranch_vccnz .LBB7_26
; %bb.3:
	s_load_dwordx2 s[10:11], s[0:1], 0x48
	s_lshl_b32 s5, s2, 5
	s_lshl_b32 s12, s3, 5
	s_cmp_lt_i32 s21, 1
	v_cmp_eq_f32_e64 s[2:3], s23, 0
	s_cselect_b64 s[6:7], -1, 0
	v_mov_b32_e32 v3, 0
	s_or_b64 s[2:3], s[2:3], s[6:7]
	v_and_b32_e32 v9, 0x3ff, v0
	v_bfe_u32 v8, v0, 10, 10
	s_mov_b32 s13, 0
	s_and_b64 vcc, exec, s[2:3]
	v_mov_b32_e32 v2, v3
	v_mov_b32_e32 v1, v3
	;; [unrolled: 1-line block ×3, first 2 shown]
	s_cbranch_vccnz .LBB7_10
; %bb.4:
	v_lshl_add_u32 v0, v8, 4, v9
	v_lshrrev_b32_e32 v11, 5, v0
	v_lshrrev_b32_e32 v1, 3, v0
	v_and_b32_e32 v0, 31, v0
	v_or_b32_e32 v3, s5, v0
	s_load_dword s24, s[0:1], 0x18
	s_load_dword s6, s[0:1], 0x30
	s_load_dwordx4 s[16:19], s[0:1], 0x20
	v_and_b32_e32 v10, 7, v9
	v_cmp_gt_i32_e32 vcc, s20, v3
	v_lshlrev_b32_e32 v3, 2, v0
	v_lshl_or_b32 v12, v11, 7, v3
	v_lshlrev_b32_e32 v3, 2, v10
	v_add_u32_e32 v2, s12, v1
	v_lshl_or_b32 v1, v1, 5, v3
	v_add_u32_e32 v13, 0x400, v1
	v_mov_b32_e32 v1, 0x400
	v_add_u32_e32 v0, s5, v0
	v_lshl_add_u32 v15, v8, 5, v1
	s_waitcnt lgkmcnt(0)
	v_mad_i64_i32 v[0:1], s[24:25], s24, v0, 0
	s_mul_i32 s17, s17, s4
	s_mul_hi_u32 s24, s16, s4
	s_add_i32 s17, s24, s17
	s_mul_i32 s16, s16, s4
	s_lshl_b64 s[16:17], s[16:17], 2
	v_lshl_add_u64 v[4:5], v[0:1], 2, s[16:17]
	v_lshlrev_b32_e32 v0, 2, v11
	v_mov_b32_e32 v1, 0
	v_lshl_add_u64 v[4:5], v[4:5], 0, v[0:1]
	v_lshl_add_u64 v[4:5], s[14:15], 0, v[4:5]
	s_mul_i32 s9, s9, s4
	s_mul_hi_u32 s14, s8, s4
	s_add_i32 s9, s14, s9
	v_mad_i64_i32 v[6:7], s[14:15], s6, v10, 0
	s_mul_i32 s8, s8, s4
	v_lshlrev_b64 v[6:7], 2, v[6:7]
	v_ashrrev_i32_e32 v3, 31, v2
	v_lshl_add_u64 v[6:7], s[8:9], 2, v[6:7]
	s_ashr_i32 s7, s6, 31
	v_cmp_gt_i32_e64 s[2:3], s20, v2
	v_lshl_add_u64 v[2:3], v[2:3], 2, v[6:7]
	v_lshlrev_b32_e32 v14, 2, v9
	v_lshl_add_u64 v[6:7], s[18:19], 0, v[2:3]
	s_lshl_b64 s[8:9], s[6:7], 5
	v_mov_b32_e32 v0, v1
	v_mov_b32_e32 v2, v1
	;; [unrolled: 1-line block ×3, first 2 shown]
	s_branch .LBB7_6
.LBB7_5:                                ;   in Loop: Header=BB7_6 Depth=1
	s_or_b64 exec, exec, s[6:7]
	s_waitcnt vmcnt(0)
	ds_write_b32 v13, v16
	s_waitcnt lgkmcnt(0)
	s_barrier
	ds_read_b128 v[16:19], v15
	ds_read_b128 v[20:23], v15 offset:16
	ds_read2_b32 v[32:33], v14 offset1:16
	ds_read2_b32 v[34:35], v14 offset0:32 offset1:48
	ds_read2_b32 v[36:37], v14 offset0:64 offset1:80
	;; [unrolled: 1-line block ×4, first 2 shown]
	ds_read_b128 v[24:27], v15 offset:512
	ds_read_b128 v[28:31], v15 offset:528
	ds_read2_b32 v[42:43], v14 offset0:160 offset1:176
	ds_read2_b32 v[44:45], v14 offset0:192 offset1:208
	;; [unrolled: 1-line block ×3, first 2 shown]
	s_waitcnt lgkmcnt(9)
	v_pk_fma_f32 v[2:3], v[32:33], v[16:17], v[2:3] op_sel_hi:[1,0,1]
	s_waitcnt lgkmcnt(4)
	v_pk_fma_f32 v[0:1], v[32:33], v[24:25], v[0:1] op_sel_hi:[1,0,1]
	v_pk_fma_f32 v[2:3], v[34:35], v[16:17], v[2:3] op_sel:[0,1,0]
	v_mov_b32_e32 v16, v19
	v_pk_fma_f32 v[2:3], v[36:37], v[18:19], v[2:3] op_sel_hi:[1,0,1]
	v_pk_fma_f32 v[0:1], v[34:35], v[24:25], v[0:1] op_sel:[0,1,0]
	v_pk_fma_f32 v[2:3], v[38:39], v[16:17], v[2:3] op_sel_hi:[1,0,1]
	v_mov_b32_e32 v16, v23
	v_pk_fma_f32 v[2:3], v[40:41], v[20:21], v[2:3] op_sel_hi:[1,0,1]
	v_pk_fma_f32 v[0:1], v[36:37], v[26:27], v[0:1] op_sel_hi:[1,0,1]
	s_waitcnt lgkmcnt(2)
	v_pk_fma_f32 v[2:3], v[42:43], v[20:21], v[2:3] op_sel:[0,1,0]
	s_add_i32 s13, s13, 8
	s_waitcnt lgkmcnt(1)
	v_pk_fma_f32 v[2:3], v[44:45], v[22:23], v[2:3] op_sel_hi:[1,0,1]
	v_lshl_add_u64 v[4:5], v[4:5], 0, 32
	s_waitcnt lgkmcnt(0)
	v_pk_fma_f32 v[2:3], v[46:47], v[16:17], v[2:3] op_sel_hi:[1,0,1]
	v_mov_b32_e32 v16, v27
	v_pk_fma_f32 v[0:1], v[38:39], v[16:17], v[0:1] op_sel_hi:[1,0,1]
	v_mov_b32_e32 v16, v31
	v_pk_fma_f32 v[0:1], v[40:41], v[28:29], v[0:1] op_sel_hi:[1,0,1]
	s_cmp_lt_i32 s13, s21
	v_pk_fma_f32 v[0:1], v[42:43], v[28:29], v[0:1] op_sel:[0,1,0]
	v_lshl_add_u64 v[6:7], v[6:7], 0, s[8:9]
	v_pk_fma_f32 v[0:1], v[44:45], v[30:31], v[0:1] op_sel_hi:[1,0,1]
	s_nop 0
	v_pk_fma_f32 v[0:1], v[46:47], v[16:17], v[0:1] op_sel_hi:[1,0,1]
	s_barrier
	s_cbranch_scc0 .LBB7_10
.LBB7_6:                                ; =>This Inner Loop Header: Depth=1
	v_add_u32_e32 v16, s13, v11
	v_cmp_gt_i32_e64 s[6:7], s21, v16
	s_and_b64 s[14:15], vcc, s[6:7]
	v_mov_b32_e32 v16, 0
	s_and_saveexec_b64 s[6:7], s[14:15]
	s_cbranch_execz .LBB7_8
; %bb.7:                                ;   in Loop: Header=BB7_6 Depth=1
	global_load_dword v16, v[4:5], off
.LBB7_8:                                ;   in Loop: Header=BB7_6 Depth=1
	s_or_b64 exec, exec, s[6:7]
	s_waitcnt vmcnt(0)
	ds_write_b32 v12, v16
	v_add_u32_e32 v16, s13, v10
	v_cmp_gt_i32_e64 s[6:7], s21, v16
	s_and_b64 s[14:15], s[6:7], s[2:3]
	v_mov_b32_e32 v16, 0
	s_and_saveexec_b64 s[6:7], s[14:15]
	s_cbranch_execz .LBB7_5
; %bb.9:                                ;   in Loop: Header=BB7_6 Depth=1
	global_load_dword v16, v[6:7], off
	s_branch .LBB7_5
.LBB7_10:
	s_load_dwordx2 s[2:3], s[0:1], 0x58
	s_load_dword s8, s[0:1], 0x50
	v_add_u32_e32 v10, s12, v8
	v_add_u32_e32 v4, s5, v9
	v_cmp_le_i32_e32 vcc, v4, v10
	s_waitcnt lgkmcnt(0)
	s_mul_i32 s1, s3, s4
	s_mul_hi_u32 s3, s2, s4
	s_mul_i32 s0, s2, s4
	s_add_i32 s1, s3, s1
	s_lshl_b64 s[0:1], s[0:1], 2
	s_add_u32 s4, s10, s0
	s_addc_u32 s5, s11, s1
	v_mad_i64_i32 v[6:7], s[0:1], v10, s8, 0
	v_cmp_neq_f32_e64 s[0:1], s22, 0
	v_cmp_gt_i32_e64 s[2:3], s20, v10
	v_lshl_add_u64 v[8:9], v[6:7], 2, s[4:5]
	v_cndmask_b32_e64 v6, 0, 1, s[0:1]
	s_and_b64 s[10:11], s[2:3], vcc
	v_ashrrev_i32_e32 v5, 31, v4
	v_cmp_ne_u32_e64 s[0:1], 1, v6
	s_and_saveexec_b64 s[6:7], s[10:11]
	s_cbranch_execz .LBB7_14
; %bb.11:
	v_mul_f32_e32 v2, s23, v2
	s_and_b64 vcc, exec, s[0:1]
	v_lshl_add_u64 v[6:7], v[4:5], 2, v[8:9]
	s_cbranch_vccnz .LBB7_13
; %bb.12:
	global_load_dword v11, v[6:7], off
	s_waitcnt vmcnt(0)
	v_fmac_f32_e32 v2, s22, v11
.LBB7_13:
	global_store_dword v[6:7], v2, off
.LBB7_14:
	s_or_b64 exec, exec, s[6:7]
	v_add_u32_e32 v6, 16, v4
	v_cmp_le_i32_e32 vcc, v6, v10
	s_and_b64 s[6:7], s[2:3], vcc
	v_ashrrev_i32_e32 v7, 31, v6
	s_and_saveexec_b64 s[2:3], s[6:7]
	s_cbranch_execz .LBB7_18
; %bb.15:
	v_mul_f32_e32 v11, s23, v3
	s_and_b64 vcc, exec, s[0:1]
	v_lshl_add_u64 v[2:3], v[6:7], 2, v[8:9]
	s_cbranch_vccnz .LBB7_17
; %bb.16:
	global_load_dword v8, v[2:3], off
	s_waitcnt vmcnt(0)
	v_fmac_f32_e32 v11, s22, v8
.LBB7_17:
	global_store_dword v[2:3], v11, off
.LBB7_18:
	s_or_b64 exec, exec, s[2:3]
	v_add_u32_e32 v8, 16, v10
	v_cmp_gt_i32_e64 s[2:3], s20, v8
	v_mad_i64_i32 v[2:3], s[6:7], v8, s8, 0
	v_cmp_le_i32_e32 vcc, v4, v8
	v_lshl_add_u64 v[2:3], v[2:3], 2, s[4:5]
	s_and_b64 s[6:7], s[2:3], vcc
	s_and_saveexec_b64 s[4:5], s[6:7]
	s_cbranch_execz .LBB7_22
; %bb.19:
	v_mul_f32_e32 v0, s23, v0
	s_and_b64 vcc, exec, s[0:1]
	v_lshl_add_u64 v[4:5], v[4:5], 2, v[2:3]
	s_cbranch_vccnz .LBB7_21
; %bb.20:
	global_load_dword v9, v[4:5], off
	s_waitcnt vmcnt(0)
	v_fmac_f32_e32 v0, s22, v9
.LBB7_21:
	global_store_dword v[4:5], v0, off
.LBB7_22:
	s_or_b64 exec, exec, s[4:5]
	v_cmp_le_i32_e32 vcc, v6, v8
	s_and_b64 s[2:3], s[2:3], vcc
	s_and_saveexec_b64 s[4:5], s[2:3]
	s_cbranch_execz .LBB7_26
; %bb.23:
	v_mul_f32_e32 v4, s23, v1
	s_and_b64 vcc, exec, s[0:1]
	v_lshl_add_u64 v[0:1], v[6:7], 2, v[2:3]
	s_cbranch_vccnz .LBB7_25
; %bb.24:
	global_load_dword v2, v[0:1], off
	s_waitcnt vmcnt(0)
	v_fmac_f32_e32 v4, s22, v2
.LBB7_25:
	global_store_dword v[0:1], v4, off
.LBB7_26:
	s_endpgm
	.section	.rodata,"a",@progbits
	.p2align	6, 0x0
	.amdhsa_kernel _ZL29rocblas_internal_gemmt_kernelIiLi16ELi32ELi8ELc67ELc84ELc85ELb0ELb0EfPKfS1_PfEviT_T9_T10_S3_lS5_S3_lS4_T11_S3_li
		.amdhsa_group_segment_fixed_size 2048
		.amdhsa_private_segment_fixed_size 0
		.amdhsa_kernarg_size 100
		.amdhsa_user_sgpr_count 2
		.amdhsa_user_sgpr_dispatch_ptr 0
		.amdhsa_user_sgpr_queue_ptr 0
		.amdhsa_user_sgpr_kernarg_segment_ptr 1
		.amdhsa_user_sgpr_dispatch_id 0
		.amdhsa_user_sgpr_kernarg_preload_length 0
		.amdhsa_user_sgpr_kernarg_preload_offset 0
		.amdhsa_user_sgpr_private_segment_size 0
		.amdhsa_uses_dynamic_stack 0
		.amdhsa_enable_private_segment 0
		.amdhsa_system_sgpr_workgroup_id_x 1
		.amdhsa_system_sgpr_workgroup_id_y 1
		.amdhsa_system_sgpr_workgroup_id_z 1
		.amdhsa_system_sgpr_workgroup_info 0
		.amdhsa_system_vgpr_workitem_id 1
		.amdhsa_next_free_vgpr 48
		.amdhsa_next_free_sgpr 26
		.amdhsa_accum_offset 48
		.amdhsa_reserve_vcc 1
		.amdhsa_float_round_mode_32 0
		.amdhsa_float_round_mode_16_64 0
		.amdhsa_float_denorm_mode_32 3
		.amdhsa_float_denorm_mode_16_64 3
		.amdhsa_dx10_clamp 1
		.amdhsa_ieee_mode 1
		.amdhsa_fp16_overflow 0
		.amdhsa_tg_split 0
		.amdhsa_exception_fp_ieee_invalid_op 0
		.amdhsa_exception_fp_denorm_src 0
		.amdhsa_exception_fp_ieee_div_zero 0
		.amdhsa_exception_fp_ieee_overflow 0
		.amdhsa_exception_fp_ieee_underflow 0
		.amdhsa_exception_fp_ieee_inexact 0
		.amdhsa_exception_int_div_zero 0
	.end_amdhsa_kernel
	.section	.text._ZL29rocblas_internal_gemmt_kernelIiLi16ELi32ELi8ELc67ELc84ELc85ELb0ELb0EfPKfS1_PfEviT_T9_T10_S3_lS5_S3_lS4_T11_S3_li,"axG",@progbits,_ZL29rocblas_internal_gemmt_kernelIiLi16ELi32ELi8ELc67ELc84ELc85ELb0ELb0EfPKfS1_PfEviT_T9_T10_S3_lS5_S3_lS4_T11_S3_li,comdat
.Lfunc_end7:
	.size	_ZL29rocblas_internal_gemmt_kernelIiLi16ELi32ELi8ELc67ELc84ELc85ELb0ELb0EfPKfS1_PfEviT_T9_T10_S3_lS5_S3_lS4_T11_S3_li, .Lfunc_end7-_ZL29rocblas_internal_gemmt_kernelIiLi16ELi32ELi8ELc67ELc84ELc85ELb0ELb0EfPKfS1_PfEviT_T9_T10_S3_lS5_S3_lS4_T11_S3_li
                                        ; -- End function
	.set _ZL29rocblas_internal_gemmt_kernelIiLi16ELi32ELi8ELc67ELc84ELc85ELb0ELb0EfPKfS1_PfEviT_T9_T10_S3_lS5_S3_lS4_T11_S3_li.num_vgpr, 48
	.set _ZL29rocblas_internal_gemmt_kernelIiLi16ELi32ELi8ELc67ELc84ELc85ELb0ELb0EfPKfS1_PfEviT_T9_T10_S3_lS5_S3_lS4_T11_S3_li.num_agpr, 0
	.set _ZL29rocblas_internal_gemmt_kernelIiLi16ELi32ELi8ELc67ELc84ELc85ELb0ELb0EfPKfS1_PfEviT_T9_T10_S3_lS5_S3_lS4_T11_S3_li.numbered_sgpr, 26
	.set _ZL29rocblas_internal_gemmt_kernelIiLi16ELi32ELi8ELc67ELc84ELc85ELb0ELb0EfPKfS1_PfEviT_T9_T10_S3_lS5_S3_lS4_T11_S3_li.num_named_barrier, 0
	.set _ZL29rocblas_internal_gemmt_kernelIiLi16ELi32ELi8ELc67ELc84ELc85ELb0ELb0EfPKfS1_PfEviT_T9_T10_S3_lS5_S3_lS4_T11_S3_li.private_seg_size, 0
	.set _ZL29rocblas_internal_gemmt_kernelIiLi16ELi32ELi8ELc67ELc84ELc85ELb0ELb0EfPKfS1_PfEviT_T9_T10_S3_lS5_S3_lS4_T11_S3_li.uses_vcc, 1
	.set _ZL29rocblas_internal_gemmt_kernelIiLi16ELi32ELi8ELc67ELc84ELc85ELb0ELb0EfPKfS1_PfEviT_T9_T10_S3_lS5_S3_lS4_T11_S3_li.uses_flat_scratch, 0
	.set _ZL29rocblas_internal_gemmt_kernelIiLi16ELi32ELi8ELc67ELc84ELc85ELb0ELb0EfPKfS1_PfEviT_T9_T10_S3_lS5_S3_lS4_T11_S3_li.has_dyn_sized_stack, 0
	.set _ZL29rocblas_internal_gemmt_kernelIiLi16ELi32ELi8ELc67ELc84ELc85ELb0ELb0EfPKfS1_PfEviT_T9_T10_S3_lS5_S3_lS4_T11_S3_li.has_recursion, 0
	.set _ZL29rocblas_internal_gemmt_kernelIiLi16ELi32ELi8ELc67ELc84ELc85ELb0ELb0EfPKfS1_PfEviT_T9_T10_S3_lS5_S3_lS4_T11_S3_li.has_indirect_call, 0
	.section	.AMDGPU.csdata,"",@progbits
; Kernel info:
; codeLenInByte = 1256
; TotalNumSgprs: 32
; NumVgprs: 48
; NumAgprs: 0
; TotalNumVgprs: 48
; ScratchSize: 0
; MemoryBound: 0
; FloatMode: 240
; IeeeMode: 1
; LDSByteSize: 2048 bytes/workgroup (compile time only)
; SGPRBlocks: 3
; VGPRBlocks: 5
; NumSGPRsForWavesPerEU: 32
; NumVGPRsForWavesPerEU: 48
; AccumOffset: 48
; Occupancy: 8
; WaveLimiterHint : 0
; COMPUTE_PGM_RSRC2:SCRATCH_EN: 0
; COMPUTE_PGM_RSRC2:USER_SGPR: 2
; COMPUTE_PGM_RSRC2:TRAP_HANDLER: 0
; COMPUTE_PGM_RSRC2:TGID_X_EN: 1
; COMPUTE_PGM_RSRC2:TGID_Y_EN: 1
; COMPUTE_PGM_RSRC2:TGID_Z_EN: 1
; COMPUTE_PGM_RSRC2:TIDIG_COMP_CNT: 1
; COMPUTE_PGM_RSRC3_GFX90A:ACCUM_OFFSET: 11
; COMPUTE_PGM_RSRC3_GFX90A:TG_SPLIT: 0
	.section	.text._ZL29rocblas_internal_gemmt_kernelIiLi16ELi32ELi8ELc67ELc67ELc85ELb0ELb0EfPKfS1_PfEviT_T9_T10_S3_lS5_S3_lS4_T11_S3_li,"axG",@progbits,_ZL29rocblas_internal_gemmt_kernelIiLi16ELi32ELi8ELc67ELc67ELc85ELb0ELb0EfPKfS1_PfEviT_T9_T10_S3_lS5_S3_lS4_T11_S3_li,comdat
	.globl	_ZL29rocblas_internal_gemmt_kernelIiLi16ELi32ELi8ELc67ELc67ELc85ELb0ELb0EfPKfS1_PfEviT_T9_T10_S3_lS5_S3_lS4_T11_S3_li ; -- Begin function _ZL29rocblas_internal_gemmt_kernelIiLi16ELi32ELi8ELc67ELc67ELc85ELb0ELb0EfPKfS1_PfEviT_T9_T10_S3_lS5_S3_lS4_T11_S3_li
	.p2align	8
	.type	_ZL29rocblas_internal_gemmt_kernelIiLi16ELi32ELi8ELc67ELc67ELc85ELb0ELb0EfPKfS1_PfEviT_T9_T10_S3_lS5_S3_lS4_T11_S3_li,@function
_ZL29rocblas_internal_gemmt_kernelIiLi16ELi32ELi8ELc67ELc67ELc85ELb0ELb0EfPKfS1_PfEviT_T9_T10_S3_lS5_S3_lS4_T11_S3_li: ; @_ZL29rocblas_internal_gemmt_kernelIiLi16ELi32ELi8ELc67ELc67ELc85ELb0ELb0EfPKfS1_PfEviT_T9_T10_S3_lS5_S3_lS4_T11_S3_li
; %bb.0:
	s_load_dwordx4 s[8:11], s[0:1], 0x38
	s_load_dwordx4 s[12:15], s[0:1], 0x8
	s_waitcnt lgkmcnt(0)
	s_load_dword s22, s[10:11], 0x0
	s_load_dwordx2 s[20:21], s[0:1], 0x0
	s_load_dword s23, s[12:13], 0x0
	s_waitcnt lgkmcnt(0)
	v_cmp_neq_f32_e64 s[6:7], s22, 1.0
	s_and_b64 vcc, exec, s[6:7]
	s_cbranch_vccnz .LBB8_2
; %bb.1:
	s_cmp_lg_u32 s21, 0
	s_cselect_b64 s[6:7], -1, 0
	v_cmp_neq_f32_e64 s[10:11], s23, 0
	s_and_b64 s[6:7], s[6:7], s[10:11]
.LBB8_2:
	s_andn2_b64 vcc, exec, s[6:7]
	s_cbranch_vccnz .LBB8_26
; %bb.3:
	s_load_dwordx2 s[10:11], s[0:1], 0x48
	s_lshl_b32 s5, s2, 5
	s_lshl_b32 s12, s3, 5
	s_cmp_lt_i32 s21, 1
	v_cmp_eq_f32_e64 s[2:3], s23, 0
	s_cselect_b64 s[6:7], -1, 0
	v_mov_b32_e32 v3, 0
	s_or_b64 s[2:3], s[2:3], s[6:7]
	v_and_b32_e32 v9, 0x3ff, v0
	v_bfe_u32 v8, v0, 10, 10
	s_mov_b32 s13, 0
	s_and_b64 vcc, exec, s[2:3]
	v_mov_b32_e32 v2, v3
	v_mov_b32_e32 v1, v3
	;; [unrolled: 1-line block ×3, first 2 shown]
	s_cbranch_vccnz .LBB8_10
; %bb.4:
	v_lshl_add_u32 v0, v8, 4, v9
	v_lshrrev_b32_e32 v11, 5, v0
	v_lshrrev_b32_e32 v1, 3, v0
	v_and_b32_e32 v0, 31, v0
	v_or_b32_e32 v3, s5, v0
	s_load_dword s24, s[0:1], 0x18
	s_load_dword s6, s[0:1], 0x30
	s_load_dwordx4 s[16:19], s[0:1], 0x20
	v_and_b32_e32 v10, 7, v9
	v_cmp_gt_i32_e32 vcc, s20, v3
	v_lshlrev_b32_e32 v3, 2, v0
	v_lshl_or_b32 v12, v11, 7, v3
	v_lshlrev_b32_e32 v3, 2, v10
	v_add_u32_e32 v2, s12, v1
	v_lshl_or_b32 v1, v1, 5, v3
	v_add_u32_e32 v13, 0x400, v1
	v_mov_b32_e32 v1, 0x400
	v_add_u32_e32 v0, s5, v0
	v_lshl_add_u32 v15, v8, 5, v1
	s_waitcnt lgkmcnt(0)
	v_mad_i64_i32 v[0:1], s[24:25], s24, v0, 0
	s_mul_i32 s17, s17, s4
	s_mul_hi_u32 s24, s16, s4
	s_add_i32 s17, s24, s17
	s_mul_i32 s16, s16, s4
	s_lshl_b64 s[16:17], s[16:17], 2
	v_lshl_add_u64 v[4:5], v[0:1], 2, s[16:17]
	v_lshlrev_b32_e32 v0, 2, v11
	v_mov_b32_e32 v1, 0
	v_lshl_add_u64 v[4:5], v[4:5], 0, v[0:1]
	v_lshl_add_u64 v[4:5], s[14:15], 0, v[4:5]
	s_mul_i32 s9, s9, s4
	s_mul_hi_u32 s14, s8, s4
	s_add_i32 s9, s14, s9
	v_mad_i64_i32 v[6:7], s[14:15], s6, v10, 0
	s_mul_i32 s8, s8, s4
	v_lshlrev_b64 v[6:7], 2, v[6:7]
	v_ashrrev_i32_e32 v3, 31, v2
	v_lshl_add_u64 v[6:7], s[8:9], 2, v[6:7]
	s_ashr_i32 s7, s6, 31
	v_cmp_gt_i32_e64 s[2:3], s20, v2
	v_lshl_add_u64 v[2:3], v[2:3], 2, v[6:7]
	v_lshlrev_b32_e32 v14, 2, v9
	v_lshl_add_u64 v[6:7], s[18:19], 0, v[2:3]
	s_lshl_b64 s[8:9], s[6:7], 5
	v_mov_b32_e32 v0, v1
	v_mov_b32_e32 v2, v1
	;; [unrolled: 1-line block ×3, first 2 shown]
	s_branch .LBB8_6
.LBB8_5:                                ;   in Loop: Header=BB8_6 Depth=1
	s_or_b64 exec, exec, s[6:7]
	s_waitcnt vmcnt(0)
	ds_write_b32 v13, v16
	s_waitcnt lgkmcnt(0)
	s_barrier
	ds_read_b128 v[16:19], v15
	ds_read_b128 v[20:23], v15 offset:16
	ds_read2_b32 v[32:33], v14 offset1:16
	ds_read2_b32 v[34:35], v14 offset0:32 offset1:48
	ds_read2_b32 v[36:37], v14 offset0:64 offset1:80
	ds_read2_b32 v[38:39], v14 offset0:96 offset1:112
	ds_read2_b32 v[40:41], v14 offset0:128 offset1:144
	ds_read_b128 v[24:27], v15 offset:512
	ds_read_b128 v[28:31], v15 offset:528
	ds_read2_b32 v[42:43], v14 offset0:160 offset1:176
	ds_read2_b32 v[44:45], v14 offset0:192 offset1:208
	;; [unrolled: 1-line block ×3, first 2 shown]
	s_waitcnt lgkmcnt(9)
	v_pk_fma_f32 v[2:3], v[32:33], v[16:17], v[2:3] op_sel_hi:[1,0,1]
	s_waitcnt lgkmcnt(4)
	v_pk_fma_f32 v[0:1], v[32:33], v[24:25], v[0:1] op_sel_hi:[1,0,1]
	v_pk_fma_f32 v[2:3], v[34:35], v[16:17], v[2:3] op_sel:[0,1,0]
	v_mov_b32_e32 v16, v19
	v_pk_fma_f32 v[2:3], v[36:37], v[18:19], v[2:3] op_sel_hi:[1,0,1]
	v_pk_fma_f32 v[0:1], v[34:35], v[24:25], v[0:1] op_sel:[0,1,0]
	v_pk_fma_f32 v[2:3], v[38:39], v[16:17], v[2:3] op_sel_hi:[1,0,1]
	v_mov_b32_e32 v16, v23
	v_pk_fma_f32 v[2:3], v[40:41], v[20:21], v[2:3] op_sel_hi:[1,0,1]
	v_pk_fma_f32 v[0:1], v[36:37], v[26:27], v[0:1] op_sel_hi:[1,0,1]
	s_waitcnt lgkmcnt(2)
	v_pk_fma_f32 v[2:3], v[42:43], v[20:21], v[2:3] op_sel:[0,1,0]
	s_add_i32 s13, s13, 8
	s_waitcnt lgkmcnt(1)
	v_pk_fma_f32 v[2:3], v[44:45], v[22:23], v[2:3] op_sel_hi:[1,0,1]
	v_lshl_add_u64 v[4:5], v[4:5], 0, 32
	s_waitcnt lgkmcnt(0)
	v_pk_fma_f32 v[2:3], v[46:47], v[16:17], v[2:3] op_sel_hi:[1,0,1]
	v_mov_b32_e32 v16, v27
	v_pk_fma_f32 v[0:1], v[38:39], v[16:17], v[0:1] op_sel_hi:[1,0,1]
	v_mov_b32_e32 v16, v31
	v_pk_fma_f32 v[0:1], v[40:41], v[28:29], v[0:1] op_sel_hi:[1,0,1]
	s_cmp_lt_i32 s13, s21
	v_pk_fma_f32 v[0:1], v[42:43], v[28:29], v[0:1] op_sel:[0,1,0]
	v_lshl_add_u64 v[6:7], v[6:7], 0, s[8:9]
	v_pk_fma_f32 v[0:1], v[44:45], v[30:31], v[0:1] op_sel_hi:[1,0,1]
	s_nop 0
	v_pk_fma_f32 v[0:1], v[46:47], v[16:17], v[0:1] op_sel_hi:[1,0,1]
	s_barrier
	s_cbranch_scc0 .LBB8_10
.LBB8_6:                                ; =>This Inner Loop Header: Depth=1
	v_add_u32_e32 v16, s13, v11
	v_cmp_gt_i32_e64 s[6:7], s21, v16
	s_and_b64 s[14:15], vcc, s[6:7]
	v_mov_b32_e32 v16, 0
	s_and_saveexec_b64 s[6:7], s[14:15]
	s_cbranch_execz .LBB8_8
; %bb.7:                                ;   in Loop: Header=BB8_6 Depth=1
	global_load_dword v16, v[4:5], off
.LBB8_8:                                ;   in Loop: Header=BB8_6 Depth=1
	s_or_b64 exec, exec, s[6:7]
	s_waitcnt vmcnt(0)
	ds_write_b32 v12, v16
	v_add_u32_e32 v16, s13, v10
	v_cmp_gt_i32_e64 s[6:7], s21, v16
	s_and_b64 s[14:15], s[6:7], s[2:3]
	v_mov_b32_e32 v16, 0
	s_and_saveexec_b64 s[6:7], s[14:15]
	s_cbranch_execz .LBB8_5
; %bb.9:                                ;   in Loop: Header=BB8_6 Depth=1
	global_load_dword v16, v[6:7], off
	s_branch .LBB8_5
.LBB8_10:
	s_load_dwordx2 s[2:3], s[0:1], 0x58
	s_load_dword s8, s[0:1], 0x50
	v_add_u32_e32 v10, s12, v8
	v_add_u32_e32 v4, s5, v9
	v_cmp_le_i32_e32 vcc, v4, v10
	s_waitcnt lgkmcnt(0)
	s_mul_i32 s1, s3, s4
	s_mul_hi_u32 s3, s2, s4
	s_mul_i32 s0, s2, s4
	s_add_i32 s1, s3, s1
	s_lshl_b64 s[0:1], s[0:1], 2
	s_add_u32 s4, s10, s0
	s_addc_u32 s5, s11, s1
	v_mad_i64_i32 v[6:7], s[0:1], v10, s8, 0
	v_cmp_neq_f32_e64 s[0:1], s22, 0
	v_cmp_gt_i32_e64 s[2:3], s20, v10
	v_lshl_add_u64 v[8:9], v[6:7], 2, s[4:5]
	v_cndmask_b32_e64 v6, 0, 1, s[0:1]
	s_and_b64 s[10:11], s[2:3], vcc
	v_ashrrev_i32_e32 v5, 31, v4
	v_cmp_ne_u32_e64 s[0:1], 1, v6
	s_and_saveexec_b64 s[6:7], s[10:11]
	s_cbranch_execz .LBB8_14
; %bb.11:
	v_mul_f32_e32 v2, s23, v2
	s_and_b64 vcc, exec, s[0:1]
	v_lshl_add_u64 v[6:7], v[4:5], 2, v[8:9]
	s_cbranch_vccnz .LBB8_13
; %bb.12:
	global_load_dword v11, v[6:7], off
	s_waitcnt vmcnt(0)
	v_fmac_f32_e32 v2, s22, v11
.LBB8_13:
	global_store_dword v[6:7], v2, off
.LBB8_14:
	s_or_b64 exec, exec, s[6:7]
	v_add_u32_e32 v6, 16, v4
	v_cmp_le_i32_e32 vcc, v6, v10
	s_and_b64 s[6:7], s[2:3], vcc
	v_ashrrev_i32_e32 v7, 31, v6
	s_and_saveexec_b64 s[2:3], s[6:7]
	s_cbranch_execz .LBB8_18
; %bb.15:
	v_mul_f32_e32 v11, s23, v3
	s_and_b64 vcc, exec, s[0:1]
	v_lshl_add_u64 v[2:3], v[6:7], 2, v[8:9]
	s_cbranch_vccnz .LBB8_17
; %bb.16:
	global_load_dword v8, v[2:3], off
	s_waitcnt vmcnt(0)
	v_fmac_f32_e32 v11, s22, v8
.LBB8_17:
	global_store_dword v[2:3], v11, off
.LBB8_18:
	s_or_b64 exec, exec, s[2:3]
	v_add_u32_e32 v8, 16, v10
	v_cmp_gt_i32_e64 s[2:3], s20, v8
	v_mad_i64_i32 v[2:3], s[6:7], v8, s8, 0
	v_cmp_le_i32_e32 vcc, v4, v8
	v_lshl_add_u64 v[2:3], v[2:3], 2, s[4:5]
	s_and_b64 s[6:7], s[2:3], vcc
	s_and_saveexec_b64 s[4:5], s[6:7]
	s_cbranch_execz .LBB8_22
; %bb.19:
	v_mul_f32_e32 v0, s23, v0
	s_and_b64 vcc, exec, s[0:1]
	v_lshl_add_u64 v[4:5], v[4:5], 2, v[2:3]
	s_cbranch_vccnz .LBB8_21
; %bb.20:
	global_load_dword v9, v[4:5], off
	s_waitcnt vmcnt(0)
	v_fmac_f32_e32 v0, s22, v9
.LBB8_21:
	global_store_dword v[4:5], v0, off
.LBB8_22:
	s_or_b64 exec, exec, s[4:5]
	v_cmp_le_i32_e32 vcc, v6, v8
	s_and_b64 s[2:3], s[2:3], vcc
	s_and_saveexec_b64 s[4:5], s[2:3]
	s_cbranch_execz .LBB8_26
; %bb.23:
	v_mul_f32_e32 v4, s23, v1
	s_and_b64 vcc, exec, s[0:1]
	v_lshl_add_u64 v[0:1], v[6:7], 2, v[2:3]
	s_cbranch_vccnz .LBB8_25
; %bb.24:
	global_load_dword v2, v[0:1], off
	s_waitcnt vmcnt(0)
	v_fmac_f32_e32 v4, s22, v2
.LBB8_25:
	global_store_dword v[0:1], v4, off
.LBB8_26:
	s_endpgm
	.section	.rodata,"a",@progbits
	.p2align	6, 0x0
	.amdhsa_kernel _ZL29rocblas_internal_gemmt_kernelIiLi16ELi32ELi8ELc67ELc67ELc85ELb0ELb0EfPKfS1_PfEviT_T9_T10_S3_lS5_S3_lS4_T11_S3_li
		.amdhsa_group_segment_fixed_size 2048
		.amdhsa_private_segment_fixed_size 0
		.amdhsa_kernarg_size 100
		.amdhsa_user_sgpr_count 2
		.amdhsa_user_sgpr_dispatch_ptr 0
		.amdhsa_user_sgpr_queue_ptr 0
		.amdhsa_user_sgpr_kernarg_segment_ptr 1
		.amdhsa_user_sgpr_dispatch_id 0
		.amdhsa_user_sgpr_kernarg_preload_length 0
		.amdhsa_user_sgpr_kernarg_preload_offset 0
		.amdhsa_user_sgpr_private_segment_size 0
		.amdhsa_uses_dynamic_stack 0
		.amdhsa_enable_private_segment 0
		.amdhsa_system_sgpr_workgroup_id_x 1
		.amdhsa_system_sgpr_workgroup_id_y 1
		.amdhsa_system_sgpr_workgroup_id_z 1
		.amdhsa_system_sgpr_workgroup_info 0
		.amdhsa_system_vgpr_workitem_id 1
		.amdhsa_next_free_vgpr 48
		.amdhsa_next_free_sgpr 26
		.amdhsa_accum_offset 48
		.amdhsa_reserve_vcc 1
		.amdhsa_float_round_mode_32 0
		.amdhsa_float_round_mode_16_64 0
		.amdhsa_float_denorm_mode_32 3
		.amdhsa_float_denorm_mode_16_64 3
		.amdhsa_dx10_clamp 1
		.amdhsa_ieee_mode 1
		.amdhsa_fp16_overflow 0
		.amdhsa_tg_split 0
		.amdhsa_exception_fp_ieee_invalid_op 0
		.amdhsa_exception_fp_denorm_src 0
		.amdhsa_exception_fp_ieee_div_zero 0
		.amdhsa_exception_fp_ieee_overflow 0
		.amdhsa_exception_fp_ieee_underflow 0
		.amdhsa_exception_fp_ieee_inexact 0
		.amdhsa_exception_int_div_zero 0
	.end_amdhsa_kernel
	.section	.text._ZL29rocblas_internal_gemmt_kernelIiLi16ELi32ELi8ELc67ELc67ELc85ELb0ELb0EfPKfS1_PfEviT_T9_T10_S3_lS5_S3_lS4_T11_S3_li,"axG",@progbits,_ZL29rocblas_internal_gemmt_kernelIiLi16ELi32ELi8ELc67ELc67ELc85ELb0ELb0EfPKfS1_PfEviT_T9_T10_S3_lS5_S3_lS4_T11_S3_li,comdat
.Lfunc_end8:
	.size	_ZL29rocblas_internal_gemmt_kernelIiLi16ELi32ELi8ELc67ELc67ELc85ELb0ELb0EfPKfS1_PfEviT_T9_T10_S3_lS5_S3_lS4_T11_S3_li, .Lfunc_end8-_ZL29rocblas_internal_gemmt_kernelIiLi16ELi32ELi8ELc67ELc67ELc85ELb0ELb0EfPKfS1_PfEviT_T9_T10_S3_lS5_S3_lS4_T11_S3_li
                                        ; -- End function
	.set _ZL29rocblas_internal_gemmt_kernelIiLi16ELi32ELi8ELc67ELc67ELc85ELb0ELb0EfPKfS1_PfEviT_T9_T10_S3_lS5_S3_lS4_T11_S3_li.num_vgpr, 48
	.set _ZL29rocblas_internal_gemmt_kernelIiLi16ELi32ELi8ELc67ELc67ELc85ELb0ELb0EfPKfS1_PfEviT_T9_T10_S3_lS5_S3_lS4_T11_S3_li.num_agpr, 0
	.set _ZL29rocblas_internal_gemmt_kernelIiLi16ELi32ELi8ELc67ELc67ELc85ELb0ELb0EfPKfS1_PfEviT_T9_T10_S3_lS5_S3_lS4_T11_S3_li.numbered_sgpr, 26
	.set _ZL29rocblas_internal_gemmt_kernelIiLi16ELi32ELi8ELc67ELc67ELc85ELb0ELb0EfPKfS1_PfEviT_T9_T10_S3_lS5_S3_lS4_T11_S3_li.num_named_barrier, 0
	.set _ZL29rocblas_internal_gemmt_kernelIiLi16ELi32ELi8ELc67ELc67ELc85ELb0ELb0EfPKfS1_PfEviT_T9_T10_S3_lS5_S3_lS4_T11_S3_li.private_seg_size, 0
	.set _ZL29rocblas_internal_gemmt_kernelIiLi16ELi32ELi8ELc67ELc67ELc85ELb0ELb0EfPKfS1_PfEviT_T9_T10_S3_lS5_S3_lS4_T11_S3_li.uses_vcc, 1
	.set _ZL29rocblas_internal_gemmt_kernelIiLi16ELi32ELi8ELc67ELc67ELc85ELb0ELb0EfPKfS1_PfEviT_T9_T10_S3_lS5_S3_lS4_T11_S3_li.uses_flat_scratch, 0
	.set _ZL29rocblas_internal_gemmt_kernelIiLi16ELi32ELi8ELc67ELc67ELc85ELb0ELb0EfPKfS1_PfEviT_T9_T10_S3_lS5_S3_lS4_T11_S3_li.has_dyn_sized_stack, 0
	.set _ZL29rocblas_internal_gemmt_kernelIiLi16ELi32ELi8ELc67ELc67ELc85ELb0ELb0EfPKfS1_PfEviT_T9_T10_S3_lS5_S3_lS4_T11_S3_li.has_recursion, 0
	.set _ZL29rocblas_internal_gemmt_kernelIiLi16ELi32ELi8ELc67ELc67ELc85ELb0ELb0EfPKfS1_PfEviT_T9_T10_S3_lS5_S3_lS4_T11_S3_li.has_indirect_call, 0
	.section	.AMDGPU.csdata,"",@progbits
; Kernel info:
; codeLenInByte = 1256
; TotalNumSgprs: 32
; NumVgprs: 48
; NumAgprs: 0
; TotalNumVgprs: 48
; ScratchSize: 0
; MemoryBound: 0
; FloatMode: 240
; IeeeMode: 1
; LDSByteSize: 2048 bytes/workgroup (compile time only)
; SGPRBlocks: 3
; VGPRBlocks: 5
; NumSGPRsForWavesPerEU: 32
; NumVGPRsForWavesPerEU: 48
; AccumOffset: 48
; Occupancy: 8
; WaveLimiterHint : 0
; COMPUTE_PGM_RSRC2:SCRATCH_EN: 0
; COMPUTE_PGM_RSRC2:USER_SGPR: 2
; COMPUTE_PGM_RSRC2:TRAP_HANDLER: 0
; COMPUTE_PGM_RSRC2:TGID_X_EN: 1
; COMPUTE_PGM_RSRC2:TGID_Y_EN: 1
; COMPUTE_PGM_RSRC2:TGID_Z_EN: 1
; COMPUTE_PGM_RSRC2:TIDIG_COMP_CNT: 1
; COMPUTE_PGM_RSRC3_GFX90A:ACCUM_OFFSET: 11
; COMPUTE_PGM_RSRC3_GFX90A:TG_SPLIT: 0
	.section	.text._ZL29rocblas_internal_gemmt_kernelIiLi16ELi32ELi8ELc78ELc78ELc76ELb0ELb0EfPKfS1_PfEviT_T9_T10_S3_lS5_S3_lS4_T11_S3_li,"axG",@progbits,_ZL29rocblas_internal_gemmt_kernelIiLi16ELi32ELi8ELc78ELc78ELc76ELb0ELb0EfPKfS1_PfEviT_T9_T10_S3_lS5_S3_lS4_T11_S3_li,comdat
	.globl	_ZL29rocblas_internal_gemmt_kernelIiLi16ELi32ELi8ELc78ELc78ELc76ELb0ELb0EfPKfS1_PfEviT_T9_T10_S3_lS5_S3_lS4_T11_S3_li ; -- Begin function _ZL29rocblas_internal_gemmt_kernelIiLi16ELi32ELi8ELc78ELc78ELc76ELb0ELb0EfPKfS1_PfEviT_T9_T10_S3_lS5_S3_lS4_T11_S3_li
	.p2align	8
	.type	_ZL29rocblas_internal_gemmt_kernelIiLi16ELi32ELi8ELc78ELc78ELc76ELb0ELb0EfPKfS1_PfEviT_T9_T10_S3_lS5_S3_lS4_T11_S3_li,@function
_ZL29rocblas_internal_gemmt_kernelIiLi16ELi32ELi8ELc78ELc78ELc76ELb0ELb0EfPKfS1_PfEviT_T9_T10_S3_lS5_S3_lS4_T11_S3_li: ; @_ZL29rocblas_internal_gemmt_kernelIiLi16ELi32ELi8ELc78ELc78ELc76ELb0ELb0EfPKfS1_PfEviT_T9_T10_S3_lS5_S3_lS4_T11_S3_li
; %bb.0:
	s_load_dwordx4 s[8:11], s[0:1], 0x38
	s_load_dwordx4 s[12:15], s[0:1], 0x8
	s_waitcnt lgkmcnt(0)
	s_load_dword s22, s[10:11], 0x0
	s_load_dwordx2 s[20:21], s[0:1], 0x0
	s_load_dword s23, s[12:13], 0x0
	s_waitcnt lgkmcnt(0)
	v_cmp_neq_f32_e64 s[6:7], s22, 1.0
	s_and_b64 vcc, exec, s[6:7]
	s_cbranch_vccnz .LBB9_2
; %bb.1:
	s_cmp_lg_u32 s21, 0
	s_cselect_b64 s[6:7], -1, 0
	v_cmp_neq_f32_e64 s[10:11], s23, 0
	s_and_b64 s[6:7], s[6:7], s[10:11]
.LBB9_2:
	s_andn2_b64 vcc, exec, s[6:7]
	s_cbranch_vccnz .LBB9_26
; %bb.3:
	s_load_dwordx2 s[10:11], s[0:1], 0x48
	s_lshl_b32 s24, s2, 5
	s_lshl_b32 s5, s3, 5
	s_cmp_lt_i32 s21, 1
	v_cmp_eq_f32_e64 s[2:3], s23, 0
	s_cselect_b64 s[6:7], -1, 0
	v_mov_b32_e32 v3, 0
	s_or_b64 s[2:3], s[2:3], s[6:7]
	v_and_b32_e32 v9, 0x3ff, v0
	v_bfe_u32 v8, v0, 10, 10
	s_mov_b32 s25, 0
	s_and_b64 vcc, exec, s[2:3]
	v_mov_b32_e32 v2, v3
	v_mov_b32_e32 v1, v3
	;; [unrolled: 1-line block ×3, first 2 shown]
	s_cbranch_vccnz .LBB9_10
; %bb.4:
	s_load_dword s6, s[0:1], 0x18
	s_load_dwordx4 s[16:19], s[0:1], 0x20
	s_load_dword s26, s[0:1], 0x30
	v_lshl_add_u32 v0, v8, 4, v9
	v_lshrrev_b32_e32 v11, 5, v0
	v_and_b32_e32 v4, 31, v0
	s_waitcnt lgkmcnt(0)
	v_mad_i64_i32 v[2:3], s[12:13], v11, s6, 0
	s_mul_i32 s12, s17, s4
	s_mul_hi_u32 s13, s16, s4
	v_lshrrev_b32_e32 v1, 3, v0
	v_or_b32_e32 v0, s24, v4
	s_add_i32 s13, s13, s12
	s_mul_i32 s12, s16, s4
	v_cmp_gt_i32_e32 vcc, s20, v0
	v_lshlrev_b32_e32 v0, 2, v4
	s_lshl_b64 s[12:13], s[12:13], 2
	v_add_u32_e32 v4, s24, v4
	v_lshl_add_u64 v[2:3], v[2:3], 2, s[12:13]
	v_ashrrev_i32_e32 v5, 31, v4
	s_ashr_i32 s7, s6, 31
	v_add_u32_e32 v6, s5, v1
	v_lshl_add_u64 v[2:3], v[4:5], 2, v[2:3]
	v_and_b32_e32 v10, 7, v9
	v_lshl_add_u64 v[4:5], s[14:15], 0, v[2:3]
	s_lshl_b64 s[12:13], s[6:7], 5
	v_mad_i64_i32 v[2:3], s[6:7], s26, v6, 0
	v_lshl_or_b32 v12, v11, 7, v0
	v_lshlrev_b32_e32 v0, 2, v10
	s_mul_i32 s6, s9, s4
	s_mul_hi_u32 s7, s8, s4
	v_lshl_or_b32 v1, v1, 5, v0
	s_add_i32 s7, s7, s6
	s_mul_i32 s6, s8, s4
	v_add_u32_e32 v13, 0x400, v1
	v_mov_b32_e32 v1, 0x400
	s_lshl_b64 s[6:7], s[6:7], 2
	v_lshl_add_u32 v15, v8, 5, v1
	v_lshl_add_u64 v[2:3], v[2:3], 2, s[6:7]
	v_mov_b32_e32 v1, 0
	v_lshl_add_u64 v[2:3], v[2:3], 0, v[0:1]
	v_cmp_gt_i32_e64 s[2:3], s20, v6
	v_lshlrev_b32_e32 v14, 2, v9
	v_lshl_add_u64 v[6:7], s[18:19], 0, v[2:3]
	v_mov_b32_e32 v0, v1
	v_mov_b32_e32 v2, v1
	;; [unrolled: 1-line block ×3, first 2 shown]
	s_branch .LBB9_6
.LBB9_5:                                ;   in Loop: Header=BB9_6 Depth=1
	s_or_b64 exec, exec, s[6:7]
	s_waitcnt vmcnt(0)
	ds_write_b32 v13, v16
	s_waitcnt lgkmcnt(0)
	s_barrier
	ds_read_b128 v[16:19], v15
	ds_read_b128 v[20:23], v15 offset:16
	ds_read2_b32 v[32:33], v14 offset1:16
	ds_read2_b32 v[34:35], v14 offset0:32 offset1:48
	ds_read2_b32 v[36:37], v14 offset0:64 offset1:80
	;; [unrolled: 1-line block ×4, first 2 shown]
	ds_read_b128 v[24:27], v15 offset:512
	ds_read_b128 v[28:31], v15 offset:528
	ds_read2_b32 v[42:43], v14 offset0:160 offset1:176
	ds_read2_b32 v[44:45], v14 offset0:192 offset1:208
	;; [unrolled: 1-line block ×3, first 2 shown]
	s_waitcnt lgkmcnt(9)
	v_pk_fma_f32 v[2:3], v[32:33], v[16:17], v[2:3] op_sel_hi:[1,0,1]
	s_waitcnt lgkmcnt(4)
	v_pk_fma_f32 v[0:1], v[32:33], v[24:25], v[0:1] op_sel_hi:[1,0,1]
	v_pk_fma_f32 v[2:3], v[34:35], v[16:17], v[2:3] op_sel:[0,1,0]
	v_mov_b32_e32 v16, v19
	v_pk_fma_f32 v[2:3], v[36:37], v[18:19], v[2:3] op_sel_hi:[1,0,1]
	v_pk_fma_f32 v[0:1], v[34:35], v[24:25], v[0:1] op_sel:[0,1,0]
	v_pk_fma_f32 v[2:3], v[38:39], v[16:17], v[2:3] op_sel_hi:[1,0,1]
	v_mov_b32_e32 v16, v23
	v_pk_fma_f32 v[2:3], v[40:41], v[20:21], v[2:3] op_sel_hi:[1,0,1]
	v_pk_fma_f32 v[0:1], v[36:37], v[26:27], v[0:1] op_sel_hi:[1,0,1]
	s_waitcnt lgkmcnt(2)
	v_pk_fma_f32 v[2:3], v[42:43], v[20:21], v[2:3] op_sel:[0,1,0]
	s_add_i32 s25, s25, 8
	s_waitcnt lgkmcnt(1)
	v_pk_fma_f32 v[2:3], v[44:45], v[22:23], v[2:3] op_sel_hi:[1,0,1]
	v_lshl_add_u64 v[4:5], v[4:5], 0, s[12:13]
	s_waitcnt lgkmcnt(0)
	v_pk_fma_f32 v[2:3], v[46:47], v[16:17], v[2:3] op_sel_hi:[1,0,1]
	v_mov_b32_e32 v16, v27
	v_pk_fma_f32 v[0:1], v[38:39], v[16:17], v[0:1] op_sel_hi:[1,0,1]
	v_mov_b32_e32 v16, v31
	v_pk_fma_f32 v[0:1], v[40:41], v[28:29], v[0:1] op_sel_hi:[1,0,1]
	s_cmp_lt_i32 s25, s21
	v_pk_fma_f32 v[0:1], v[42:43], v[28:29], v[0:1] op_sel:[0,1,0]
	v_lshl_add_u64 v[6:7], v[6:7], 0, 32
	v_pk_fma_f32 v[0:1], v[44:45], v[30:31], v[0:1] op_sel_hi:[1,0,1]
	s_nop 0
	v_pk_fma_f32 v[0:1], v[46:47], v[16:17], v[0:1] op_sel_hi:[1,0,1]
	s_barrier
	s_cbranch_scc0 .LBB9_10
.LBB9_6:                                ; =>This Inner Loop Header: Depth=1
	v_add_u32_e32 v16, s25, v11
	v_cmp_gt_i32_e64 s[6:7], s21, v16
	s_and_b64 s[8:9], vcc, s[6:7]
	v_mov_b32_e32 v16, 0
	s_and_saveexec_b64 s[6:7], s[8:9]
	s_cbranch_execz .LBB9_8
; %bb.7:                                ;   in Loop: Header=BB9_6 Depth=1
	global_load_dword v16, v[4:5], off
.LBB9_8:                                ;   in Loop: Header=BB9_6 Depth=1
	s_or_b64 exec, exec, s[6:7]
	s_waitcnt vmcnt(0)
	ds_write_b32 v12, v16
	v_add_u32_e32 v16, s25, v10
	v_cmp_gt_i32_e64 s[6:7], s21, v16
	s_and_b64 s[8:9], s[6:7], s[2:3]
	v_mov_b32_e32 v16, 0
	s_and_saveexec_b64 s[6:7], s[8:9]
	s_cbranch_execz .LBB9_5
; %bb.9:                                ;   in Loop: Header=BB9_6 Depth=1
	global_load_dword v16, v[6:7], off
	s_branch .LBB9_5
.LBB9_10:
	s_load_dwordx2 s[2:3], s[0:1], 0x58
	s_load_dword s12, s[0:1], 0x50
	v_add_u32_e32 v10, s5, v8
	v_add_u32_e32 v4, s24, v9
	v_cmp_le_i32_e32 vcc, v10, v4
	s_waitcnt lgkmcnt(0)
	s_mul_i32 s1, s3, s4
	s_mul_hi_u32 s3, s2, s4
	s_mul_i32 s0, s2, s4
	s_add_i32 s1, s3, s1
	s_lshl_b64 s[0:1], s[0:1], 2
	s_add_u32 s6, s10, s0
	s_addc_u32 s7, s11, s1
	v_mad_i64_i32 v[6:7], s[0:1], v10, s12, 0
	v_cmp_neq_f32_e64 s[0:1], s22, 0
	v_lshl_add_u64 v[8:9], v[6:7], 2, s[6:7]
	v_cmp_gt_i32_e64 s[2:3], s20, v4
	v_cndmask_b32_e64 v6, 0, 1, s[0:1]
	s_and_b64 s[8:9], vcc, s[2:3]
	v_ashrrev_i32_e32 v5, 31, v4
	v_cmp_ne_u32_e64 s[0:1], 1, v6
	s_and_saveexec_b64 s[4:5], s[8:9]
	s_cbranch_execz .LBB9_14
; %bb.11:
	v_mul_f32_e32 v2, s23, v2
	s_and_b64 vcc, exec, s[0:1]
	v_lshl_add_u64 v[6:7], v[4:5], 2, v[8:9]
	s_cbranch_vccnz .LBB9_13
; %bb.12:
	global_load_dword v11, v[6:7], off
	s_waitcnt vmcnt(0)
	v_fmac_f32_e32 v2, s22, v11
.LBB9_13:
	global_store_dword v[6:7], v2, off
.LBB9_14:
	s_or_b64 exec, exec, s[4:5]
	v_add_u32_e32 v6, 16, v4
	v_cmp_le_i32_e32 vcc, v10, v6
	v_cmp_gt_i32_e64 s[4:5], s20, v6
	s_and_b64 s[10:11], vcc, s[4:5]
	v_ashrrev_i32_e32 v7, 31, v6
	s_and_saveexec_b64 s[8:9], s[10:11]
	s_cbranch_execz .LBB9_18
; %bb.15:
	v_mul_f32_e32 v11, s23, v3
	s_and_b64 vcc, exec, s[0:1]
	v_lshl_add_u64 v[2:3], v[6:7], 2, v[8:9]
	s_cbranch_vccnz .LBB9_17
; %bb.16:
	global_load_dword v8, v[2:3], off
	s_waitcnt vmcnt(0)
	v_fmac_f32_e32 v11, s22, v8
.LBB9_17:
	global_store_dword v[2:3], v11, off
.LBB9_18:
	s_or_b64 exec, exec, s[8:9]
	v_add_u32_e32 v8, 16, v10
	v_mad_i64_i32 v[2:3], s[8:9], v8, s12, 0
	v_cmp_le_i32_e32 vcc, v8, v4
	v_lshl_add_u64 v[2:3], v[2:3], 2, s[6:7]
	s_and_b64 s[6:7], vcc, s[2:3]
	s_and_saveexec_b64 s[2:3], s[6:7]
	s_cbranch_execz .LBB9_22
; %bb.19:
	v_mul_f32_e32 v0, s23, v0
	s_and_b64 vcc, exec, s[0:1]
	v_lshl_add_u64 v[4:5], v[4:5], 2, v[2:3]
	s_cbranch_vccnz .LBB9_21
; %bb.20:
	global_load_dword v9, v[4:5], off
	s_waitcnt vmcnt(0)
	v_fmac_f32_e32 v0, s22, v9
.LBB9_21:
	global_store_dword v[4:5], v0, off
.LBB9_22:
	s_or_b64 exec, exec, s[2:3]
	v_cmp_le_i32_e32 vcc, v8, v6
	s_and_b64 s[2:3], vcc, s[4:5]
	s_and_saveexec_b64 s[4:5], s[2:3]
	s_cbranch_execz .LBB9_26
; %bb.23:
	v_mul_f32_e32 v4, s23, v1
	s_and_b64 vcc, exec, s[0:1]
	v_lshl_add_u64 v[0:1], v[6:7], 2, v[2:3]
	s_cbranch_vccnz .LBB9_25
; %bb.24:
	global_load_dword v2, v[0:1], off
	s_waitcnt vmcnt(0)
	v_fmac_f32_e32 v4, s22, v2
.LBB9_25:
	global_store_dword v[0:1], v4, off
.LBB9_26:
	s_endpgm
	.section	.rodata,"a",@progbits
	.p2align	6, 0x0
	.amdhsa_kernel _ZL29rocblas_internal_gemmt_kernelIiLi16ELi32ELi8ELc78ELc78ELc76ELb0ELb0EfPKfS1_PfEviT_T9_T10_S3_lS5_S3_lS4_T11_S3_li
		.amdhsa_group_segment_fixed_size 2048
		.amdhsa_private_segment_fixed_size 0
		.amdhsa_kernarg_size 100
		.amdhsa_user_sgpr_count 2
		.amdhsa_user_sgpr_dispatch_ptr 0
		.amdhsa_user_sgpr_queue_ptr 0
		.amdhsa_user_sgpr_kernarg_segment_ptr 1
		.amdhsa_user_sgpr_dispatch_id 0
		.amdhsa_user_sgpr_kernarg_preload_length 0
		.amdhsa_user_sgpr_kernarg_preload_offset 0
		.amdhsa_user_sgpr_private_segment_size 0
		.amdhsa_uses_dynamic_stack 0
		.amdhsa_enable_private_segment 0
		.amdhsa_system_sgpr_workgroup_id_x 1
		.amdhsa_system_sgpr_workgroup_id_y 1
		.amdhsa_system_sgpr_workgroup_id_z 1
		.amdhsa_system_sgpr_workgroup_info 0
		.amdhsa_system_vgpr_workitem_id 1
		.amdhsa_next_free_vgpr 48
		.amdhsa_next_free_sgpr 27
		.amdhsa_accum_offset 48
		.amdhsa_reserve_vcc 1
		.amdhsa_float_round_mode_32 0
		.amdhsa_float_round_mode_16_64 0
		.amdhsa_float_denorm_mode_32 3
		.amdhsa_float_denorm_mode_16_64 3
		.amdhsa_dx10_clamp 1
		.amdhsa_ieee_mode 1
		.amdhsa_fp16_overflow 0
		.amdhsa_tg_split 0
		.amdhsa_exception_fp_ieee_invalid_op 0
		.amdhsa_exception_fp_denorm_src 0
		.amdhsa_exception_fp_ieee_div_zero 0
		.amdhsa_exception_fp_ieee_overflow 0
		.amdhsa_exception_fp_ieee_underflow 0
		.amdhsa_exception_fp_ieee_inexact 0
		.amdhsa_exception_int_div_zero 0
	.end_amdhsa_kernel
	.section	.text._ZL29rocblas_internal_gemmt_kernelIiLi16ELi32ELi8ELc78ELc78ELc76ELb0ELb0EfPKfS1_PfEviT_T9_T10_S3_lS5_S3_lS4_T11_S3_li,"axG",@progbits,_ZL29rocblas_internal_gemmt_kernelIiLi16ELi32ELi8ELc78ELc78ELc76ELb0ELb0EfPKfS1_PfEviT_T9_T10_S3_lS5_S3_lS4_T11_S3_li,comdat
.Lfunc_end9:
	.size	_ZL29rocblas_internal_gemmt_kernelIiLi16ELi32ELi8ELc78ELc78ELc76ELb0ELb0EfPKfS1_PfEviT_T9_T10_S3_lS5_S3_lS4_T11_S3_li, .Lfunc_end9-_ZL29rocblas_internal_gemmt_kernelIiLi16ELi32ELi8ELc78ELc78ELc76ELb0ELb0EfPKfS1_PfEviT_T9_T10_S3_lS5_S3_lS4_T11_S3_li
                                        ; -- End function
	.set _ZL29rocblas_internal_gemmt_kernelIiLi16ELi32ELi8ELc78ELc78ELc76ELb0ELb0EfPKfS1_PfEviT_T9_T10_S3_lS5_S3_lS4_T11_S3_li.num_vgpr, 48
	.set _ZL29rocblas_internal_gemmt_kernelIiLi16ELi32ELi8ELc78ELc78ELc76ELb0ELb0EfPKfS1_PfEviT_T9_T10_S3_lS5_S3_lS4_T11_S3_li.num_agpr, 0
	.set _ZL29rocblas_internal_gemmt_kernelIiLi16ELi32ELi8ELc78ELc78ELc76ELb0ELb0EfPKfS1_PfEviT_T9_T10_S3_lS5_S3_lS4_T11_S3_li.numbered_sgpr, 27
	.set _ZL29rocblas_internal_gemmt_kernelIiLi16ELi32ELi8ELc78ELc78ELc76ELb0ELb0EfPKfS1_PfEviT_T9_T10_S3_lS5_S3_lS4_T11_S3_li.num_named_barrier, 0
	.set _ZL29rocblas_internal_gemmt_kernelIiLi16ELi32ELi8ELc78ELc78ELc76ELb0ELb0EfPKfS1_PfEviT_T9_T10_S3_lS5_S3_lS4_T11_S3_li.private_seg_size, 0
	.set _ZL29rocblas_internal_gemmt_kernelIiLi16ELi32ELi8ELc78ELc78ELc76ELb0ELb0EfPKfS1_PfEviT_T9_T10_S3_lS5_S3_lS4_T11_S3_li.uses_vcc, 1
	.set _ZL29rocblas_internal_gemmt_kernelIiLi16ELi32ELi8ELc78ELc78ELc76ELb0ELb0EfPKfS1_PfEviT_T9_T10_S3_lS5_S3_lS4_T11_S3_li.uses_flat_scratch, 0
	.set _ZL29rocblas_internal_gemmt_kernelIiLi16ELi32ELi8ELc78ELc78ELc76ELb0ELb0EfPKfS1_PfEviT_T9_T10_S3_lS5_S3_lS4_T11_S3_li.has_dyn_sized_stack, 0
	.set _ZL29rocblas_internal_gemmt_kernelIiLi16ELi32ELi8ELc78ELc78ELc76ELb0ELb0EfPKfS1_PfEviT_T9_T10_S3_lS5_S3_lS4_T11_S3_li.has_recursion, 0
	.set _ZL29rocblas_internal_gemmt_kernelIiLi16ELi32ELi8ELc78ELc78ELc76ELb0ELb0EfPKfS1_PfEviT_T9_T10_S3_lS5_S3_lS4_T11_S3_li.has_indirect_call, 0
	.section	.AMDGPU.csdata,"",@progbits
; Kernel info:
; codeLenInByte = 1248
; TotalNumSgprs: 33
; NumVgprs: 48
; NumAgprs: 0
; TotalNumVgprs: 48
; ScratchSize: 0
; MemoryBound: 0
; FloatMode: 240
; IeeeMode: 1
; LDSByteSize: 2048 bytes/workgroup (compile time only)
; SGPRBlocks: 4
; VGPRBlocks: 5
; NumSGPRsForWavesPerEU: 33
; NumVGPRsForWavesPerEU: 48
; AccumOffset: 48
; Occupancy: 8
; WaveLimiterHint : 0
; COMPUTE_PGM_RSRC2:SCRATCH_EN: 0
; COMPUTE_PGM_RSRC2:USER_SGPR: 2
; COMPUTE_PGM_RSRC2:TRAP_HANDLER: 0
; COMPUTE_PGM_RSRC2:TGID_X_EN: 1
; COMPUTE_PGM_RSRC2:TGID_Y_EN: 1
; COMPUTE_PGM_RSRC2:TGID_Z_EN: 1
; COMPUTE_PGM_RSRC2:TIDIG_COMP_CNT: 1
; COMPUTE_PGM_RSRC3_GFX90A:ACCUM_OFFSET: 11
; COMPUTE_PGM_RSRC3_GFX90A:TG_SPLIT: 0
	.section	.text._ZL29rocblas_internal_gemmt_kernelIiLi16ELi32ELi8ELc78ELc84ELc76ELb0ELb0EfPKfS1_PfEviT_T9_T10_S3_lS5_S3_lS4_T11_S3_li,"axG",@progbits,_ZL29rocblas_internal_gemmt_kernelIiLi16ELi32ELi8ELc78ELc84ELc76ELb0ELb0EfPKfS1_PfEviT_T9_T10_S3_lS5_S3_lS4_T11_S3_li,comdat
	.globl	_ZL29rocblas_internal_gemmt_kernelIiLi16ELi32ELi8ELc78ELc84ELc76ELb0ELb0EfPKfS1_PfEviT_T9_T10_S3_lS5_S3_lS4_T11_S3_li ; -- Begin function _ZL29rocblas_internal_gemmt_kernelIiLi16ELi32ELi8ELc78ELc84ELc76ELb0ELb0EfPKfS1_PfEviT_T9_T10_S3_lS5_S3_lS4_T11_S3_li
	.p2align	8
	.type	_ZL29rocblas_internal_gemmt_kernelIiLi16ELi32ELi8ELc78ELc84ELc76ELb0ELb0EfPKfS1_PfEviT_T9_T10_S3_lS5_S3_lS4_T11_S3_li,@function
_ZL29rocblas_internal_gemmt_kernelIiLi16ELi32ELi8ELc78ELc84ELc76ELb0ELb0EfPKfS1_PfEviT_T9_T10_S3_lS5_S3_lS4_T11_S3_li: ; @_ZL29rocblas_internal_gemmt_kernelIiLi16ELi32ELi8ELc78ELc84ELc76ELb0ELb0EfPKfS1_PfEviT_T9_T10_S3_lS5_S3_lS4_T11_S3_li
; %bb.0:
	s_load_dwordx4 s[8:11], s[0:1], 0x38
	s_load_dwordx4 s[12:15], s[0:1], 0x8
	s_waitcnt lgkmcnt(0)
	s_load_dword s22, s[10:11], 0x0
	s_load_dwordx2 s[20:21], s[0:1], 0x0
	s_load_dword s23, s[12:13], 0x0
	s_waitcnt lgkmcnt(0)
	v_cmp_neq_f32_e64 s[6:7], s22, 1.0
	s_and_b64 vcc, exec, s[6:7]
	s_cbranch_vccnz .LBB10_2
; %bb.1:
	s_cmp_lg_u32 s21, 0
	s_cselect_b64 s[6:7], -1, 0
	v_cmp_neq_f32_e64 s[10:11], s23, 0
	s_and_b64 s[6:7], s[6:7], s[10:11]
.LBB10_2:
	s_andn2_b64 vcc, exec, s[6:7]
	s_cbranch_vccnz .LBB10_26
; %bb.3:
	s_load_dwordx2 s[10:11], s[0:1], 0x48
	s_lshl_b32 s24, s2, 5
	s_lshl_b32 s5, s3, 5
	s_cmp_lt_i32 s21, 1
	v_cmp_eq_f32_e64 s[2:3], s23, 0
	s_cselect_b64 s[6:7], -1, 0
	v_mov_b32_e32 v3, 0
	s_or_b64 s[2:3], s[2:3], s[6:7]
	v_and_b32_e32 v9, 0x3ff, v0
	v_bfe_u32 v8, v0, 10, 10
	s_mov_b32 s25, 0
	s_and_b64 vcc, exec, s[2:3]
	v_mov_b32_e32 v2, v3
	v_mov_b32_e32 v1, v3
	;; [unrolled: 1-line block ×3, first 2 shown]
	s_cbranch_vccnz .LBB10_10
; %bb.4:
	v_lshl_add_u32 v1, v8, 4, v9
	v_and_b32_e32 v4, 31, v1
	v_lshrrev_b32_e32 v11, 5, v1
	v_lshrrev_b32_e32 v2, 3, v1
	v_or_b32_e32 v1, s24, v4
	s_load_dword s6, s[0:1], 0x18
	s_load_dwordx4 s[16:19], s[0:1], 0x20
	s_load_dword s26, s[0:1], 0x30
	v_and_b32_e32 v10, 7, v9
	v_cmp_gt_i32_e32 vcc, s20, v1
	v_lshlrev_b32_e32 v1, 2, v4
	v_lshl_or_b32 v12, v11, 7, v1
	v_lshlrev_b32_e32 v1, 2, v10
	v_add_u32_e32 v0, s5, v2
	v_lshl_or_b32 v1, v2, 5, v1
	v_mov_b32_e32 v2, 0x400
	v_lshl_add_u32 v15, v8, 5, v2
	s_waitcnt lgkmcnt(0)
	v_mad_i64_i32 v[2:3], s[12:13], v11, s6, 0
	s_mul_i32 s12, s17, s4
	s_mul_hi_u32 s13, s16, s4
	s_add_i32 s13, s13, s12
	s_mul_i32 s12, s16, s4
	s_lshl_b64 s[12:13], s[12:13], 2
	v_add_u32_e32 v4, s24, v4
	s_ashr_i32 s7, s6, 31
	v_lshl_add_u64 v[2:3], v[2:3], 2, s[12:13]
	v_ashrrev_i32_e32 v5, 31, v4
	v_lshl_add_u64 v[2:3], v[4:5], 2, v[2:3]
	s_lshl_b64 s[12:13], s[6:7], 5
	s_mul_i32 s6, s9, s4
	s_mul_hi_u32 s7, s8, s4
	v_lshl_add_u64 v[4:5], s[14:15], 0, v[2:3]
	s_add_i32 s7, s7, s6
	s_mul_i32 s6, s8, s4
	v_mad_i64_i32 v[2:3], s[8:9], s26, v10, 0
	v_lshlrev_b64 v[2:3], 2, v[2:3]
	v_add_u32_e32 v13, 0x400, v1
	v_ashrrev_i32_e32 v1, 31, v0
	v_lshl_add_u64 v[2:3], s[6:7], 2, v[2:3]
	v_cmp_gt_i32_e64 s[2:3], s20, v0
	v_lshl_add_u64 v[0:1], v[0:1], 2, v[2:3]
	s_ashr_i32 s27, s26, 31
	v_lshl_add_u64 v[6:7], s[18:19], 0, v[0:1]
	v_mov_b32_e32 v0, 0
	v_lshlrev_b32_e32 v14, 2, v9
	s_lshl_b64 s[8:9], s[26:27], 5
	v_mov_b32_e32 v1, v0
	v_mov_b32_e32 v2, v0
	;; [unrolled: 1-line block ×3, first 2 shown]
	s_branch .LBB10_6
.LBB10_5:                               ;   in Loop: Header=BB10_6 Depth=1
	s_or_b64 exec, exec, s[6:7]
	s_waitcnt vmcnt(0)
	ds_write_b32 v13, v16
	s_waitcnt lgkmcnt(0)
	s_barrier
	ds_read_b128 v[16:19], v15
	ds_read_b128 v[20:23], v15 offset:16
	ds_read2_b32 v[32:33], v14 offset1:16
	ds_read2_b32 v[34:35], v14 offset0:32 offset1:48
	ds_read2_b32 v[36:37], v14 offset0:64 offset1:80
	;; [unrolled: 1-line block ×4, first 2 shown]
	ds_read_b128 v[24:27], v15 offset:512
	ds_read_b128 v[28:31], v15 offset:528
	ds_read2_b32 v[42:43], v14 offset0:160 offset1:176
	ds_read2_b32 v[44:45], v14 offset0:192 offset1:208
	;; [unrolled: 1-line block ×3, first 2 shown]
	s_waitcnt lgkmcnt(9)
	v_pk_fma_f32 v[2:3], v[32:33], v[16:17], v[2:3] op_sel_hi:[1,0,1]
	s_waitcnt lgkmcnt(4)
	v_pk_fma_f32 v[0:1], v[32:33], v[24:25], v[0:1] op_sel_hi:[1,0,1]
	v_pk_fma_f32 v[2:3], v[34:35], v[16:17], v[2:3] op_sel:[0,1,0]
	v_mov_b32_e32 v16, v19
	v_pk_fma_f32 v[2:3], v[36:37], v[18:19], v[2:3] op_sel_hi:[1,0,1]
	v_pk_fma_f32 v[0:1], v[34:35], v[24:25], v[0:1] op_sel:[0,1,0]
	v_pk_fma_f32 v[2:3], v[38:39], v[16:17], v[2:3] op_sel_hi:[1,0,1]
	v_mov_b32_e32 v16, v23
	v_pk_fma_f32 v[2:3], v[40:41], v[20:21], v[2:3] op_sel_hi:[1,0,1]
	v_pk_fma_f32 v[0:1], v[36:37], v[26:27], v[0:1] op_sel_hi:[1,0,1]
	s_waitcnt lgkmcnt(2)
	v_pk_fma_f32 v[2:3], v[42:43], v[20:21], v[2:3] op_sel:[0,1,0]
	s_add_i32 s25, s25, 8
	s_waitcnt lgkmcnt(1)
	v_pk_fma_f32 v[2:3], v[44:45], v[22:23], v[2:3] op_sel_hi:[1,0,1]
	v_lshl_add_u64 v[4:5], v[4:5], 0, s[12:13]
	s_waitcnt lgkmcnt(0)
	v_pk_fma_f32 v[2:3], v[46:47], v[16:17], v[2:3] op_sel_hi:[1,0,1]
	v_mov_b32_e32 v16, v27
	v_pk_fma_f32 v[0:1], v[38:39], v[16:17], v[0:1] op_sel_hi:[1,0,1]
	v_mov_b32_e32 v16, v31
	v_pk_fma_f32 v[0:1], v[40:41], v[28:29], v[0:1] op_sel_hi:[1,0,1]
	s_cmp_lt_i32 s25, s21
	v_pk_fma_f32 v[0:1], v[42:43], v[28:29], v[0:1] op_sel:[0,1,0]
	v_lshl_add_u64 v[6:7], v[6:7], 0, s[8:9]
	v_pk_fma_f32 v[0:1], v[44:45], v[30:31], v[0:1] op_sel_hi:[1,0,1]
	s_nop 0
	v_pk_fma_f32 v[0:1], v[46:47], v[16:17], v[0:1] op_sel_hi:[1,0,1]
	s_barrier
	s_cbranch_scc0 .LBB10_10
.LBB10_6:                               ; =>This Inner Loop Header: Depth=1
	v_add_u32_e32 v16, s25, v11
	v_cmp_gt_i32_e64 s[6:7], s21, v16
	s_and_b64 s[14:15], vcc, s[6:7]
	v_mov_b32_e32 v16, 0
	s_and_saveexec_b64 s[6:7], s[14:15]
	s_cbranch_execz .LBB10_8
; %bb.7:                                ;   in Loop: Header=BB10_6 Depth=1
	global_load_dword v16, v[4:5], off
.LBB10_8:                               ;   in Loop: Header=BB10_6 Depth=1
	s_or_b64 exec, exec, s[6:7]
	s_waitcnt vmcnt(0)
	ds_write_b32 v12, v16
	v_add_u32_e32 v16, s25, v10
	v_cmp_gt_i32_e64 s[6:7], s21, v16
	s_and_b64 s[14:15], s[6:7], s[2:3]
	v_mov_b32_e32 v16, 0
	s_and_saveexec_b64 s[6:7], s[14:15]
	s_cbranch_execz .LBB10_5
; %bb.9:                                ;   in Loop: Header=BB10_6 Depth=1
	global_load_dword v16, v[6:7], off
	s_branch .LBB10_5
.LBB10_10:
	s_load_dwordx2 s[2:3], s[0:1], 0x58
	s_load_dword s12, s[0:1], 0x50
	v_add_u32_e32 v10, s5, v8
	v_add_u32_e32 v4, s24, v9
	v_cmp_le_i32_e32 vcc, v10, v4
	s_waitcnt lgkmcnt(0)
	s_mul_i32 s1, s3, s4
	s_mul_hi_u32 s3, s2, s4
	s_mul_i32 s0, s2, s4
	s_add_i32 s1, s3, s1
	s_lshl_b64 s[0:1], s[0:1], 2
	s_add_u32 s6, s10, s0
	s_addc_u32 s7, s11, s1
	v_mad_i64_i32 v[6:7], s[0:1], v10, s12, 0
	v_cmp_neq_f32_e64 s[0:1], s22, 0
	v_lshl_add_u64 v[8:9], v[6:7], 2, s[6:7]
	v_cmp_gt_i32_e64 s[2:3], s20, v4
	v_cndmask_b32_e64 v6, 0, 1, s[0:1]
	s_and_b64 s[8:9], vcc, s[2:3]
	v_ashrrev_i32_e32 v5, 31, v4
	v_cmp_ne_u32_e64 s[0:1], 1, v6
	s_and_saveexec_b64 s[4:5], s[8:9]
	s_cbranch_execz .LBB10_14
; %bb.11:
	v_mul_f32_e32 v2, s23, v2
	s_and_b64 vcc, exec, s[0:1]
	v_lshl_add_u64 v[6:7], v[4:5], 2, v[8:9]
	s_cbranch_vccnz .LBB10_13
; %bb.12:
	global_load_dword v11, v[6:7], off
	s_waitcnt vmcnt(0)
	v_fmac_f32_e32 v2, s22, v11
.LBB10_13:
	global_store_dword v[6:7], v2, off
.LBB10_14:
	s_or_b64 exec, exec, s[4:5]
	v_add_u32_e32 v6, 16, v4
	v_cmp_le_i32_e32 vcc, v10, v6
	v_cmp_gt_i32_e64 s[4:5], s20, v6
	s_and_b64 s[10:11], vcc, s[4:5]
	v_ashrrev_i32_e32 v7, 31, v6
	s_and_saveexec_b64 s[8:9], s[10:11]
	s_cbranch_execz .LBB10_18
; %bb.15:
	v_mul_f32_e32 v11, s23, v3
	s_and_b64 vcc, exec, s[0:1]
	v_lshl_add_u64 v[2:3], v[6:7], 2, v[8:9]
	s_cbranch_vccnz .LBB10_17
; %bb.16:
	global_load_dword v8, v[2:3], off
	s_waitcnt vmcnt(0)
	v_fmac_f32_e32 v11, s22, v8
.LBB10_17:
	global_store_dword v[2:3], v11, off
.LBB10_18:
	s_or_b64 exec, exec, s[8:9]
	v_add_u32_e32 v8, 16, v10
	v_mad_i64_i32 v[2:3], s[8:9], v8, s12, 0
	v_cmp_le_i32_e32 vcc, v8, v4
	v_lshl_add_u64 v[2:3], v[2:3], 2, s[6:7]
	s_and_b64 s[6:7], vcc, s[2:3]
	s_and_saveexec_b64 s[2:3], s[6:7]
	s_cbranch_execz .LBB10_22
; %bb.19:
	v_mul_f32_e32 v0, s23, v0
	s_and_b64 vcc, exec, s[0:1]
	v_lshl_add_u64 v[4:5], v[4:5], 2, v[2:3]
	s_cbranch_vccnz .LBB10_21
; %bb.20:
	global_load_dword v9, v[4:5], off
	s_waitcnt vmcnt(0)
	v_fmac_f32_e32 v0, s22, v9
.LBB10_21:
	global_store_dword v[4:5], v0, off
.LBB10_22:
	s_or_b64 exec, exec, s[2:3]
	v_cmp_le_i32_e32 vcc, v8, v6
	s_and_b64 s[2:3], vcc, s[4:5]
	s_and_saveexec_b64 s[4:5], s[2:3]
	s_cbranch_execz .LBB10_26
; %bb.23:
	v_mul_f32_e32 v4, s23, v1
	s_and_b64 vcc, exec, s[0:1]
	v_lshl_add_u64 v[0:1], v[6:7], 2, v[2:3]
	s_cbranch_vccnz .LBB10_25
; %bb.24:
	global_load_dword v2, v[0:1], off
	s_waitcnt vmcnt(0)
	v_fmac_f32_e32 v4, s22, v2
.LBB10_25:
	global_store_dword v[0:1], v4, off
.LBB10_26:
	s_endpgm
	.section	.rodata,"a",@progbits
	.p2align	6, 0x0
	.amdhsa_kernel _ZL29rocblas_internal_gemmt_kernelIiLi16ELi32ELi8ELc78ELc84ELc76ELb0ELb0EfPKfS1_PfEviT_T9_T10_S3_lS5_S3_lS4_T11_S3_li
		.amdhsa_group_segment_fixed_size 2048
		.amdhsa_private_segment_fixed_size 0
		.amdhsa_kernarg_size 100
		.amdhsa_user_sgpr_count 2
		.amdhsa_user_sgpr_dispatch_ptr 0
		.amdhsa_user_sgpr_queue_ptr 0
		.amdhsa_user_sgpr_kernarg_segment_ptr 1
		.amdhsa_user_sgpr_dispatch_id 0
		.amdhsa_user_sgpr_kernarg_preload_length 0
		.amdhsa_user_sgpr_kernarg_preload_offset 0
		.amdhsa_user_sgpr_private_segment_size 0
		.amdhsa_uses_dynamic_stack 0
		.amdhsa_enable_private_segment 0
		.amdhsa_system_sgpr_workgroup_id_x 1
		.amdhsa_system_sgpr_workgroup_id_y 1
		.amdhsa_system_sgpr_workgroup_id_z 1
		.amdhsa_system_sgpr_workgroup_info 0
		.amdhsa_system_vgpr_workitem_id 1
		.amdhsa_next_free_vgpr 48
		.amdhsa_next_free_sgpr 28
		.amdhsa_accum_offset 48
		.amdhsa_reserve_vcc 1
		.amdhsa_float_round_mode_32 0
		.amdhsa_float_round_mode_16_64 0
		.amdhsa_float_denorm_mode_32 3
		.amdhsa_float_denorm_mode_16_64 3
		.amdhsa_dx10_clamp 1
		.amdhsa_ieee_mode 1
		.amdhsa_fp16_overflow 0
		.amdhsa_tg_split 0
		.amdhsa_exception_fp_ieee_invalid_op 0
		.amdhsa_exception_fp_denorm_src 0
		.amdhsa_exception_fp_ieee_div_zero 0
		.amdhsa_exception_fp_ieee_overflow 0
		.amdhsa_exception_fp_ieee_underflow 0
		.amdhsa_exception_fp_ieee_inexact 0
		.amdhsa_exception_int_div_zero 0
	.end_amdhsa_kernel
	.section	.text._ZL29rocblas_internal_gemmt_kernelIiLi16ELi32ELi8ELc78ELc84ELc76ELb0ELb0EfPKfS1_PfEviT_T9_T10_S3_lS5_S3_lS4_T11_S3_li,"axG",@progbits,_ZL29rocblas_internal_gemmt_kernelIiLi16ELi32ELi8ELc78ELc84ELc76ELb0ELb0EfPKfS1_PfEviT_T9_T10_S3_lS5_S3_lS4_T11_S3_li,comdat
.Lfunc_end10:
	.size	_ZL29rocblas_internal_gemmt_kernelIiLi16ELi32ELi8ELc78ELc84ELc76ELb0ELb0EfPKfS1_PfEviT_T9_T10_S3_lS5_S3_lS4_T11_S3_li, .Lfunc_end10-_ZL29rocblas_internal_gemmt_kernelIiLi16ELi32ELi8ELc78ELc84ELc76ELb0ELb0EfPKfS1_PfEviT_T9_T10_S3_lS5_S3_lS4_T11_S3_li
                                        ; -- End function
	.set _ZL29rocblas_internal_gemmt_kernelIiLi16ELi32ELi8ELc78ELc84ELc76ELb0ELb0EfPKfS1_PfEviT_T9_T10_S3_lS5_S3_lS4_T11_S3_li.num_vgpr, 48
	.set _ZL29rocblas_internal_gemmt_kernelIiLi16ELi32ELi8ELc78ELc84ELc76ELb0ELb0EfPKfS1_PfEviT_T9_T10_S3_lS5_S3_lS4_T11_S3_li.num_agpr, 0
	.set _ZL29rocblas_internal_gemmt_kernelIiLi16ELi32ELi8ELc78ELc84ELc76ELb0ELb0EfPKfS1_PfEviT_T9_T10_S3_lS5_S3_lS4_T11_S3_li.numbered_sgpr, 28
	.set _ZL29rocblas_internal_gemmt_kernelIiLi16ELi32ELi8ELc78ELc84ELc76ELb0ELb0EfPKfS1_PfEviT_T9_T10_S3_lS5_S3_lS4_T11_S3_li.num_named_barrier, 0
	.set _ZL29rocblas_internal_gemmt_kernelIiLi16ELi32ELi8ELc78ELc84ELc76ELb0ELb0EfPKfS1_PfEviT_T9_T10_S3_lS5_S3_lS4_T11_S3_li.private_seg_size, 0
	.set _ZL29rocblas_internal_gemmt_kernelIiLi16ELi32ELi8ELc78ELc84ELc76ELb0ELb0EfPKfS1_PfEviT_T9_T10_S3_lS5_S3_lS4_T11_S3_li.uses_vcc, 1
	.set _ZL29rocblas_internal_gemmt_kernelIiLi16ELi32ELi8ELc78ELc84ELc76ELb0ELb0EfPKfS1_PfEviT_T9_T10_S3_lS5_S3_lS4_T11_S3_li.uses_flat_scratch, 0
	.set _ZL29rocblas_internal_gemmt_kernelIiLi16ELi32ELi8ELc78ELc84ELc76ELb0ELb0EfPKfS1_PfEviT_T9_T10_S3_lS5_S3_lS4_T11_S3_li.has_dyn_sized_stack, 0
	.set _ZL29rocblas_internal_gemmt_kernelIiLi16ELi32ELi8ELc78ELc84ELc76ELb0ELb0EfPKfS1_PfEviT_T9_T10_S3_lS5_S3_lS4_T11_S3_li.has_recursion, 0
	.set _ZL29rocblas_internal_gemmt_kernelIiLi16ELi32ELi8ELc78ELc84ELc76ELb0ELb0EfPKfS1_PfEviT_T9_T10_S3_lS5_S3_lS4_T11_S3_li.has_indirect_call, 0
	.section	.AMDGPU.csdata,"",@progbits
; Kernel info:
; codeLenInByte = 1264
; TotalNumSgprs: 34
; NumVgprs: 48
; NumAgprs: 0
; TotalNumVgprs: 48
; ScratchSize: 0
; MemoryBound: 0
; FloatMode: 240
; IeeeMode: 1
; LDSByteSize: 2048 bytes/workgroup (compile time only)
; SGPRBlocks: 4
; VGPRBlocks: 5
; NumSGPRsForWavesPerEU: 34
; NumVGPRsForWavesPerEU: 48
; AccumOffset: 48
; Occupancy: 8
; WaveLimiterHint : 0
; COMPUTE_PGM_RSRC2:SCRATCH_EN: 0
; COMPUTE_PGM_RSRC2:USER_SGPR: 2
; COMPUTE_PGM_RSRC2:TRAP_HANDLER: 0
; COMPUTE_PGM_RSRC2:TGID_X_EN: 1
; COMPUTE_PGM_RSRC2:TGID_Y_EN: 1
; COMPUTE_PGM_RSRC2:TGID_Z_EN: 1
; COMPUTE_PGM_RSRC2:TIDIG_COMP_CNT: 1
; COMPUTE_PGM_RSRC3_GFX90A:ACCUM_OFFSET: 11
; COMPUTE_PGM_RSRC3_GFX90A:TG_SPLIT: 0
	.section	.text._ZL29rocblas_internal_gemmt_kernelIiLi16ELi32ELi8ELc78ELc67ELc76ELb0ELb0EfPKfS1_PfEviT_T9_T10_S3_lS5_S3_lS4_T11_S3_li,"axG",@progbits,_ZL29rocblas_internal_gemmt_kernelIiLi16ELi32ELi8ELc78ELc67ELc76ELb0ELb0EfPKfS1_PfEviT_T9_T10_S3_lS5_S3_lS4_T11_S3_li,comdat
	.globl	_ZL29rocblas_internal_gemmt_kernelIiLi16ELi32ELi8ELc78ELc67ELc76ELb0ELb0EfPKfS1_PfEviT_T9_T10_S3_lS5_S3_lS4_T11_S3_li ; -- Begin function _ZL29rocblas_internal_gemmt_kernelIiLi16ELi32ELi8ELc78ELc67ELc76ELb0ELb0EfPKfS1_PfEviT_T9_T10_S3_lS5_S3_lS4_T11_S3_li
	.p2align	8
	.type	_ZL29rocblas_internal_gemmt_kernelIiLi16ELi32ELi8ELc78ELc67ELc76ELb0ELb0EfPKfS1_PfEviT_T9_T10_S3_lS5_S3_lS4_T11_S3_li,@function
_ZL29rocblas_internal_gemmt_kernelIiLi16ELi32ELi8ELc78ELc67ELc76ELb0ELb0EfPKfS1_PfEviT_T9_T10_S3_lS5_S3_lS4_T11_S3_li: ; @_ZL29rocblas_internal_gemmt_kernelIiLi16ELi32ELi8ELc78ELc67ELc76ELb0ELb0EfPKfS1_PfEviT_T9_T10_S3_lS5_S3_lS4_T11_S3_li
; %bb.0:
	s_load_dwordx4 s[8:11], s[0:1], 0x38
	s_load_dwordx4 s[12:15], s[0:1], 0x8
	s_waitcnt lgkmcnt(0)
	s_load_dword s22, s[10:11], 0x0
	s_load_dwordx2 s[20:21], s[0:1], 0x0
	s_load_dword s23, s[12:13], 0x0
	s_waitcnt lgkmcnt(0)
	v_cmp_neq_f32_e64 s[6:7], s22, 1.0
	s_and_b64 vcc, exec, s[6:7]
	s_cbranch_vccnz .LBB11_2
; %bb.1:
	s_cmp_lg_u32 s21, 0
	s_cselect_b64 s[6:7], -1, 0
	v_cmp_neq_f32_e64 s[10:11], s23, 0
	s_and_b64 s[6:7], s[6:7], s[10:11]
.LBB11_2:
	s_andn2_b64 vcc, exec, s[6:7]
	s_cbranch_vccnz .LBB11_26
; %bb.3:
	s_load_dwordx2 s[10:11], s[0:1], 0x48
	s_lshl_b32 s24, s2, 5
	s_lshl_b32 s5, s3, 5
	s_cmp_lt_i32 s21, 1
	v_cmp_eq_f32_e64 s[2:3], s23, 0
	s_cselect_b64 s[6:7], -1, 0
	v_mov_b32_e32 v3, 0
	s_or_b64 s[2:3], s[2:3], s[6:7]
	v_and_b32_e32 v9, 0x3ff, v0
	v_bfe_u32 v8, v0, 10, 10
	s_mov_b32 s25, 0
	s_and_b64 vcc, exec, s[2:3]
	v_mov_b32_e32 v2, v3
	v_mov_b32_e32 v1, v3
	;; [unrolled: 1-line block ×3, first 2 shown]
	s_cbranch_vccnz .LBB11_10
; %bb.4:
	v_lshl_add_u32 v1, v8, 4, v9
	v_and_b32_e32 v4, 31, v1
	v_lshrrev_b32_e32 v11, 5, v1
	v_lshrrev_b32_e32 v2, 3, v1
	v_or_b32_e32 v1, s24, v4
	s_load_dword s6, s[0:1], 0x18
	s_load_dwordx4 s[16:19], s[0:1], 0x20
	s_load_dword s26, s[0:1], 0x30
	v_and_b32_e32 v10, 7, v9
	v_cmp_gt_i32_e32 vcc, s20, v1
	v_lshlrev_b32_e32 v1, 2, v4
	v_lshl_or_b32 v12, v11, 7, v1
	v_lshlrev_b32_e32 v1, 2, v10
	v_add_u32_e32 v0, s5, v2
	v_lshl_or_b32 v1, v2, 5, v1
	v_mov_b32_e32 v2, 0x400
	v_lshl_add_u32 v15, v8, 5, v2
	s_waitcnt lgkmcnt(0)
	v_mad_i64_i32 v[2:3], s[12:13], v11, s6, 0
	s_mul_i32 s12, s17, s4
	s_mul_hi_u32 s13, s16, s4
	s_add_i32 s13, s13, s12
	s_mul_i32 s12, s16, s4
	s_lshl_b64 s[12:13], s[12:13], 2
	v_add_u32_e32 v4, s24, v4
	s_ashr_i32 s7, s6, 31
	v_lshl_add_u64 v[2:3], v[2:3], 2, s[12:13]
	v_ashrrev_i32_e32 v5, 31, v4
	v_lshl_add_u64 v[2:3], v[4:5], 2, v[2:3]
	s_lshl_b64 s[12:13], s[6:7], 5
	s_mul_i32 s6, s9, s4
	s_mul_hi_u32 s7, s8, s4
	v_lshl_add_u64 v[4:5], s[14:15], 0, v[2:3]
	s_add_i32 s7, s7, s6
	s_mul_i32 s6, s8, s4
	v_mad_i64_i32 v[2:3], s[8:9], s26, v10, 0
	v_lshlrev_b64 v[2:3], 2, v[2:3]
	v_add_u32_e32 v13, 0x400, v1
	v_ashrrev_i32_e32 v1, 31, v0
	v_lshl_add_u64 v[2:3], s[6:7], 2, v[2:3]
	v_cmp_gt_i32_e64 s[2:3], s20, v0
	v_lshl_add_u64 v[0:1], v[0:1], 2, v[2:3]
	s_ashr_i32 s27, s26, 31
	v_lshl_add_u64 v[6:7], s[18:19], 0, v[0:1]
	v_mov_b32_e32 v0, 0
	v_lshlrev_b32_e32 v14, 2, v9
	s_lshl_b64 s[8:9], s[26:27], 5
	v_mov_b32_e32 v1, v0
	v_mov_b32_e32 v2, v0
	;; [unrolled: 1-line block ×3, first 2 shown]
	s_branch .LBB11_6
.LBB11_5:                               ;   in Loop: Header=BB11_6 Depth=1
	s_or_b64 exec, exec, s[6:7]
	s_waitcnt vmcnt(0)
	ds_write_b32 v13, v16
	s_waitcnt lgkmcnt(0)
	s_barrier
	ds_read_b128 v[16:19], v15
	ds_read_b128 v[20:23], v15 offset:16
	ds_read2_b32 v[32:33], v14 offset1:16
	ds_read2_b32 v[34:35], v14 offset0:32 offset1:48
	ds_read2_b32 v[36:37], v14 offset0:64 offset1:80
	;; [unrolled: 1-line block ×4, first 2 shown]
	ds_read_b128 v[24:27], v15 offset:512
	ds_read_b128 v[28:31], v15 offset:528
	ds_read2_b32 v[42:43], v14 offset0:160 offset1:176
	ds_read2_b32 v[44:45], v14 offset0:192 offset1:208
	;; [unrolled: 1-line block ×3, first 2 shown]
	s_waitcnt lgkmcnt(9)
	v_pk_fma_f32 v[2:3], v[32:33], v[16:17], v[2:3] op_sel_hi:[1,0,1]
	s_waitcnt lgkmcnt(4)
	v_pk_fma_f32 v[0:1], v[32:33], v[24:25], v[0:1] op_sel_hi:[1,0,1]
	v_pk_fma_f32 v[2:3], v[34:35], v[16:17], v[2:3] op_sel:[0,1,0]
	v_mov_b32_e32 v16, v19
	v_pk_fma_f32 v[2:3], v[36:37], v[18:19], v[2:3] op_sel_hi:[1,0,1]
	v_pk_fma_f32 v[0:1], v[34:35], v[24:25], v[0:1] op_sel:[0,1,0]
	v_pk_fma_f32 v[2:3], v[38:39], v[16:17], v[2:3] op_sel_hi:[1,0,1]
	v_mov_b32_e32 v16, v23
	v_pk_fma_f32 v[2:3], v[40:41], v[20:21], v[2:3] op_sel_hi:[1,0,1]
	v_pk_fma_f32 v[0:1], v[36:37], v[26:27], v[0:1] op_sel_hi:[1,0,1]
	s_waitcnt lgkmcnt(2)
	v_pk_fma_f32 v[2:3], v[42:43], v[20:21], v[2:3] op_sel:[0,1,0]
	s_add_i32 s25, s25, 8
	s_waitcnt lgkmcnt(1)
	v_pk_fma_f32 v[2:3], v[44:45], v[22:23], v[2:3] op_sel_hi:[1,0,1]
	v_lshl_add_u64 v[4:5], v[4:5], 0, s[12:13]
	s_waitcnt lgkmcnt(0)
	v_pk_fma_f32 v[2:3], v[46:47], v[16:17], v[2:3] op_sel_hi:[1,0,1]
	v_mov_b32_e32 v16, v27
	v_pk_fma_f32 v[0:1], v[38:39], v[16:17], v[0:1] op_sel_hi:[1,0,1]
	v_mov_b32_e32 v16, v31
	v_pk_fma_f32 v[0:1], v[40:41], v[28:29], v[0:1] op_sel_hi:[1,0,1]
	s_cmp_lt_i32 s25, s21
	v_pk_fma_f32 v[0:1], v[42:43], v[28:29], v[0:1] op_sel:[0,1,0]
	v_lshl_add_u64 v[6:7], v[6:7], 0, s[8:9]
	v_pk_fma_f32 v[0:1], v[44:45], v[30:31], v[0:1] op_sel_hi:[1,0,1]
	s_nop 0
	v_pk_fma_f32 v[0:1], v[46:47], v[16:17], v[0:1] op_sel_hi:[1,0,1]
	s_barrier
	s_cbranch_scc0 .LBB11_10
.LBB11_6:                               ; =>This Inner Loop Header: Depth=1
	v_add_u32_e32 v16, s25, v11
	v_cmp_gt_i32_e64 s[6:7], s21, v16
	s_and_b64 s[14:15], vcc, s[6:7]
	v_mov_b32_e32 v16, 0
	s_and_saveexec_b64 s[6:7], s[14:15]
	s_cbranch_execz .LBB11_8
; %bb.7:                                ;   in Loop: Header=BB11_6 Depth=1
	global_load_dword v16, v[4:5], off
.LBB11_8:                               ;   in Loop: Header=BB11_6 Depth=1
	s_or_b64 exec, exec, s[6:7]
	s_waitcnt vmcnt(0)
	ds_write_b32 v12, v16
	v_add_u32_e32 v16, s25, v10
	v_cmp_gt_i32_e64 s[6:7], s21, v16
	s_and_b64 s[14:15], s[6:7], s[2:3]
	v_mov_b32_e32 v16, 0
	s_and_saveexec_b64 s[6:7], s[14:15]
	s_cbranch_execz .LBB11_5
; %bb.9:                                ;   in Loop: Header=BB11_6 Depth=1
	global_load_dword v16, v[6:7], off
	s_branch .LBB11_5
.LBB11_10:
	s_load_dwordx2 s[2:3], s[0:1], 0x58
	s_load_dword s12, s[0:1], 0x50
	v_add_u32_e32 v10, s5, v8
	v_add_u32_e32 v4, s24, v9
	v_cmp_le_i32_e32 vcc, v10, v4
	s_waitcnt lgkmcnt(0)
	s_mul_i32 s1, s3, s4
	s_mul_hi_u32 s3, s2, s4
	s_mul_i32 s0, s2, s4
	s_add_i32 s1, s3, s1
	s_lshl_b64 s[0:1], s[0:1], 2
	s_add_u32 s6, s10, s0
	s_addc_u32 s7, s11, s1
	v_mad_i64_i32 v[6:7], s[0:1], v10, s12, 0
	v_cmp_neq_f32_e64 s[0:1], s22, 0
	v_lshl_add_u64 v[8:9], v[6:7], 2, s[6:7]
	v_cmp_gt_i32_e64 s[2:3], s20, v4
	v_cndmask_b32_e64 v6, 0, 1, s[0:1]
	s_and_b64 s[8:9], vcc, s[2:3]
	v_ashrrev_i32_e32 v5, 31, v4
	v_cmp_ne_u32_e64 s[0:1], 1, v6
	s_and_saveexec_b64 s[4:5], s[8:9]
	s_cbranch_execz .LBB11_14
; %bb.11:
	v_mul_f32_e32 v2, s23, v2
	s_and_b64 vcc, exec, s[0:1]
	v_lshl_add_u64 v[6:7], v[4:5], 2, v[8:9]
	s_cbranch_vccnz .LBB11_13
; %bb.12:
	global_load_dword v11, v[6:7], off
	s_waitcnt vmcnt(0)
	v_fmac_f32_e32 v2, s22, v11
.LBB11_13:
	global_store_dword v[6:7], v2, off
.LBB11_14:
	s_or_b64 exec, exec, s[4:5]
	v_add_u32_e32 v6, 16, v4
	v_cmp_le_i32_e32 vcc, v10, v6
	v_cmp_gt_i32_e64 s[4:5], s20, v6
	s_and_b64 s[10:11], vcc, s[4:5]
	v_ashrrev_i32_e32 v7, 31, v6
	s_and_saveexec_b64 s[8:9], s[10:11]
	s_cbranch_execz .LBB11_18
; %bb.15:
	v_mul_f32_e32 v11, s23, v3
	s_and_b64 vcc, exec, s[0:1]
	v_lshl_add_u64 v[2:3], v[6:7], 2, v[8:9]
	s_cbranch_vccnz .LBB11_17
; %bb.16:
	global_load_dword v8, v[2:3], off
	s_waitcnt vmcnt(0)
	v_fmac_f32_e32 v11, s22, v8
.LBB11_17:
	global_store_dword v[2:3], v11, off
.LBB11_18:
	s_or_b64 exec, exec, s[8:9]
	v_add_u32_e32 v8, 16, v10
	v_mad_i64_i32 v[2:3], s[8:9], v8, s12, 0
	v_cmp_le_i32_e32 vcc, v8, v4
	v_lshl_add_u64 v[2:3], v[2:3], 2, s[6:7]
	s_and_b64 s[6:7], vcc, s[2:3]
	s_and_saveexec_b64 s[2:3], s[6:7]
	s_cbranch_execz .LBB11_22
; %bb.19:
	v_mul_f32_e32 v0, s23, v0
	s_and_b64 vcc, exec, s[0:1]
	v_lshl_add_u64 v[4:5], v[4:5], 2, v[2:3]
	s_cbranch_vccnz .LBB11_21
; %bb.20:
	global_load_dword v9, v[4:5], off
	s_waitcnt vmcnt(0)
	v_fmac_f32_e32 v0, s22, v9
.LBB11_21:
	global_store_dword v[4:5], v0, off
.LBB11_22:
	s_or_b64 exec, exec, s[2:3]
	v_cmp_le_i32_e32 vcc, v8, v6
	s_and_b64 s[2:3], vcc, s[4:5]
	s_and_saveexec_b64 s[4:5], s[2:3]
	s_cbranch_execz .LBB11_26
; %bb.23:
	v_mul_f32_e32 v4, s23, v1
	s_and_b64 vcc, exec, s[0:1]
	v_lshl_add_u64 v[0:1], v[6:7], 2, v[2:3]
	s_cbranch_vccnz .LBB11_25
; %bb.24:
	global_load_dword v2, v[0:1], off
	s_waitcnt vmcnt(0)
	v_fmac_f32_e32 v4, s22, v2
.LBB11_25:
	global_store_dword v[0:1], v4, off
.LBB11_26:
	s_endpgm
	.section	.rodata,"a",@progbits
	.p2align	6, 0x0
	.amdhsa_kernel _ZL29rocblas_internal_gemmt_kernelIiLi16ELi32ELi8ELc78ELc67ELc76ELb0ELb0EfPKfS1_PfEviT_T9_T10_S3_lS5_S3_lS4_T11_S3_li
		.amdhsa_group_segment_fixed_size 2048
		.amdhsa_private_segment_fixed_size 0
		.amdhsa_kernarg_size 100
		.amdhsa_user_sgpr_count 2
		.amdhsa_user_sgpr_dispatch_ptr 0
		.amdhsa_user_sgpr_queue_ptr 0
		.amdhsa_user_sgpr_kernarg_segment_ptr 1
		.amdhsa_user_sgpr_dispatch_id 0
		.amdhsa_user_sgpr_kernarg_preload_length 0
		.amdhsa_user_sgpr_kernarg_preload_offset 0
		.amdhsa_user_sgpr_private_segment_size 0
		.amdhsa_uses_dynamic_stack 0
		.amdhsa_enable_private_segment 0
		.amdhsa_system_sgpr_workgroup_id_x 1
		.amdhsa_system_sgpr_workgroup_id_y 1
		.amdhsa_system_sgpr_workgroup_id_z 1
		.amdhsa_system_sgpr_workgroup_info 0
		.amdhsa_system_vgpr_workitem_id 1
		.amdhsa_next_free_vgpr 48
		.amdhsa_next_free_sgpr 28
		.amdhsa_accum_offset 48
		.amdhsa_reserve_vcc 1
		.amdhsa_float_round_mode_32 0
		.amdhsa_float_round_mode_16_64 0
		.amdhsa_float_denorm_mode_32 3
		.amdhsa_float_denorm_mode_16_64 3
		.amdhsa_dx10_clamp 1
		.amdhsa_ieee_mode 1
		.amdhsa_fp16_overflow 0
		.amdhsa_tg_split 0
		.amdhsa_exception_fp_ieee_invalid_op 0
		.amdhsa_exception_fp_denorm_src 0
		.amdhsa_exception_fp_ieee_div_zero 0
		.amdhsa_exception_fp_ieee_overflow 0
		.amdhsa_exception_fp_ieee_underflow 0
		.amdhsa_exception_fp_ieee_inexact 0
		.amdhsa_exception_int_div_zero 0
	.end_amdhsa_kernel
	.section	.text._ZL29rocblas_internal_gemmt_kernelIiLi16ELi32ELi8ELc78ELc67ELc76ELb0ELb0EfPKfS1_PfEviT_T9_T10_S3_lS5_S3_lS4_T11_S3_li,"axG",@progbits,_ZL29rocblas_internal_gemmt_kernelIiLi16ELi32ELi8ELc78ELc67ELc76ELb0ELb0EfPKfS1_PfEviT_T9_T10_S3_lS5_S3_lS4_T11_S3_li,comdat
.Lfunc_end11:
	.size	_ZL29rocblas_internal_gemmt_kernelIiLi16ELi32ELi8ELc78ELc67ELc76ELb0ELb0EfPKfS1_PfEviT_T9_T10_S3_lS5_S3_lS4_T11_S3_li, .Lfunc_end11-_ZL29rocblas_internal_gemmt_kernelIiLi16ELi32ELi8ELc78ELc67ELc76ELb0ELb0EfPKfS1_PfEviT_T9_T10_S3_lS5_S3_lS4_T11_S3_li
                                        ; -- End function
	.set _ZL29rocblas_internal_gemmt_kernelIiLi16ELi32ELi8ELc78ELc67ELc76ELb0ELb0EfPKfS1_PfEviT_T9_T10_S3_lS5_S3_lS4_T11_S3_li.num_vgpr, 48
	.set _ZL29rocblas_internal_gemmt_kernelIiLi16ELi32ELi8ELc78ELc67ELc76ELb0ELb0EfPKfS1_PfEviT_T9_T10_S3_lS5_S3_lS4_T11_S3_li.num_agpr, 0
	.set _ZL29rocblas_internal_gemmt_kernelIiLi16ELi32ELi8ELc78ELc67ELc76ELb0ELb0EfPKfS1_PfEviT_T9_T10_S3_lS5_S3_lS4_T11_S3_li.numbered_sgpr, 28
	.set _ZL29rocblas_internal_gemmt_kernelIiLi16ELi32ELi8ELc78ELc67ELc76ELb0ELb0EfPKfS1_PfEviT_T9_T10_S3_lS5_S3_lS4_T11_S3_li.num_named_barrier, 0
	.set _ZL29rocblas_internal_gemmt_kernelIiLi16ELi32ELi8ELc78ELc67ELc76ELb0ELb0EfPKfS1_PfEviT_T9_T10_S3_lS5_S3_lS4_T11_S3_li.private_seg_size, 0
	.set _ZL29rocblas_internal_gemmt_kernelIiLi16ELi32ELi8ELc78ELc67ELc76ELb0ELb0EfPKfS1_PfEviT_T9_T10_S3_lS5_S3_lS4_T11_S3_li.uses_vcc, 1
	.set _ZL29rocblas_internal_gemmt_kernelIiLi16ELi32ELi8ELc78ELc67ELc76ELb0ELb0EfPKfS1_PfEviT_T9_T10_S3_lS5_S3_lS4_T11_S3_li.uses_flat_scratch, 0
	.set _ZL29rocblas_internal_gemmt_kernelIiLi16ELi32ELi8ELc78ELc67ELc76ELb0ELb0EfPKfS1_PfEviT_T9_T10_S3_lS5_S3_lS4_T11_S3_li.has_dyn_sized_stack, 0
	.set _ZL29rocblas_internal_gemmt_kernelIiLi16ELi32ELi8ELc78ELc67ELc76ELb0ELb0EfPKfS1_PfEviT_T9_T10_S3_lS5_S3_lS4_T11_S3_li.has_recursion, 0
	.set _ZL29rocblas_internal_gemmt_kernelIiLi16ELi32ELi8ELc78ELc67ELc76ELb0ELb0EfPKfS1_PfEviT_T9_T10_S3_lS5_S3_lS4_T11_S3_li.has_indirect_call, 0
	.section	.AMDGPU.csdata,"",@progbits
; Kernel info:
; codeLenInByte = 1264
; TotalNumSgprs: 34
; NumVgprs: 48
; NumAgprs: 0
; TotalNumVgprs: 48
; ScratchSize: 0
; MemoryBound: 0
; FloatMode: 240
; IeeeMode: 1
; LDSByteSize: 2048 bytes/workgroup (compile time only)
; SGPRBlocks: 4
; VGPRBlocks: 5
; NumSGPRsForWavesPerEU: 34
; NumVGPRsForWavesPerEU: 48
; AccumOffset: 48
; Occupancy: 8
; WaveLimiterHint : 0
; COMPUTE_PGM_RSRC2:SCRATCH_EN: 0
; COMPUTE_PGM_RSRC2:USER_SGPR: 2
; COMPUTE_PGM_RSRC2:TRAP_HANDLER: 0
; COMPUTE_PGM_RSRC2:TGID_X_EN: 1
; COMPUTE_PGM_RSRC2:TGID_Y_EN: 1
; COMPUTE_PGM_RSRC2:TGID_Z_EN: 1
; COMPUTE_PGM_RSRC2:TIDIG_COMP_CNT: 1
; COMPUTE_PGM_RSRC3_GFX90A:ACCUM_OFFSET: 11
; COMPUTE_PGM_RSRC3_GFX90A:TG_SPLIT: 0
	.section	.text._ZL29rocblas_internal_gemmt_kernelIiLi16ELi32ELi8ELc84ELc78ELc76ELb0ELb0EfPKfS1_PfEviT_T9_T10_S3_lS5_S3_lS4_T11_S3_li,"axG",@progbits,_ZL29rocblas_internal_gemmt_kernelIiLi16ELi32ELi8ELc84ELc78ELc76ELb0ELb0EfPKfS1_PfEviT_T9_T10_S3_lS5_S3_lS4_T11_S3_li,comdat
	.globl	_ZL29rocblas_internal_gemmt_kernelIiLi16ELi32ELi8ELc84ELc78ELc76ELb0ELb0EfPKfS1_PfEviT_T9_T10_S3_lS5_S3_lS4_T11_S3_li ; -- Begin function _ZL29rocblas_internal_gemmt_kernelIiLi16ELi32ELi8ELc84ELc78ELc76ELb0ELb0EfPKfS1_PfEviT_T9_T10_S3_lS5_S3_lS4_T11_S3_li
	.p2align	8
	.type	_ZL29rocblas_internal_gemmt_kernelIiLi16ELi32ELi8ELc84ELc78ELc76ELb0ELb0EfPKfS1_PfEviT_T9_T10_S3_lS5_S3_lS4_T11_S3_li,@function
_ZL29rocblas_internal_gemmt_kernelIiLi16ELi32ELi8ELc84ELc78ELc76ELb0ELb0EfPKfS1_PfEviT_T9_T10_S3_lS5_S3_lS4_T11_S3_li: ; @_ZL29rocblas_internal_gemmt_kernelIiLi16ELi32ELi8ELc84ELc78ELc76ELb0ELb0EfPKfS1_PfEviT_T9_T10_S3_lS5_S3_lS4_T11_S3_li
; %bb.0:
	s_load_dwordx4 s[8:11], s[0:1], 0x38
	s_load_dwordx4 s[12:15], s[0:1], 0x8
	s_waitcnt lgkmcnt(0)
	s_load_dword s22, s[10:11], 0x0
	s_load_dwordx2 s[20:21], s[0:1], 0x0
	s_load_dword s23, s[12:13], 0x0
	s_waitcnt lgkmcnt(0)
	v_cmp_neq_f32_e64 s[6:7], s22, 1.0
	s_and_b64 vcc, exec, s[6:7]
	s_cbranch_vccnz .LBB12_2
; %bb.1:
	s_cmp_lg_u32 s21, 0
	s_cselect_b64 s[6:7], -1, 0
	v_cmp_neq_f32_e64 s[10:11], s23, 0
	s_and_b64 s[6:7], s[6:7], s[10:11]
.LBB12_2:
	s_andn2_b64 vcc, exec, s[6:7]
	s_cbranch_vccnz .LBB12_26
; %bb.3:
	s_load_dwordx2 s[10:11], s[0:1], 0x48
	s_lshl_b32 s12, s2, 5
	s_lshl_b32 s5, s3, 5
	s_cmp_lt_i32 s21, 1
	v_cmp_eq_f32_e64 s[2:3], s23, 0
	s_cselect_b64 s[6:7], -1, 0
	v_mov_b32_e32 v3, 0
	s_or_b64 s[2:3], s[2:3], s[6:7]
	v_and_b32_e32 v9, 0x3ff, v0
	v_bfe_u32 v8, v0, 10, 10
	s_mov_b32 s13, 0
	s_and_b64 vcc, exec, s[2:3]
	v_mov_b32_e32 v2, v3
	v_mov_b32_e32 v1, v3
	;; [unrolled: 1-line block ×3, first 2 shown]
	s_cbranch_vccnz .LBB12_10
; %bb.4:
	v_lshl_add_u32 v0, v8, 4, v9
	v_lshrrev_b32_e32 v11, 5, v0
	v_lshrrev_b32_e32 v1, 3, v0
	v_and_b32_e32 v0, 31, v0
	v_or_b32_e32 v2, s12, v0
	v_and_b32_e32 v10, 7, v9
	v_cmp_gt_i32_e32 vcc, s20, v2
	v_lshlrev_b32_e32 v2, 2, v0
	s_load_dword s6, s[0:1], 0x18
	s_load_dwordx4 s[16:19], s[0:1], 0x20
	s_load_dword s24, s[0:1], 0x30
	v_lshl_or_b32 v12, v11, 7, v2
	v_lshlrev_b32_e32 v2, 2, v10
	v_add_u32_e32 v3, s5, v1
	v_lshl_or_b32 v1, v1, 5, v2
	v_add_u32_e32 v13, 0x400, v1
	v_mov_b32_e32 v1, 0x400
	v_add_u32_e32 v0, s12, v0
	v_lshl_add_u32 v15, v8, 5, v1
	s_waitcnt lgkmcnt(0)
	v_mad_i64_i32 v[0:1], s[6:7], s6, v0, 0
	s_mul_i32 s6, s17, s4
	s_mul_hi_u32 s7, s16, s4
	s_add_i32 s7, s7, s6
	s_mul_i32 s6, s16, s4
	s_lshl_b64 s[6:7], s[6:7], 2
	v_lshl_add_u64 v[4:5], v[0:1], 2, s[6:7]
	v_mad_i64_i32 v[6:7], s[6:7], s24, v3, 0
	s_mul_i32 s6, s9, s4
	s_mul_hi_u32 s7, s8, s4
	s_add_i32 s7, s7, s6
	s_mul_i32 s6, s8, s4
	v_mov_b32_e32 v1, 0
	s_lshl_b64 s[6:7], s[6:7], 2
	v_cmp_gt_i32_e64 s[2:3], s20, v3
	v_lshlrev_b32_e32 v0, 2, v11
	v_lshl_add_u64 v[6:7], v[6:7], 2, s[6:7]
	v_mov_b32_e32 v3, v1
	v_lshl_add_u64 v[4:5], v[4:5], 0, v[0:1]
	v_lshl_add_u64 v[2:3], v[6:7], 0, v[2:3]
	v_lshlrev_b32_e32 v14, 2, v9
	v_lshl_add_u64 v[4:5], s[14:15], 0, v[4:5]
	v_lshl_add_u64 v[6:7], s[18:19], 0, v[2:3]
	v_mov_b32_e32 v0, v1
	v_mov_b32_e32 v2, v1
	;; [unrolled: 1-line block ×3, first 2 shown]
	s_branch .LBB12_6
.LBB12_5:                               ;   in Loop: Header=BB12_6 Depth=1
	s_or_b64 exec, exec, s[6:7]
	s_waitcnt vmcnt(0)
	ds_write_b32 v13, v16
	s_waitcnt lgkmcnt(0)
	s_barrier
	ds_read_b128 v[16:19], v15
	ds_read_b128 v[20:23], v15 offset:16
	ds_read2_b32 v[32:33], v14 offset1:16
	ds_read2_b32 v[34:35], v14 offset0:32 offset1:48
	ds_read2_b32 v[36:37], v14 offset0:64 offset1:80
	;; [unrolled: 1-line block ×4, first 2 shown]
	ds_read_b128 v[24:27], v15 offset:512
	ds_read_b128 v[28:31], v15 offset:528
	ds_read2_b32 v[42:43], v14 offset0:160 offset1:176
	ds_read2_b32 v[44:45], v14 offset0:192 offset1:208
	;; [unrolled: 1-line block ×3, first 2 shown]
	s_waitcnt lgkmcnt(9)
	v_pk_fma_f32 v[2:3], v[32:33], v[16:17], v[2:3] op_sel_hi:[1,0,1]
	s_waitcnt lgkmcnt(4)
	v_pk_fma_f32 v[0:1], v[32:33], v[24:25], v[0:1] op_sel_hi:[1,0,1]
	v_pk_fma_f32 v[2:3], v[34:35], v[16:17], v[2:3] op_sel:[0,1,0]
	v_mov_b32_e32 v16, v19
	v_pk_fma_f32 v[2:3], v[36:37], v[18:19], v[2:3] op_sel_hi:[1,0,1]
	v_pk_fma_f32 v[0:1], v[34:35], v[24:25], v[0:1] op_sel:[0,1,0]
	v_pk_fma_f32 v[2:3], v[38:39], v[16:17], v[2:3] op_sel_hi:[1,0,1]
	v_mov_b32_e32 v16, v23
	v_pk_fma_f32 v[2:3], v[40:41], v[20:21], v[2:3] op_sel_hi:[1,0,1]
	v_pk_fma_f32 v[0:1], v[36:37], v[26:27], v[0:1] op_sel_hi:[1,0,1]
	s_waitcnt lgkmcnt(2)
	v_pk_fma_f32 v[2:3], v[42:43], v[20:21], v[2:3] op_sel:[0,1,0]
	s_add_i32 s13, s13, 8
	s_waitcnt lgkmcnt(1)
	v_pk_fma_f32 v[2:3], v[44:45], v[22:23], v[2:3] op_sel_hi:[1,0,1]
	v_lshl_add_u64 v[4:5], v[4:5], 0, 32
	s_waitcnt lgkmcnt(0)
	v_pk_fma_f32 v[2:3], v[46:47], v[16:17], v[2:3] op_sel_hi:[1,0,1]
	v_mov_b32_e32 v16, v27
	v_pk_fma_f32 v[0:1], v[38:39], v[16:17], v[0:1] op_sel_hi:[1,0,1]
	v_mov_b32_e32 v16, v31
	v_pk_fma_f32 v[0:1], v[40:41], v[28:29], v[0:1] op_sel_hi:[1,0,1]
	s_cmp_lt_i32 s13, s21
	v_pk_fma_f32 v[0:1], v[42:43], v[28:29], v[0:1] op_sel:[0,1,0]
	v_lshl_add_u64 v[6:7], v[6:7], 0, 32
	v_pk_fma_f32 v[0:1], v[44:45], v[30:31], v[0:1] op_sel_hi:[1,0,1]
	s_nop 0
	v_pk_fma_f32 v[0:1], v[46:47], v[16:17], v[0:1] op_sel_hi:[1,0,1]
	s_barrier
	s_cbranch_scc0 .LBB12_10
.LBB12_6:                               ; =>This Inner Loop Header: Depth=1
	v_add_u32_e32 v16, s13, v11
	v_cmp_gt_i32_e64 s[6:7], s21, v16
	s_and_b64 s[8:9], vcc, s[6:7]
	v_mov_b32_e32 v16, 0
	s_and_saveexec_b64 s[6:7], s[8:9]
	s_cbranch_execz .LBB12_8
; %bb.7:                                ;   in Loop: Header=BB12_6 Depth=1
	global_load_dword v16, v[4:5], off
.LBB12_8:                               ;   in Loop: Header=BB12_6 Depth=1
	s_or_b64 exec, exec, s[6:7]
	s_waitcnt vmcnt(0)
	ds_write_b32 v12, v16
	v_add_u32_e32 v16, s13, v10
	v_cmp_gt_i32_e64 s[6:7], s21, v16
	s_and_b64 s[8:9], s[6:7], s[2:3]
	v_mov_b32_e32 v16, 0
	s_and_saveexec_b64 s[6:7], s[8:9]
	s_cbranch_execz .LBB12_5
; %bb.9:                                ;   in Loop: Header=BB12_6 Depth=1
	global_load_dword v16, v[6:7], off
	s_branch .LBB12_5
.LBB12_10:
	s_load_dwordx2 s[2:3], s[0:1], 0x58
	s_load_dword s13, s[0:1], 0x50
	v_add_u32_e32 v10, s5, v8
	v_add_u32_e32 v4, s12, v9
	v_cmp_le_i32_e32 vcc, v10, v4
	s_waitcnt lgkmcnt(0)
	s_mul_i32 s1, s3, s4
	s_mul_hi_u32 s3, s2, s4
	s_mul_i32 s0, s2, s4
	s_add_i32 s1, s3, s1
	s_lshl_b64 s[0:1], s[0:1], 2
	s_add_u32 s6, s10, s0
	s_addc_u32 s7, s11, s1
	v_mad_i64_i32 v[6:7], s[0:1], v10, s13, 0
	v_cmp_neq_f32_e64 s[0:1], s22, 0
	v_lshl_add_u64 v[8:9], v[6:7], 2, s[6:7]
	v_cmp_gt_i32_e64 s[2:3], s20, v4
	v_cndmask_b32_e64 v6, 0, 1, s[0:1]
	s_and_b64 s[8:9], vcc, s[2:3]
	v_ashrrev_i32_e32 v5, 31, v4
	v_cmp_ne_u32_e64 s[0:1], 1, v6
	s_and_saveexec_b64 s[4:5], s[8:9]
	s_cbranch_execz .LBB12_14
; %bb.11:
	v_mul_f32_e32 v2, s23, v2
	s_and_b64 vcc, exec, s[0:1]
	v_lshl_add_u64 v[6:7], v[4:5], 2, v[8:9]
	s_cbranch_vccnz .LBB12_13
; %bb.12:
	global_load_dword v11, v[6:7], off
	s_waitcnt vmcnt(0)
	v_fmac_f32_e32 v2, s22, v11
.LBB12_13:
	global_store_dword v[6:7], v2, off
.LBB12_14:
	s_or_b64 exec, exec, s[4:5]
	v_add_u32_e32 v6, 16, v4
	v_cmp_le_i32_e32 vcc, v10, v6
	v_cmp_gt_i32_e64 s[4:5], s20, v6
	s_and_b64 s[10:11], vcc, s[4:5]
	v_ashrrev_i32_e32 v7, 31, v6
	s_and_saveexec_b64 s[8:9], s[10:11]
	s_cbranch_execz .LBB12_18
; %bb.15:
	v_mul_f32_e32 v11, s23, v3
	s_and_b64 vcc, exec, s[0:1]
	v_lshl_add_u64 v[2:3], v[6:7], 2, v[8:9]
	s_cbranch_vccnz .LBB12_17
; %bb.16:
	global_load_dword v8, v[2:3], off
	s_waitcnt vmcnt(0)
	v_fmac_f32_e32 v11, s22, v8
.LBB12_17:
	global_store_dword v[2:3], v11, off
.LBB12_18:
	s_or_b64 exec, exec, s[8:9]
	v_add_u32_e32 v8, 16, v10
	v_mad_i64_i32 v[2:3], s[8:9], v8, s13, 0
	v_cmp_le_i32_e32 vcc, v8, v4
	v_lshl_add_u64 v[2:3], v[2:3], 2, s[6:7]
	s_and_b64 s[6:7], vcc, s[2:3]
	s_and_saveexec_b64 s[2:3], s[6:7]
	s_cbranch_execz .LBB12_22
; %bb.19:
	v_mul_f32_e32 v0, s23, v0
	s_and_b64 vcc, exec, s[0:1]
	v_lshl_add_u64 v[4:5], v[4:5], 2, v[2:3]
	s_cbranch_vccnz .LBB12_21
; %bb.20:
	global_load_dword v9, v[4:5], off
	s_waitcnt vmcnt(0)
	v_fmac_f32_e32 v0, s22, v9
.LBB12_21:
	global_store_dword v[4:5], v0, off
.LBB12_22:
	s_or_b64 exec, exec, s[2:3]
	v_cmp_le_i32_e32 vcc, v8, v6
	s_and_b64 s[2:3], vcc, s[4:5]
	s_and_saveexec_b64 s[4:5], s[2:3]
	s_cbranch_execz .LBB12_26
; %bb.23:
	v_mul_f32_e32 v4, s23, v1
	s_and_b64 vcc, exec, s[0:1]
	v_lshl_add_u64 v[0:1], v[6:7], 2, v[2:3]
	s_cbranch_vccnz .LBB12_25
; %bb.24:
	global_load_dword v2, v[0:1], off
	s_waitcnt vmcnt(0)
	v_fmac_f32_e32 v4, s22, v2
.LBB12_25:
	global_store_dword v[0:1], v4, off
.LBB12_26:
	s_endpgm
	.section	.rodata,"a",@progbits
	.p2align	6, 0x0
	.amdhsa_kernel _ZL29rocblas_internal_gemmt_kernelIiLi16ELi32ELi8ELc84ELc78ELc76ELb0ELb0EfPKfS1_PfEviT_T9_T10_S3_lS5_S3_lS4_T11_S3_li
		.amdhsa_group_segment_fixed_size 2048
		.amdhsa_private_segment_fixed_size 0
		.amdhsa_kernarg_size 100
		.amdhsa_user_sgpr_count 2
		.amdhsa_user_sgpr_dispatch_ptr 0
		.amdhsa_user_sgpr_queue_ptr 0
		.amdhsa_user_sgpr_kernarg_segment_ptr 1
		.amdhsa_user_sgpr_dispatch_id 0
		.amdhsa_user_sgpr_kernarg_preload_length 0
		.amdhsa_user_sgpr_kernarg_preload_offset 0
		.amdhsa_user_sgpr_private_segment_size 0
		.amdhsa_uses_dynamic_stack 0
		.amdhsa_enable_private_segment 0
		.amdhsa_system_sgpr_workgroup_id_x 1
		.amdhsa_system_sgpr_workgroup_id_y 1
		.amdhsa_system_sgpr_workgroup_id_z 1
		.amdhsa_system_sgpr_workgroup_info 0
		.amdhsa_system_vgpr_workitem_id 1
		.amdhsa_next_free_vgpr 48
		.amdhsa_next_free_sgpr 25
		.amdhsa_accum_offset 48
		.amdhsa_reserve_vcc 1
		.amdhsa_float_round_mode_32 0
		.amdhsa_float_round_mode_16_64 0
		.amdhsa_float_denorm_mode_32 3
		.amdhsa_float_denorm_mode_16_64 3
		.amdhsa_dx10_clamp 1
		.amdhsa_ieee_mode 1
		.amdhsa_fp16_overflow 0
		.amdhsa_tg_split 0
		.amdhsa_exception_fp_ieee_invalid_op 0
		.amdhsa_exception_fp_denorm_src 0
		.amdhsa_exception_fp_ieee_div_zero 0
		.amdhsa_exception_fp_ieee_overflow 0
		.amdhsa_exception_fp_ieee_underflow 0
		.amdhsa_exception_fp_ieee_inexact 0
		.amdhsa_exception_int_div_zero 0
	.end_amdhsa_kernel
	.section	.text._ZL29rocblas_internal_gemmt_kernelIiLi16ELi32ELi8ELc84ELc78ELc76ELb0ELb0EfPKfS1_PfEviT_T9_T10_S3_lS5_S3_lS4_T11_S3_li,"axG",@progbits,_ZL29rocblas_internal_gemmt_kernelIiLi16ELi32ELi8ELc84ELc78ELc76ELb0ELb0EfPKfS1_PfEviT_T9_T10_S3_lS5_S3_lS4_T11_S3_li,comdat
.Lfunc_end12:
	.size	_ZL29rocblas_internal_gemmt_kernelIiLi16ELi32ELi8ELc84ELc78ELc76ELb0ELb0EfPKfS1_PfEviT_T9_T10_S3_lS5_S3_lS4_T11_S3_li, .Lfunc_end12-_ZL29rocblas_internal_gemmt_kernelIiLi16ELi32ELi8ELc84ELc78ELc76ELb0ELb0EfPKfS1_PfEviT_T9_T10_S3_lS5_S3_lS4_T11_S3_li
                                        ; -- End function
	.set _ZL29rocblas_internal_gemmt_kernelIiLi16ELi32ELi8ELc84ELc78ELc76ELb0ELb0EfPKfS1_PfEviT_T9_T10_S3_lS5_S3_lS4_T11_S3_li.num_vgpr, 48
	.set _ZL29rocblas_internal_gemmt_kernelIiLi16ELi32ELi8ELc84ELc78ELc76ELb0ELb0EfPKfS1_PfEviT_T9_T10_S3_lS5_S3_lS4_T11_S3_li.num_agpr, 0
	.set _ZL29rocblas_internal_gemmt_kernelIiLi16ELi32ELi8ELc84ELc78ELc76ELb0ELb0EfPKfS1_PfEviT_T9_T10_S3_lS5_S3_lS4_T11_S3_li.numbered_sgpr, 25
	.set _ZL29rocblas_internal_gemmt_kernelIiLi16ELi32ELi8ELc84ELc78ELc76ELb0ELb0EfPKfS1_PfEviT_T9_T10_S3_lS5_S3_lS4_T11_S3_li.num_named_barrier, 0
	.set _ZL29rocblas_internal_gemmt_kernelIiLi16ELi32ELi8ELc84ELc78ELc76ELb0ELb0EfPKfS1_PfEviT_T9_T10_S3_lS5_S3_lS4_T11_S3_li.private_seg_size, 0
	.set _ZL29rocblas_internal_gemmt_kernelIiLi16ELi32ELi8ELc84ELc78ELc76ELb0ELb0EfPKfS1_PfEviT_T9_T10_S3_lS5_S3_lS4_T11_S3_li.uses_vcc, 1
	.set _ZL29rocblas_internal_gemmt_kernelIiLi16ELi32ELi8ELc84ELc78ELc76ELb0ELb0EfPKfS1_PfEviT_T9_T10_S3_lS5_S3_lS4_T11_S3_li.uses_flat_scratch, 0
	.set _ZL29rocblas_internal_gemmt_kernelIiLi16ELi32ELi8ELc84ELc78ELc76ELb0ELb0EfPKfS1_PfEviT_T9_T10_S3_lS5_S3_lS4_T11_S3_li.has_dyn_sized_stack, 0
	.set _ZL29rocblas_internal_gemmt_kernelIiLi16ELi32ELi8ELc84ELc78ELc76ELb0ELb0EfPKfS1_PfEviT_T9_T10_S3_lS5_S3_lS4_T11_S3_li.has_recursion, 0
	.set _ZL29rocblas_internal_gemmt_kernelIiLi16ELi32ELi8ELc84ELc78ELc76ELb0ELb0EfPKfS1_PfEviT_T9_T10_S3_lS5_S3_lS4_T11_S3_li.has_indirect_call, 0
	.section	.AMDGPU.csdata,"",@progbits
; Kernel info:
; codeLenInByte = 1244
; TotalNumSgprs: 31
; NumVgprs: 48
; NumAgprs: 0
; TotalNumVgprs: 48
; ScratchSize: 0
; MemoryBound: 0
; FloatMode: 240
; IeeeMode: 1
; LDSByteSize: 2048 bytes/workgroup (compile time only)
; SGPRBlocks: 3
; VGPRBlocks: 5
; NumSGPRsForWavesPerEU: 31
; NumVGPRsForWavesPerEU: 48
; AccumOffset: 48
; Occupancy: 8
; WaveLimiterHint : 0
; COMPUTE_PGM_RSRC2:SCRATCH_EN: 0
; COMPUTE_PGM_RSRC2:USER_SGPR: 2
; COMPUTE_PGM_RSRC2:TRAP_HANDLER: 0
; COMPUTE_PGM_RSRC2:TGID_X_EN: 1
; COMPUTE_PGM_RSRC2:TGID_Y_EN: 1
; COMPUTE_PGM_RSRC2:TGID_Z_EN: 1
; COMPUTE_PGM_RSRC2:TIDIG_COMP_CNT: 1
; COMPUTE_PGM_RSRC3_GFX90A:ACCUM_OFFSET: 11
; COMPUTE_PGM_RSRC3_GFX90A:TG_SPLIT: 0
	.section	.text._ZL29rocblas_internal_gemmt_kernelIiLi16ELi32ELi8ELc84ELc84ELc76ELb0ELb0EfPKfS1_PfEviT_T9_T10_S3_lS5_S3_lS4_T11_S3_li,"axG",@progbits,_ZL29rocblas_internal_gemmt_kernelIiLi16ELi32ELi8ELc84ELc84ELc76ELb0ELb0EfPKfS1_PfEviT_T9_T10_S3_lS5_S3_lS4_T11_S3_li,comdat
	.globl	_ZL29rocblas_internal_gemmt_kernelIiLi16ELi32ELi8ELc84ELc84ELc76ELb0ELb0EfPKfS1_PfEviT_T9_T10_S3_lS5_S3_lS4_T11_S3_li ; -- Begin function _ZL29rocblas_internal_gemmt_kernelIiLi16ELi32ELi8ELc84ELc84ELc76ELb0ELb0EfPKfS1_PfEviT_T9_T10_S3_lS5_S3_lS4_T11_S3_li
	.p2align	8
	.type	_ZL29rocblas_internal_gemmt_kernelIiLi16ELi32ELi8ELc84ELc84ELc76ELb0ELb0EfPKfS1_PfEviT_T9_T10_S3_lS5_S3_lS4_T11_S3_li,@function
_ZL29rocblas_internal_gemmt_kernelIiLi16ELi32ELi8ELc84ELc84ELc76ELb0ELb0EfPKfS1_PfEviT_T9_T10_S3_lS5_S3_lS4_T11_S3_li: ; @_ZL29rocblas_internal_gemmt_kernelIiLi16ELi32ELi8ELc84ELc84ELc76ELb0ELb0EfPKfS1_PfEviT_T9_T10_S3_lS5_S3_lS4_T11_S3_li
; %bb.0:
	s_load_dwordx4 s[8:11], s[0:1], 0x38
	s_load_dwordx4 s[12:15], s[0:1], 0x8
	s_waitcnt lgkmcnt(0)
	s_load_dword s22, s[10:11], 0x0
	s_load_dwordx2 s[20:21], s[0:1], 0x0
	s_load_dword s23, s[12:13], 0x0
	s_waitcnt lgkmcnt(0)
	v_cmp_neq_f32_e64 s[6:7], s22, 1.0
	s_and_b64 vcc, exec, s[6:7]
	s_cbranch_vccnz .LBB13_2
; %bb.1:
	s_cmp_lg_u32 s21, 0
	s_cselect_b64 s[6:7], -1, 0
	v_cmp_neq_f32_e64 s[10:11], s23, 0
	s_and_b64 s[6:7], s[6:7], s[10:11]
.LBB13_2:
	s_andn2_b64 vcc, exec, s[6:7]
	s_cbranch_vccnz .LBB13_26
; %bb.3:
	s_load_dwordx2 s[10:11], s[0:1], 0x48
	s_lshl_b32 s12, s2, 5
	s_lshl_b32 s5, s3, 5
	s_cmp_lt_i32 s21, 1
	v_cmp_eq_f32_e64 s[2:3], s23, 0
	s_cselect_b64 s[6:7], -1, 0
	v_mov_b32_e32 v3, 0
	s_or_b64 s[2:3], s[2:3], s[6:7]
	v_and_b32_e32 v9, 0x3ff, v0
	v_bfe_u32 v8, v0, 10, 10
	s_mov_b32 s13, 0
	s_and_b64 vcc, exec, s[2:3]
	v_mov_b32_e32 v2, v3
	v_mov_b32_e32 v1, v3
	;; [unrolled: 1-line block ×3, first 2 shown]
	s_cbranch_vccnz .LBB13_10
; %bb.4:
	v_lshl_add_u32 v0, v8, 4, v9
	v_lshrrev_b32_e32 v11, 5, v0
	v_lshrrev_b32_e32 v1, 3, v0
	v_and_b32_e32 v0, 31, v0
	v_or_b32_e32 v3, s12, v0
	s_load_dword s24, s[0:1], 0x18
	s_load_dword s6, s[0:1], 0x30
	s_load_dwordx4 s[16:19], s[0:1], 0x20
	v_and_b32_e32 v10, 7, v9
	v_cmp_gt_i32_e32 vcc, s20, v3
	v_lshlrev_b32_e32 v3, 2, v0
	v_lshl_or_b32 v12, v11, 7, v3
	v_lshlrev_b32_e32 v3, 2, v10
	v_add_u32_e32 v2, s5, v1
	v_lshl_or_b32 v1, v1, 5, v3
	v_add_u32_e32 v13, 0x400, v1
	v_mov_b32_e32 v1, 0x400
	v_add_u32_e32 v0, s12, v0
	v_lshl_add_u32 v15, v8, 5, v1
	s_waitcnt lgkmcnt(0)
	v_mad_i64_i32 v[0:1], s[24:25], s24, v0, 0
	s_mul_i32 s17, s17, s4
	s_mul_hi_u32 s24, s16, s4
	s_add_i32 s17, s24, s17
	s_mul_i32 s16, s16, s4
	s_lshl_b64 s[16:17], s[16:17], 2
	v_lshl_add_u64 v[4:5], v[0:1], 2, s[16:17]
	v_lshlrev_b32_e32 v0, 2, v11
	v_mov_b32_e32 v1, 0
	v_lshl_add_u64 v[4:5], v[4:5], 0, v[0:1]
	v_lshl_add_u64 v[4:5], s[14:15], 0, v[4:5]
	s_mul_i32 s9, s9, s4
	s_mul_hi_u32 s14, s8, s4
	s_add_i32 s9, s14, s9
	v_mad_i64_i32 v[6:7], s[14:15], s6, v10, 0
	s_mul_i32 s8, s8, s4
	v_lshlrev_b64 v[6:7], 2, v[6:7]
	v_ashrrev_i32_e32 v3, 31, v2
	v_lshl_add_u64 v[6:7], s[8:9], 2, v[6:7]
	s_ashr_i32 s7, s6, 31
	v_cmp_gt_i32_e64 s[2:3], s20, v2
	v_lshl_add_u64 v[2:3], v[2:3], 2, v[6:7]
	v_lshlrev_b32_e32 v14, 2, v9
	v_lshl_add_u64 v[6:7], s[18:19], 0, v[2:3]
	s_lshl_b64 s[8:9], s[6:7], 5
	v_mov_b32_e32 v0, v1
	v_mov_b32_e32 v2, v1
	;; [unrolled: 1-line block ×3, first 2 shown]
	s_branch .LBB13_6
.LBB13_5:                               ;   in Loop: Header=BB13_6 Depth=1
	s_or_b64 exec, exec, s[6:7]
	s_waitcnt vmcnt(0)
	ds_write_b32 v13, v16
	s_waitcnt lgkmcnt(0)
	s_barrier
	ds_read_b128 v[16:19], v15
	ds_read_b128 v[20:23], v15 offset:16
	ds_read2_b32 v[32:33], v14 offset1:16
	ds_read2_b32 v[34:35], v14 offset0:32 offset1:48
	ds_read2_b32 v[36:37], v14 offset0:64 offset1:80
	;; [unrolled: 1-line block ×4, first 2 shown]
	ds_read_b128 v[24:27], v15 offset:512
	ds_read_b128 v[28:31], v15 offset:528
	ds_read2_b32 v[42:43], v14 offset0:160 offset1:176
	ds_read2_b32 v[44:45], v14 offset0:192 offset1:208
	;; [unrolled: 1-line block ×3, first 2 shown]
	s_waitcnt lgkmcnt(9)
	v_pk_fma_f32 v[2:3], v[32:33], v[16:17], v[2:3] op_sel_hi:[1,0,1]
	s_waitcnt lgkmcnt(4)
	v_pk_fma_f32 v[0:1], v[32:33], v[24:25], v[0:1] op_sel_hi:[1,0,1]
	v_pk_fma_f32 v[2:3], v[34:35], v[16:17], v[2:3] op_sel:[0,1,0]
	v_mov_b32_e32 v16, v19
	v_pk_fma_f32 v[2:3], v[36:37], v[18:19], v[2:3] op_sel_hi:[1,0,1]
	v_pk_fma_f32 v[0:1], v[34:35], v[24:25], v[0:1] op_sel:[0,1,0]
	v_pk_fma_f32 v[2:3], v[38:39], v[16:17], v[2:3] op_sel_hi:[1,0,1]
	v_mov_b32_e32 v16, v23
	v_pk_fma_f32 v[2:3], v[40:41], v[20:21], v[2:3] op_sel_hi:[1,0,1]
	v_pk_fma_f32 v[0:1], v[36:37], v[26:27], v[0:1] op_sel_hi:[1,0,1]
	s_waitcnt lgkmcnt(2)
	v_pk_fma_f32 v[2:3], v[42:43], v[20:21], v[2:3] op_sel:[0,1,0]
	s_add_i32 s13, s13, 8
	s_waitcnt lgkmcnt(1)
	v_pk_fma_f32 v[2:3], v[44:45], v[22:23], v[2:3] op_sel_hi:[1,0,1]
	v_lshl_add_u64 v[4:5], v[4:5], 0, 32
	s_waitcnt lgkmcnt(0)
	v_pk_fma_f32 v[2:3], v[46:47], v[16:17], v[2:3] op_sel_hi:[1,0,1]
	v_mov_b32_e32 v16, v27
	v_pk_fma_f32 v[0:1], v[38:39], v[16:17], v[0:1] op_sel_hi:[1,0,1]
	v_mov_b32_e32 v16, v31
	v_pk_fma_f32 v[0:1], v[40:41], v[28:29], v[0:1] op_sel_hi:[1,0,1]
	s_cmp_lt_i32 s13, s21
	v_pk_fma_f32 v[0:1], v[42:43], v[28:29], v[0:1] op_sel:[0,1,0]
	v_lshl_add_u64 v[6:7], v[6:7], 0, s[8:9]
	v_pk_fma_f32 v[0:1], v[44:45], v[30:31], v[0:1] op_sel_hi:[1,0,1]
	s_nop 0
	v_pk_fma_f32 v[0:1], v[46:47], v[16:17], v[0:1] op_sel_hi:[1,0,1]
	s_barrier
	s_cbranch_scc0 .LBB13_10
.LBB13_6:                               ; =>This Inner Loop Header: Depth=1
	v_add_u32_e32 v16, s13, v11
	v_cmp_gt_i32_e64 s[6:7], s21, v16
	s_and_b64 s[14:15], vcc, s[6:7]
	v_mov_b32_e32 v16, 0
	s_and_saveexec_b64 s[6:7], s[14:15]
	s_cbranch_execz .LBB13_8
; %bb.7:                                ;   in Loop: Header=BB13_6 Depth=1
	global_load_dword v16, v[4:5], off
.LBB13_8:                               ;   in Loop: Header=BB13_6 Depth=1
	s_or_b64 exec, exec, s[6:7]
	s_waitcnt vmcnt(0)
	ds_write_b32 v12, v16
	v_add_u32_e32 v16, s13, v10
	v_cmp_gt_i32_e64 s[6:7], s21, v16
	s_and_b64 s[14:15], s[6:7], s[2:3]
	v_mov_b32_e32 v16, 0
	s_and_saveexec_b64 s[6:7], s[14:15]
	s_cbranch_execz .LBB13_5
; %bb.9:                                ;   in Loop: Header=BB13_6 Depth=1
	global_load_dword v16, v[6:7], off
	s_branch .LBB13_5
.LBB13_10:
	s_load_dwordx2 s[2:3], s[0:1], 0x58
	s_load_dword s13, s[0:1], 0x50
	v_add_u32_e32 v10, s5, v8
	v_add_u32_e32 v4, s12, v9
	v_cmp_le_i32_e32 vcc, v10, v4
	s_waitcnt lgkmcnt(0)
	s_mul_i32 s1, s3, s4
	s_mul_hi_u32 s3, s2, s4
	s_mul_i32 s0, s2, s4
	s_add_i32 s1, s3, s1
	s_lshl_b64 s[0:1], s[0:1], 2
	s_add_u32 s6, s10, s0
	s_addc_u32 s7, s11, s1
	v_mad_i64_i32 v[6:7], s[0:1], v10, s13, 0
	v_cmp_neq_f32_e64 s[0:1], s22, 0
	v_lshl_add_u64 v[8:9], v[6:7], 2, s[6:7]
	v_cmp_gt_i32_e64 s[2:3], s20, v4
	v_cndmask_b32_e64 v6, 0, 1, s[0:1]
	s_and_b64 s[8:9], vcc, s[2:3]
	v_ashrrev_i32_e32 v5, 31, v4
	v_cmp_ne_u32_e64 s[0:1], 1, v6
	s_and_saveexec_b64 s[4:5], s[8:9]
	s_cbranch_execz .LBB13_14
; %bb.11:
	v_mul_f32_e32 v2, s23, v2
	s_and_b64 vcc, exec, s[0:1]
	v_lshl_add_u64 v[6:7], v[4:5], 2, v[8:9]
	s_cbranch_vccnz .LBB13_13
; %bb.12:
	global_load_dword v11, v[6:7], off
	s_waitcnt vmcnt(0)
	v_fmac_f32_e32 v2, s22, v11
.LBB13_13:
	global_store_dword v[6:7], v2, off
.LBB13_14:
	s_or_b64 exec, exec, s[4:5]
	v_add_u32_e32 v6, 16, v4
	v_cmp_le_i32_e32 vcc, v10, v6
	v_cmp_gt_i32_e64 s[4:5], s20, v6
	s_and_b64 s[10:11], vcc, s[4:5]
	v_ashrrev_i32_e32 v7, 31, v6
	s_and_saveexec_b64 s[8:9], s[10:11]
	s_cbranch_execz .LBB13_18
; %bb.15:
	v_mul_f32_e32 v11, s23, v3
	s_and_b64 vcc, exec, s[0:1]
	v_lshl_add_u64 v[2:3], v[6:7], 2, v[8:9]
	s_cbranch_vccnz .LBB13_17
; %bb.16:
	global_load_dword v8, v[2:3], off
	s_waitcnt vmcnt(0)
	v_fmac_f32_e32 v11, s22, v8
.LBB13_17:
	global_store_dword v[2:3], v11, off
.LBB13_18:
	s_or_b64 exec, exec, s[8:9]
	v_add_u32_e32 v8, 16, v10
	v_mad_i64_i32 v[2:3], s[8:9], v8, s13, 0
	v_cmp_le_i32_e32 vcc, v8, v4
	v_lshl_add_u64 v[2:3], v[2:3], 2, s[6:7]
	s_and_b64 s[6:7], vcc, s[2:3]
	s_and_saveexec_b64 s[2:3], s[6:7]
	s_cbranch_execz .LBB13_22
; %bb.19:
	v_mul_f32_e32 v0, s23, v0
	s_and_b64 vcc, exec, s[0:1]
	v_lshl_add_u64 v[4:5], v[4:5], 2, v[2:3]
	s_cbranch_vccnz .LBB13_21
; %bb.20:
	global_load_dword v9, v[4:5], off
	s_waitcnt vmcnt(0)
	v_fmac_f32_e32 v0, s22, v9
.LBB13_21:
	global_store_dword v[4:5], v0, off
.LBB13_22:
	s_or_b64 exec, exec, s[2:3]
	v_cmp_le_i32_e32 vcc, v8, v6
	s_and_b64 s[2:3], vcc, s[4:5]
	s_and_saveexec_b64 s[4:5], s[2:3]
	s_cbranch_execz .LBB13_26
; %bb.23:
	v_mul_f32_e32 v4, s23, v1
	s_and_b64 vcc, exec, s[0:1]
	v_lshl_add_u64 v[0:1], v[6:7], 2, v[2:3]
	s_cbranch_vccnz .LBB13_25
; %bb.24:
	global_load_dword v2, v[0:1], off
	s_waitcnt vmcnt(0)
	v_fmac_f32_e32 v4, s22, v2
.LBB13_25:
	global_store_dword v[0:1], v4, off
.LBB13_26:
	s_endpgm
	.section	.rodata,"a",@progbits
	.p2align	6, 0x0
	.amdhsa_kernel _ZL29rocblas_internal_gemmt_kernelIiLi16ELi32ELi8ELc84ELc84ELc76ELb0ELb0EfPKfS1_PfEviT_T9_T10_S3_lS5_S3_lS4_T11_S3_li
		.amdhsa_group_segment_fixed_size 2048
		.amdhsa_private_segment_fixed_size 0
		.amdhsa_kernarg_size 100
		.amdhsa_user_sgpr_count 2
		.amdhsa_user_sgpr_dispatch_ptr 0
		.amdhsa_user_sgpr_queue_ptr 0
		.amdhsa_user_sgpr_kernarg_segment_ptr 1
		.amdhsa_user_sgpr_dispatch_id 0
		.amdhsa_user_sgpr_kernarg_preload_length 0
		.amdhsa_user_sgpr_kernarg_preload_offset 0
		.amdhsa_user_sgpr_private_segment_size 0
		.amdhsa_uses_dynamic_stack 0
		.amdhsa_enable_private_segment 0
		.amdhsa_system_sgpr_workgroup_id_x 1
		.amdhsa_system_sgpr_workgroup_id_y 1
		.amdhsa_system_sgpr_workgroup_id_z 1
		.amdhsa_system_sgpr_workgroup_info 0
		.amdhsa_system_vgpr_workitem_id 1
		.amdhsa_next_free_vgpr 48
		.amdhsa_next_free_sgpr 26
		.amdhsa_accum_offset 48
		.amdhsa_reserve_vcc 1
		.amdhsa_float_round_mode_32 0
		.amdhsa_float_round_mode_16_64 0
		.amdhsa_float_denorm_mode_32 3
		.amdhsa_float_denorm_mode_16_64 3
		.amdhsa_dx10_clamp 1
		.amdhsa_ieee_mode 1
		.amdhsa_fp16_overflow 0
		.amdhsa_tg_split 0
		.amdhsa_exception_fp_ieee_invalid_op 0
		.amdhsa_exception_fp_denorm_src 0
		.amdhsa_exception_fp_ieee_div_zero 0
		.amdhsa_exception_fp_ieee_overflow 0
		.amdhsa_exception_fp_ieee_underflow 0
		.amdhsa_exception_fp_ieee_inexact 0
		.amdhsa_exception_int_div_zero 0
	.end_amdhsa_kernel
	.section	.text._ZL29rocblas_internal_gemmt_kernelIiLi16ELi32ELi8ELc84ELc84ELc76ELb0ELb0EfPKfS1_PfEviT_T9_T10_S3_lS5_S3_lS4_T11_S3_li,"axG",@progbits,_ZL29rocblas_internal_gemmt_kernelIiLi16ELi32ELi8ELc84ELc84ELc76ELb0ELb0EfPKfS1_PfEviT_T9_T10_S3_lS5_S3_lS4_T11_S3_li,comdat
.Lfunc_end13:
	.size	_ZL29rocblas_internal_gemmt_kernelIiLi16ELi32ELi8ELc84ELc84ELc76ELb0ELb0EfPKfS1_PfEviT_T9_T10_S3_lS5_S3_lS4_T11_S3_li, .Lfunc_end13-_ZL29rocblas_internal_gemmt_kernelIiLi16ELi32ELi8ELc84ELc84ELc76ELb0ELb0EfPKfS1_PfEviT_T9_T10_S3_lS5_S3_lS4_T11_S3_li
                                        ; -- End function
	.set _ZL29rocblas_internal_gemmt_kernelIiLi16ELi32ELi8ELc84ELc84ELc76ELb0ELb0EfPKfS1_PfEviT_T9_T10_S3_lS5_S3_lS4_T11_S3_li.num_vgpr, 48
	.set _ZL29rocblas_internal_gemmt_kernelIiLi16ELi32ELi8ELc84ELc84ELc76ELb0ELb0EfPKfS1_PfEviT_T9_T10_S3_lS5_S3_lS4_T11_S3_li.num_agpr, 0
	.set _ZL29rocblas_internal_gemmt_kernelIiLi16ELi32ELi8ELc84ELc84ELc76ELb0ELb0EfPKfS1_PfEviT_T9_T10_S3_lS5_S3_lS4_T11_S3_li.numbered_sgpr, 26
	.set _ZL29rocblas_internal_gemmt_kernelIiLi16ELi32ELi8ELc84ELc84ELc76ELb0ELb0EfPKfS1_PfEviT_T9_T10_S3_lS5_S3_lS4_T11_S3_li.num_named_barrier, 0
	.set _ZL29rocblas_internal_gemmt_kernelIiLi16ELi32ELi8ELc84ELc84ELc76ELb0ELb0EfPKfS1_PfEviT_T9_T10_S3_lS5_S3_lS4_T11_S3_li.private_seg_size, 0
	.set _ZL29rocblas_internal_gemmt_kernelIiLi16ELi32ELi8ELc84ELc84ELc76ELb0ELb0EfPKfS1_PfEviT_T9_T10_S3_lS5_S3_lS4_T11_S3_li.uses_vcc, 1
	.set _ZL29rocblas_internal_gemmt_kernelIiLi16ELi32ELi8ELc84ELc84ELc76ELb0ELb0EfPKfS1_PfEviT_T9_T10_S3_lS5_S3_lS4_T11_S3_li.uses_flat_scratch, 0
	.set _ZL29rocblas_internal_gemmt_kernelIiLi16ELi32ELi8ELc84ELc84ELc76ELb0ELb0EfPKfS1_PfEviT_T9_T10_S3_lS5_S3_lS4_T11_S3_li.has_dyn_sized_stack, 0
	.set _ZL29rocblas_internal_gemmt_kernelIiLi16ELi32ELi8ELc84ELc84ELc76ELb0ELb0EfPKfS1_PfEviT_T9_T10_S3_lS5_S3_lS4_T11_S3_li.has_recursion, 0
	.set _ZL29rocblas_internal_gemmt_kernelIiLi16ELi32ELi8ELc84ELc84ELc76ELb0ELb0EfPKfS1_PfEviT_T9_T10_S3_lS5_S3_lS4_T11_S3_li.has_indirect_call, 0
	.section	.AMDGPU.csdata,"",@progbits
; Kernel info:
; codeLenInByte = 1256
; TotalNumSgprs: 32
; NumVgprs: 48
; NumAgprs: 0
; TotalNumVgprs: 48
; ScratchSize: 0
; MemoryBound: 0
; FloatMode: 240
; IeeeMode: 1
; LDSByteSize: 2048 bytes/workgroup (compile time only)
; SGPRBlocks: 3
; VGPRBlocks: 5
; NumSGPRsForWavesPerEU: 32
; NumVGPRsForWavesPerEU: 48
; AccumOffset: 48
; Occupancy: 8
; WaveLimiterHint : 0
; COMPUTE_PGM_RSRC2:SCRATCH_EN: 0
; COMPUTE_PGM_RSRC2:USER_SGPR: 2
; COMPUTE_PGM_RSRC2:TRAP_HANDLER: 0
; COMPUTE_PGM_RSRC2:TGID_X_EN: 1
; COMPUTE_PGM_RSRC2:TGID_Y_EN: 1
; COMPUTE_PGM_RSRC2:TGID_Z_EN: 1
; COMPUTE_PGM_RSRC2:TIDIG_COMP_CNT: 1
; COMPUTE_PGM_RSRC3_GFX90A:ACCUM_OFFSET: 11
; COMPUTE_PGM_RSRC3_GFX90A:TG_SPLIT: 0
	.section	.text._ZL29rocblas_internal_gemmt_kernelIiLi16ELi32ELi8ELc84ELc67ELc76ELb0ELb0EfPKfS1_PfEviT_T9_T10_S3_lS5_S3_lS4_T11_S3_li,"axG",@progbits,_ZL29rocblas_internal_gemmt_kernelIiLi16ELi32ELi8ELc84ELc67ELc76ELb0ELb0EfPKfS1_PfEviT_T9_T10_S3_lS5_S3_lS4_T11_S3_li,comdat
	.globl	_ZL29rocblas_internal_gemmt_kernelIiLi16ELi32ELi8ELc84ELc67ELc76ELb0ELb0EfPKfS1_PfEviT_T9_T10_S3_lS5_S3_lS4_T11_S3_li ; -- Begin function _ZL29rocblas_internal_gemmt_kernelIiLi16ELi32ELi8ELc84ELc67ELc76ELb0ELb0EfPKfS1_PfEviT_T9_T10_S3_lS5_S3_lS4_T11_S3_li
	.p2align	8
	.type	_ZL29rocblas_internal_gemmt_kernelIiLi16ELi32ELi8ELc84ELc67ELc76ELb0ELb0EfPKfS1_PfEviT_T9_T10_S3_lS5_S3_lS4_T11_S3_li,@function
_ZL29rocblas_internal_gemmt_kernelIiLi16ELi32ELi8ELc84ELc67ELc76ELb0ELb0EfPKfS1_PfEviT_T9_T10_S3_lS5_S3_lS4_T11_S3_li: ; @_ZL29rocblas_internal_gemmt_kernelIiLi16ELi32ELi8ELc84ELc67ELc76ELb0ELb0EfPKfS1_PfEviT_T9_T10_S3_lS5_S3_lS4_T11_S3_li
; %bb.0:
	s_load_dwordx4 s[8:11], s[0:1], 0x38
	s_load_dwordx4 s[12:15], s[0:1], 0x8
	s_waitcnt lgkmcnt(0)
	s_load_dword s22, s[10:11], 0x0
	s_load_dwordx2 s[20:21], s[0:1], 0x0
	s_load_dword s23, s[12:13], 0x0
	s_waitcnt lgkmcnt(0)
	v_cmp_neq_f32_e64 s[6:7], s22, 1.0
	s_and_b64 vcc, exec, s[6:7]
	s_cbranch_vccnz .LBB14_2
; %bb.1:
	s_cmp_lg_u32 s21, 0
	s_cselect_b64 s[6:7], -1, 0
	v_cmp_neq_f32_e64 s[10:11], s23, 0
	s_and_b64 s[6:7], s[6:7], s[10:11]
.LBB14_2:
	s_andn2_b64 vcc, exec, s[6:7]
	s_cbranch_vccnz .LBB14_26
; %bb.3:
	s_load_dwordx2 s[10:11], s[0:1], 0x48
	s_lshl_b32 s12, s2, 5
	s_lshl_b32 s5, s3, 5
	s_cmp_lt_i32 s21, 1
	v_cmp_eq_f32_e64 s[2:3], s23, 0
	s_cselect_b64 s[6:7], -1, 0
	v_mov_b32_e32 v3, 0
	s_or_b64 s[2:3], s[2:3], s[6:7]
	v_and_b32_e32 v9, 0x3ff, v0
	v_bfe_u32 v8, v0, 10, 10
	s_mov_b32 s13, 0
	s_and_b64 vcc, exec, s[2:3]
	v_mov_b32_e32 v2, v3
	v_mov_b32_e32 v1, v3
	;; [unrolled: 1-line block ×3, first 2 shown]
	s_cbranch_vccnz .LBB14_10
; %bb.4:
	v_lshl_add_u32 v0, v8, 4, v9
	v_lshrrev_b32_e32 v11, 5, v0
	v_lshrrev_b32_e32 v1, 3, v0
	v_and_b32_e32 v0, 31, v0
	v_or_b32_e32 v3, s12, v0
	s_load_dword s24, s[0:1], 0x18
	s_load_dword s6, s[0:1], 0x30
	s_load_dwordx4 s[16:19], s[0:1], 0x20
	v_and_b32_e32 v10, 7, v9
	v_cmp_gt_i32_e32 vcc, s20, v3
	v_lshlrev_b32_e32 v3, 2, v0
	v_lshl_or_b32 v12, v11, 7, v3
	v_lshlrev_b32_e32 v3, 2, v10
	v_add_u32_e32 v2, s5, v1
	v_lshl_or_b32 v1, v1, 5, v3
	v_add_u32_e32 v13, 0x400, v1
	v_mov_b32_e32 v1, 0x400
	v_add_u32_e32 v0, s12, v0
	v_lshl_add_u32 v15, v8, 5, v1
	s_waitcnt lgkmcnt(0)
	v_mad_i64_i32 v[0:1], s[24:25], s24, v0, 0
	s_mul_i32 s17, s17, s4
	s_mul_hi_u32 s24, s16, s4
	s_add_i32 s17, s24, s17
	s_mul_i32 s16, s16, s4
	s_lshl_b64 s[16:17], s[16:17], 2
	v_lshl_add_u64 v[4:5], v[0:1], 2, s[16:17]
	v_lshlrev_b32_e32 v0, 2, v11
	v_mov_b32_e32 v1, 0
	v_lshl_add_u64 v[4:5], v[4:5], 0, v[0:1]
	v_lshl_add_u64 v[4:5], s[14:15], 0, v[4:5]
	s_mul_i32 s9, s9, s4
	s_mul_hi_u32 s14, s8, s4
	s_add_i32 s9, s14, s9
	v_mad_i64_i32 v[6:7], s[14:15], s6, v10, 0
	s_mul_i32 s8, s8, s4
	v_lshlrev_b64 v[6:7], 2, v[6:7]
	v_ashrrev_i32_e32 v3, 31, v2
	v_lshl_add_u64 v[6:7], s[8:9], 2, v[6:7]
	s_ashr_i32 s7, s6, 31
	v_cmp_gt_i32_e64 s[2:3], s20, v2
	v_lshl_add_u64 v[2:3], v[2:3], 2, v[6:7]
	v_lshlrev_b32_e32 v14, 2, v9
	v_lshl_add_u64 v[6:7], s[18:19], 0, v[2:3]
	s_lshl_b64 s[8:9], s[6:7], 5
	v_mov_b32_e32 v0, v1
	v_mov_b32_e32 v2, v1
	;; [unrolled: 1-line block ×3, first 2 shown]
	s_branch .LBB14_6
.LBB14_5:                               ;   in Loop: Header=BB14_6 Depth=1
	s_or_b64 exec, exec, s[6:7]
	s_waitcnt vmcnt(0)
	ds_write_b32 v13, v16
	s_waitcnt lgkmcnt(0)
	s_barrier
	ds_read_b128 v[16:19], v15
	ds_read_b128 v[20:23], v15 offset:16
	ds_read2_b32 v[32:33], v14 offset1:16
	ds_read2_b32 v[34:35], v14 offset0:32 offset1:48
	ds_read2_b32 v[36:37], v14 offset0:64 offset1:80
	;; [unrolled: 1-line block ×4, first 2 shown]
	ds_read_b128 v[24:27], v15 offset:512
	ds_read_b128 v[28:31], v15 offset:528
	ds_read2_b32 v[42:43], v14 offset0:160 offset1:176
	ds_read2_b32 v[44:45], v14 offset0:192 offset1:208
	;; [unrolled: 1-line block ×3, first 2 shown]
	s_waitcnt lgkmcnt(9)
	v_pk_fma_f32 v[2:3], v[32:33], v[16:17], v[2:3] op_sel_hi:[1,0,1]
	s_waitcnt lgkmcnt(4)
	v_pk_fma_f32 v[0:1], v[32:33], v[24:25], v[0:1] op_sel_hi:[1,0,1]
	v_pk_fma_f32 v[2:3], v[34:35], v[16:17], v[2:3] op_sel:[0,1,0]
	v_mov_b32_e32 v16, v19
	v_pk_fma_f32 v[2:3], v[36:37], v[18:19], v[2:3] op_sel_hi:[1,0,1]
	v_pk_fma_f32 v[0:1], v[34:35], v[24:25], v[0:1] op_sel:[0,1,0]
	v_pk_fma_f32 v[2:3], v[38:39], v[16:17], v[2:3] op_sel_hi:[1,0,1]
	v_mov_b32_e32 v16, v23
	v_pk_fma_f32 v[2:3], v[40:41], v[20:21], v[2:3] op_sel_hi:[1,0,1]
	v_pk_fma_f32 v[0:1], v[36:37], v[26:27], v[0:1] op_sel_hi:[1,0,1]
	s_waitcnt lgkmcnt(2)
	v_pk_fma_f32 v[2:3], v[42:43], v[20:21], v[2:3] op_sel:[0,1,0]
	s_add_i32 s13, s13, 8
	s_waitcnt lgkmcnt(1)
	v_pk_fma_f32 v[2:3], v[44:45], v[22:23], v[2:3] op_sel_hi:[1,0,1]
	v_lshl_add_u64 v[4:5], v[4:5], 0, 32
	s_waitcnt lgkmcnt(0)
	v_pk_fma_f32 v[2:3], v[46:47], v[16:17], v[2:3] op_sel_hi:[1,0,1]
	v_mov_b32_e32 v16, v27
	v_pk_fma_f32 v[0:1], v[38:39], v[16:17], v[0:1] op_sel_hi:[1,0,1]
	v_mov_b32_e32 v16, v31
	v_pk_fma_f32 v[0:1], v[40:41], v[28:29], v[0:1] op_sel_hi:[1,0,1]
	s_cmp_lt_i32 s13, s21
	v_pk_fma_f32 v[0:1], v[42:43], v[28:29], v[0:1] op_sel:[0,1,0]
	v_lshl_add_u64 v[6:7], v[6:7], 0, s[8:9]
	v_pk_fma_f32 v[0:1], v[44:45], v[30:31], v[0:1] op_sel_hi:[1,0,1]
	s_nop 0
	v_pk_fma_f32 v[0:1], v[46:47], v[16:17], v[0:1] op_sel_hi:[1,0,1]
	s_barrier
	s_cbranch_scc0 .LBB14_10
.LBB14_6:                               ; =>This Inner Loop Header: Depth=1
	v_add_u32_e32 v16, s13, v11
	v_cmp_gt_i32_e64 s[6:7], s21, v16
	s_and_b64 s[14:15], vcc, s[6:7]
	v_mov_b32_e32 v16, 0
	s_and_saveexec_b64 s[6:7], s[14:15]
	s_cbranch_execz .LBB14_8
; %bb.7:                                ;   in Loop: Header=BB14_6 Depth=1
	global_load_dword v16, v[4:5], off
.LBB14_8:                               ;   in Loop: Header=BB14_6 Depth=1
	s_or_b64 exec, exec, s[6:7]
	s_waitcnt vmcnt(0)
	ds_write_b32 v12, v16
	v_add_u32_e32 v16, s13, v10
	v_cmp_gt_i32_e64 s[6:7], s21, v16
	s_and_b64 s[14:15], s[6:7], s[2:3]
	v_mov_b32_e32 v16, 0
	s_and_saveexec_b64 s[6:7], s[14:15]
	s_cbranch_execz .LBB14_5
; %bb.9:                                ;   in Loop: Header=BB14_6 Depth=1
	global_load_dword v16, v[6:7], off
	s_branch .LBB14_5
.LBB14_10:
	s_load_dwordx2 s[2:3], s[0:1], 0x58
	s_load_dword s13, s[0:1], 0x50
	v_add_u32_e32 v10, s5, v8
	v_add_u32_e32 v4, s12, v9
	v_cmp_le_i32_e32 vcc, v10, v4
	s_waitcnt lgkmcnt(0)
	s_mul_i32 s1, s3, s4
	s_mul_hi_u32 s3, s2, s4
	s_mul_i32 s0, s2, s4
	s_add_i32 s1, s3, s1
	s_lshl_b64 s[0:1], s[0:1], 2
	s_add_u32 s6, s10, s0
	s_addc_u32 s7, s11, s1
	v_mad_i64_i32 v[6:7], s[0:1], v10, s13, 0
	v_cmp_neq_f32_e64 s[0:1], s22, 0
	v_lshl_add_u64 v[8:9], v[6:7], 2, s[6:7]
	v_cmp_gt_i32_e64 s[2:3], s20, v4
	v_cndmask_b32_e64 v6, 0, 1, s[0:1]
	s_and_b64 s[8:9], vcc, s[2:3]
	v_ashrrev_i32_e32 v5, 31, v4
	v_cmp_ne_u32_e64 s[0:1], 1, v6
	s_and_saveexec_b64 s[4:5], s[8:9]
	s_cbranch_execz .LBB14_14
; %bb.11:
	v_mul_f32_e32 v2, s23, v2
	s_and_b64 vcc, exec, s[0:1]
	v_lshl_add_u64 v[6:7], v[4:5], 2, v[8:9]
	s_cbranch_vccnz .LBB14_13
; %bb.12:
	global_load_dword v11, v[6:7], off
	s_waitcnt vmcnt(0)
	v_fmac_f32_e32 v2, s22, v11
.LBB14_13:
	global_store_dword v[6:7], v2, off
.LBB14_14:
	s_or_b64 exec, exec, s[4:5]
	v_add_u32_e32 v6, 16, v4
	v_cmp_le_i32_e32 vcc, v10, v6
	v_cmp_gt_i32_e64 s[4:5], s20, v6
	s_and_b64 s[10:11], vcc, s[4:5]
	v_ashrrev_i32_e32 v7, 31, v6
	s_and_saveexec_b64 s[8:9], s[10:11]
	s_cbranch_execz .LBB14_18
; %bb.15:
	v_mul_f32_e32 v11, s23, v3
	s_and_b64 vcc, exec, s[0:1]
	v_lshl_add_u64 v[2:3], v[6:7], 2, v[8:9]
	s_cbranch_vccnz .LBB14_17
; %bb.16:
	global_load_dword v8, v[2:3], off
	s_waitcnt vmcnt(0)
	v_fmac_f32_e32 v11, s22, v8
.LBB14_17:
	global_store_dword v[2:3], v11, off
.LBB14_18:
	s_or_b64 exec, exec, s[8:9]
	v_add_u32_e32 v8, 16, v10
	v_mad_i64_i32 v[2:3], s[8:9], v8, s13, 0
	v_cmp_le_i32_e32 vcc, v8, v4
	v_lshl_add_u64 v[2:3], v[2:3], 2, s[6:7]
	s_and_b64 s[6:7], vcc, s[2:3]
	s_and_saveexec_b64 s[2:3], s[6:7]
	s_cbranch_execz .LBB14_22
; %bb.19:
	v_mul_f32_e32 v0, s23, v0
	s_and_b64 vcc, exec, s[0:1]
	v_lshl_add_u64 v[4:5], v[4:5], 2, v[2:3]
	s_cbranch_vccnz .LBB14_21
; %bb.20:
	global_load_dword v9, v[4:5], off
	s_waitcnt vmcnt(0)
	v_fmac_f32_e32 v0, s22, v9
.LBB14_21:
	global_store_dword v[4:5], v0, off
.LBB14_22:
	s_or_b64 exec, exec, s[2:3]
	v_cmp_le_i32_e32 vcc, v8, v6
	s_and_b64 s[2:3], vcc, s[4:5]
	s_and_saveexec_b64 s[4:5], s[2:3]
	s_cbranch_execz .LBB14_26
; %bb.23:
	v_mul_f32_e32 v4, s23, v1
	s_and_b64 vcc, exec, s[0:1]
	v_lshl_add_u64 v[0:1], v[6:7], 2, v[2:3]
	s_cbranch_vccnz .LBB14_25
; %bb.24:
	global_load_dword v2, v[0:1], off
	s_waitcnt vmcnt(0)
	v_fmac_f32_e32 v4, s22, v2
.LBB14_25:
	global_store_dword v[0:1], v4, off
.LBB14_26:
	s_endpgm
	.section	.rodata,"a",@progbits
	.p2align	6, 0x0
	.amdhsa_kernel _ZL29rocblas_internal_gemmt_kernelIiLi16ELi32ELi8ELc84ELc67ELc76ELb0ELb0EfPKfS1_PfEviT_T9_T10_S3_lS5_S3_lS4_T11_S3_li
		.amdhsa_group_segment_fixed_size 2048
		.amdhsa_private_segment_fixed_size 0
		.amdhsa_kernarg_size 100
		.amdhsa_user_sgpr_count 2
		.amdhsa_user_sgpr_dispatch_ptr 0
		.amdhsa_user_sgpr_queue_ptr 0
		.amdhsa_user_sgpr_kernarg_segment_ptr 1
		.amdhsa_user_sgpr_dispatch_id 0
		.amdhsa_user_sgpr_kernarg_preload_length 0
		.amdhsa_user_sgpr_kernarg_preload_offset 0
		.amdhsa_user_sgpr_private_segment_size 0
		.amdhsa_uses_dynamic_stack 0
		.amdhsa_enable_private_segment 0
		.amdhsa_system_sgpr_workgroup_id_x 1
		.amdhsa_system_sgpr_workgroup_id_y 1
		.amdhsa_system_sgpr_workgroup_id_z 1
		.amdhsa_system_sgpr_workgroup_info 0
		.amdhsa_system_vgpr_workitem_id 1
		.amdhsa_next_free_vgpr 48
		.amdhsa_next_free_sgpr 26
		.amdhsa_accum_offset 48
		.amdhsa_reserve_vcc 1
		.amdhsa_float_round_mode_32 0
		.amdhsa_float_round_mode_16_64 0
		.amdhsa_float_denorm_mode_32 3
		.amdhsa_float_denorm_mode_16_64 3
		.amdhsa_dx10_clamp 1
		.amdhsa_ieee_mode 1
		.amdhsa_fp16_overflow 0
		.amdhsa_tg_split 0
		.amdhsa_exception_fp_ieee_invalid_op 0
		.amdhsa_exception_fp_denorm_src 0
		.amdhsa_exception_fp_ieee_div_zero 0
		.amdhsa_exception_fp_ieee_overflow 0
		.amdhsa_exception_fp_ieee_underflow 0
		.amdhsa_exception_fp_ieee_inexact 0
		.amdhsa_exception_int_div_zero 0
	.end_amdhsa_kernel
	.section	.text._ZL29rocblas_internal_gemmt_kernelIiLi16ELi32ELi8ELc84ELc67ELc76ELb0ELb0EfPKfS1_PfEviT_T9_T10_S3_lS5_S3_lS4_T11_S3_li,"axG",@progbits,_ZL29rocblas_internal_gemmt_kernelIiLi16ELi32ELi8ELc84ELc67ELc76ELb0ELb0EfPKfS1_PfEviT_T9_T10_S3_lS5_S3_lS4_T11_S3_li,comdat
.Lfunc_end14:
	.size	_ZL29rocblas_internal_gemmt_kernelIiLi16ELi32ELi8ELc84ELc67ELc76ELb0ELb0EfPKfS1_PfEviT_T9_T10_S3_lS5_S3_lS4_T11_S3_li, .Lfunc_end14-_ZL29rocblas_internal_gemmt_kernelIiLi16ELi32ELi8ELc84ELc67ELc76ELb0ELb0EfPKfS1_PfEviT_T9_T10_S3_lS5_S3_lS4_T11_S3_li
                                        ; -- End function
	.set _ZL29rocblas_internal_gemmt_kernelIiLi16ELi32ELi8ELc84ELc67ELc76ELb0ELb0EfPKfS1_PfEviT_T9_T10_S3_lS5_S3_lS4_T11_S3_li.num_vgpr, 48
	.set _ZL29rocblas_internal_gemmt_kernelIiLi16ELi32ELi8ELc84ELc67ELc76ELb0ELb0EfPKfS1_PfEviT_T9_T10_S3_lS5_S3_lS4_T11_S3_li.num_agpr, 0
	.set _ZL29rocblas_internal_gemmt_kernelIiLi16ELi32ELi8ELc84ELc67ELc76ELb0ELb0EfPKfS1_PfEviT_T9_T10_S3_lS5_S3_lS4_T11_S3_li.numbered_sgpr, 26
	.set _ZL29rocblas_internal_gemmt_kernelIiLi16ELi32ELi8ELc84ELc67ELc76ELb0ELb0EfPKfS1_PfEviT_T9_T10_S3_lS5_S3_lS4_T11_S3_li.num_named_barrier, 0
	.set _ZL29rocblas_internal_gemmt_kernelIiLi16ELi32ELi8ELc84ELc67ELc76ELb0ELb0EfPKfS1_PfEviT_T9_T10_S3_lS5_S3_lS4_T11_S3_li.private_seg_size, 0
	.set _ZL29rocblas_internal_gemmt_kernelIiLi16ELi32ELi8ELc84ELc67ELc76ELb0ELb0EfPKfS1_PfEviT_T9_T10_S3_lS5_S3_lS4_T11_S3_li.uses_vcc, 1
	.set _ZL29rocblas_internal_gemmt_kernelIiLi16ELi32ELi8ELc84ELc67ELc76ELb0ELb0EfPKfS1_PfEviT_T9_T10_S3_lS5_S3_lS4_T11_S3_li.uses_flat_scratch, 0
	.set _ZL29rocblas_internal_gemmt_kernelIiLi16ELi32ELi8ELc84ELc67ELc76ELb0ELb0EfPKfS1_PfEviT_T9_T10_S3_lS5_S3_lS4_T11_S3_li.has_dyn_sized_stack, 0
	.set _ZL29rocblas_internal_gemmt_kernelIiLi16ELi32ELi8ELc84ELc67ELc76ELb0ELb0EfPKfS1_PfEviT_T9_T10_S3_lS5_S3_lS4_T11_S3_li.has_recursion, 0
	.set _ZL29rocblas_internal_gemmt_kernelIiLi16ELi32ELi8ELc84ELc67ELc76ELb0ELb0EfPKfS1_PfEviT_T9_T10_S3_lS5_S3_lS4_T11_S3_li.has_indirect_call, 0
	.section	.AMDGPU.csdata,"",@progbits
; Kernel info:
; codeLenInByte = 1256
; TotalNumSgprs: 32
; NumVgprs: 48
; NumAgprs: 0
; TotalNumVgprs: 48
; ScratchSize: 0
; MemoryBound: 0
; FloatMode: 240
; IeeeMode: 1
; LDSByteSize: 2048 bytes/workgroup (compile time only)
; SGPRBlocks: 3
; VGPRBlocks: 5
; NumSGPRsForWavesPerEU: 32
; NumVGPRsForWavesPerEU: 48
; AccumOffset: 48
; Occupancy: 8
; WaveLimiterHint : 0
; COMPUTE_PGM_RSRC2:SCRATCH_EN: 0
; COMPUTE_PGM_RSRC2:USER_SGPR: 2
; COMPUTE_PGM_RSRC2:TRAP_HANDLER: 0
; COMPUTE_PGM_RSRC2:TGID_X_EN: 1
; COMPUTE_PGM_RSRC2:TGID_Y_EN: 1
; COMPUTE_PGM_RSRC2:TGID_Z_EN: 1
; COMPUTE_PGM_RSRC2:TIDIG_COMP_CNT: 1
; COMPUTE_PGM_RSRC3_GFX90A:ACCUM_OFFSET: 11
; COMPUTE_PGM_RSRC3_GFX90A:TG_SPLIT: 0
	.section	.text._ZL29rocblas_internal_gemmt_kernelIiLi16ELi32ELi8ELc67ELc78ELc76ELb0ELb0EfPKfS1_PfEviT_T9_T10_S3_lS5_S3_lS4_T11_S3_li,"axG",@progbits,_ZL29rocblas_internal_gemmt_kernelIiLi16ELi32ELi8ELc67ELc78ELc76ELb0ELb0EfPKfS1_PfEviT_T9_T10_S3_lS5_S3_lS4_T11_S3_li,comdat
	.globl	_ZL29rocblas_internal_gemmt_kernelIiLi16ELi32ELi8ELc67ELc78ELc76ELb0ELb0EfPKfS1_PfEviT_T9_T10_S3_lS5_S3_lS4_T11_S3_li ; -- Begin function _ZL29rocblas_internal_gemmt_kernelIiLi16ELi32ELi8ELc67ELc78ELc76ELb0ELb0EfPKfS1_PfEviT_T9_T10_S3_lS5_S3_lS4_T11_S3_li
	.p2align	8
	.type	_ZL29rocblas_internal_gemmt_kernelIiLi16ELi32ELi8ELc67ELc78ELc76ELb0ELb0EfPKfS1_PfEviT_T9_T10_S3_lS5_S3_lS4_T11_S3_li,@function
_ZL29rocblas_internal_gemmt_kernelIiLi16ELi32ELi8ELc67ELc78ELc76ELb0ELb0EfPKfS1_PfEviT_T9_T10_S3_lS5_S3_lS4_T11_S3_li: ; @_ZL29rocblas_internal_gemmt_kernelIiLi16ELi32ELi8ELc67ELc78ELc76ELb0ELb0EfPKfS1_PfEviT_T9_T10_S3_lS5_S3_lS4_T11_S3_li
; %bb.0:
	s_load_dwordx4 s[8:11], s[0:1], 0x38
	s_load_dwordx4 s[12:15], s[0:1], 0x8
	s_waitcnt lgkmcnt(0)
	s_load_dword s22, s[10:11], 0x0
	s_load_dwordx2 s[20:21], s[0:1], 0x0
	s_load_dword s23, s[12:13], 0x0
	s_waitcnt lgkmcnt(0)
	v_cmp_neq_f32_e64 s[6:7], s22, 1.0
	s_and_b64 vcc, exec, s[6:7]
	s_cbranch_vccnz .LBB15_2
; %bb.1:
	s_cmp_lg_u32 s21, 0
	s_cselect_b64 s[6:7], -1, 0
	v_cmp_neq_f32_e64 s[10:11], s23, 0
	s_and_b64 s[6:7], s[6:7], s[10:11]
.LBB15_2:
	s_andn2_b64 vcc, exec, s[6:7]
	s_cbranch_vccnz .LBB15_26
; %bb.3:
	s_load_dwordx2 s[10:11], s[0:1], 0x48
	s_lshl_b32 s12, s2, 5
	s_lshl_b32 s5, s3, 5
	s_cmp_lt_i32 s21, 1
	v_cmp_eq_f32_e64 s[2:3], s23, 0
	s_cselect_b64 s[6:7], -1, 0
	v_mov_b32_e32 v3, 0
	s_or_b64 s[2:3], s[2:3], s[6:7]
	v_and_b32_e32 v9, 0x3ff, v0
	v_bfe_u32 v8, v0, 10, 10
	s_mov_b32 s13, 0
	s_and_b64 vcc, exec, s[2:3]
	v_mov_b32_e32 v2, v3
	v_mov_b32_e32 v1, v3
	;; [unrolled: 1-line block ×3, first 2 shown]
	s_cbranch_vccnz .LBB15_10
; %bb.4:
	v_lshl_add_u32 v0, v8, 4, v9
	v_lshrrev_b32_e32 v11, 5, v0
	v_lshrrev_b32_e32 v1, 3, v0
	v_and_b32_e32 v0, 31, v0
	v_or_b32_e32 v2, s12, v0
	v_and_b32_e32 v10, 7, v9
	v_cmp_gt_i32_e32 vcc, s20, v2
	v_lshlrev_b32_e32 v2, 2, v0
	s_load_dword s6, s[0:1], 0x18
	s_load_dwordx4 s[16:19], s[0:1], 0x20
	s_load_dword s24, s[0:1], 0x30
	v_lshl_or_b32 v12, v11, 7, v2
	v_lshlrev_b32_e32 v2, 2, v10
	v_add_u32_e32 v3, s5, v1
	v_lshl_or_b32 v1, v1, 5, v2
	v_add_u32_e32 v13, 0x400, v1
	v_mov_b32_e32 v1, 0x400
	v_add_u32_e32 v0, s12, v0
	v_lshl_add_u32 v15, v8, 5, v1
	s_waitcnt lgkmcnt(0)
	v_mad_i64_i32 v[0:1], s[6:7], s6, v0, 0
	s_mul_i32 s6, s17, s4
	s_mul_hi_u32 s7, s16, s4
	s_add_i32 s7, s7, s6
	s_mul_i32 s6, s16, s4
	s_lshl_b64 s[6:7], s[6:7], 2
	v_lshl_add_u64 v[4:5], v[0:1], 2, s[6:7]
	v_mad_i64_i32 v[6:7], s[6:7], s24, v3, 0
	s_mul_i32 s6, s9, s4
	s_mul_hi_u32 s7, s8, s4
	s_add_i32 s7, s7, s6
	s_mul_i32 s6, s8, s4
	v_mov_b32_e32 v1, 0
	s_lshl_b64 s[6:7], s[6:7], 2
	v_cmp_gt_i32_e64 s[2:3], s20, v3
	v_lshlrev_b32_e32 v0, 2, v11
	v_lshl_add_u64 v[6:7], v[6:7], 2, s[6:7]
	v_mov_b32_e32 v3, v1
	v_lshl_add_u64 v[4:5], v[4:5], 0, v[0:1]
	v_lshl_add_u64 v[2:3], v[6:7], 0, v[2:3]
	v_lshlrev_b32_e32 v14, 2, v9
	v_lshl_add_u64 v[4:5], s[14:15], 0, v[4:5]
	v_lshl_add_u64 v[6:7], s[18:19], 0, v[2:3]
	v_mov_b32_e32 v0, v1
	v_mov_b32_e32 v2, v1
	;; [unrolled: 1-line block ×3, first 2 shown]
	s_branch .LBB15_6
.LBB15_5:                               ;   in Loop: Header=BB15_6 Depth=1
	s_or_b64 exec, exec, s[6:7]
	s_waitcnt vmcnt(0)
	ds_write_b32 v13, v16
	s_waitcnt lgkmcnt(0)
	s_barrier
	ds_read_b128 v[16:19], v15
	ds_read_b128 v[20:23], v15 offset:16
	ds_read2_b32 v[32:33], v14 offset1:16
	ds_read2_b32 v[34:35], v14 offset0:32 offset1:48
	ds_read2_b32 v[36:37], v14 offset0:64 offset1:80
	;; [unrolled: 1-line block ×4, first 2 shown]
	ds_read_b128 v[24:27], v15 offset:512
	ds_read_b128 v[28:31], v15 offset:528
	ds_read2_b32 v[42:43], v14 offset0:160 offset1:176
	ds_read2_b32 v[44:45], v14 offset0:192 offset1:208
	ds_read2_b32 v[46:47], v14 offset0:224 offset1:240
	s_waitcnt lgkmcnt(9)
	v_pk_fma_f32 v[2:3], v[32:33], v[16:17], v[2:3] op_sel_hi:[1,0,1]
	s_waitcnt lgkmcnt(4)
	v_pk_fma_f32 v[0:1], v[32:33], v[24:25], v[0:1] op_sel_hi:[1,0,1]
	v_pk_fma_f32 v[2:3], v[34:35], v[16:17], v[2:3] op_sel:[0,1,0]
	v_mov_b32_e32 v16, v19
	v_pk_fma_f32 v[2:3], v[36:37], v[18:19], v[2:3] op_sel_hi:[1,0,1]
	v_pk_fma_f32 v[0:1], v[34:35], v[24:25], v[0:1] op_sel:[0,1,0]
	v_pk_fma_f32 v[2:3], v[38:39], v[16:17], v[2:3] op_sel_hi:[1,0,1]
	v_mov_b32_e32 v16, v23
	v_pk_fma_f32 v[2:3], v[40:41], v[20:21], v[2:3] op_sel_hi:[1,0,1]
	v_pk_fma_f32 v[0:1], v[36:37], v[26:27], v[0:1] op_sel_hi:[1,0,1]
	s_waitcnt lgkmcnt(2)
	v_pk_fma_f32 v[2:3], v[42:43], v[20:21], v[2:3] op_sel:[0,1,0]
	s_add_i32 s13, s13, 8
	s_waitcnt lgkmcnt(1)
	v_pk_fma_f32 v[2:3], v[44:45], v[22:23], v[2:3] op_sel_hi:[1,0,1]
	v_lshl_add_u64 v[4:5], v[4:5], 0, 32
	s_waitcnt lgkmcnt(0)
	v_pk_fma_f32 v[2:3], v[46:47], v[16:17], v[2:3] op_sel_hi:[1,0,1]
	v_mov_b32_e32 v16, v27
	v_pk_fma_f32 v[0:1], v[38:39], v[16:17], v[0:1] op_sel_hi:[1,0,1]
	v_mov_b32_e32 v16, v31
	v_pk_fma_f32 v[0:1], v[40:41], v[28:29], v[0:1] op_sel_hi:[1,0,1]
	s_cmp_lt_i32 s13, s21
	v_pk_fma_f32 v[0:1], v[42:43], v[28:29], v[0:1] op_sel:[0,1,0]
	v_lshl_add_u64 v[6:7], v[6:7], 0, 32
	v_pk_fma_f32 v[0:1], v[44:45], v[30:31], v[0:1] op_sel_hi:[1,0,1]
	s_nop 0
	v_pk_fma_f32 v[0:1], v[46:47], v[16:17], v[0:1] op_sel_hi:[1,0,1]
	s_barrier
	s_cbranch_scc0 .LBB15_10
.LBB15_6:                               ; =>This Inner Loop Header: Depth=1
	v_add_u32_e32 v16, s13, v11
	v_cmp_gt_i32_e64 s[6:7], s21, v16
	s_and_b64 s[8:9], vcc, s[6:7]
	v_mov_b32_e32 v16, 0
	s_and_saveexec_b64 s[6:7], s[8:9]
	s_cbranch_execz .LBB15_8
; %bb.7:                                ;   in Loop: Header=BB15_6 Depth=1
	global_load_dword v16, v[4:5], off
.LBB15_8:                               ;   in Loop: Header=BB15_6 Depth=1
	s_or_b64 exec, exec, s[6:7]
	s_waitcnt vmcnt(0)
	ds_write_b32 v12, v16
	v_add_u32_e32 v16, s13, v10
	v_cmp_gt_i32_e64 s[6:7], s21, v16
	s_and_b64 s[8:9], s[6:7], s[2:3]
	v_mov_b32_e32 v16, 0
	s_and_saveexec_b64 s[6:7], s[8:9]
	s_cbranch_execz .LBB15_5
; %bb.9:                                ;   in Loop: Header=BB15_6 Depth=1
	global_load_dword v16, v[6:7], off
	s_branch .LBB15_5
.LBB15_10:
	s_load_dwordx2 s[2:3], s[0:1], 0x58
	s_load_dword s13, s[0:1], 0x50
	v_add_u32_e32 v10, s5, v8
	v_add_u32_e32 v4, s12, v9
	v_cmp_le_i32_e32 vcc, v10, v4
	s_waitcnt lgkmcnt(0)
	s_mul_i32 s1, s3, s4
	s_mul_hi_u32 s3, s2, s4
	s_mul_i32 s0, s2, s4
	s_add_i32 s1, s3, s1
	s_lshl_b64 s[0:1], s[0:1], 2
	s_add_u32 s6, s10, s0
	s_addc_u32 s7, s11, s1
	v_mad_i64_i32 v[6:7], s[0:1], v10, s13, 0
	v_cmp_neq_f32_e64 s[0:1], s22, 0
	v_lshl_add_u64 v[8:9], v[6:7], 2, s[6:7]
	v_cmp_gt_i32_e64 s[2:3], s20, v4
	v_cndmask_b32_e64 v6, 0, 1, s[0:1]
	s_and_b64 s[8:9], vcc, s[2:3]
	v_ashrrev_i32_e32 v5, 31, v4
	v_cmp_ne_u32_e64 s[0:1], 1, v6
	s_and_saveexec_b64 s[4:5], s[8:9]
	s_cbranch_execz .LBB15_14
; %bb.11:
	v_mul_f32_e32 v2, s23, v2
	s_and_b64 vcc, exec, s[0:1]
	v_lshl_add_u64 v[6:7], v[4:5], 2, v[8:9]
	s_cbranch_vccnz .LBB15_13
; %bb.12:
	global_load_dword v11, v[6:7], off
	s_waitcnt vmcnt(0)
	v_fmac_f32_e32 v2, s22, v11
.LBB15_13:
	global_store_dword v[6:7], v2, off
.LBB15_14:
	s_or_b64 exec, exec, s[4:5]
	v_add_u32_e32 v6, 16, v4
	v_cmp_le_i32_e32 vcc, v10, v6
	v_cmp_gt_i32_e64 s[4:5], s20, v6
	s_and_b64 s[10:11], vcc, s[4:5]
	v_ashrrev_i32_e32 v7, 31, v6
	s_and_saveexec_b64 s[8:9], s[10:11]
	s_cbranch_execz .LBB15_18
; %bb.15:
	v_mul_f32_e32 v11, s23, v3
	s_and_b64 vcc, exec, s[0:1]
	v_lshl_add_u64 v[2:3], v[6:7], 2, v[8:9]
	s_cbranch_vccnz .LBB15_17
; %bb.16:
	global_load_dword v8, v[2:3], off
	s_waitcnt vmcnt(0)
	v_fmac_f32_e32 v11, s22, v8
.LBB15_17:
	global_store_dword v[2:3], v11, off
.LBB15_18:
	s_or_b64 exec, exec, s[8:9]
	v_add_u32_e32 v8, 16, v10
	v_mad_i64_i32 v[2:3], s[8:9], v8, s13, 0
	v_cmp_le_i32_e32 vcc, v8, v4
	v_lshl_add_u64 v[2:3], v[2:3], 2, s[6:7]
	s_and_b64 s[6:7], vcc, s[2:3]
	s_and_saveexec_b64 s[2:3], s[6:7]
	s_cbranch_execz .LBB15_22
; %bb.19:
	v_mul_f32_e32 v0, s23, v0
	s_and_b64 vcc, exec, s[0:1]
	v_lshl_add_u64 v[4:5], v[4:5], 2, v[2:3]
	s_cbranch_vccnz .LBB15_21
; %bb.20:
	global_load_dword v9, v[4:5], off
	s_waitcnt vmcnt(0)
	v_fmac_f32_e32 v0, s22, v9
.LBB15_21:
	global_store_dword v[4:5], v0, off
.LBB15_22:
	s_or_b64 exec, exec, s[2:3]
	v_cmp_le_i32_e32 vcc, v8, v6
	s_and_b64 s[2:3], vcc, s[4:5]
	s_and_saveexec_b64 s[4:5], s[2:3]
	s_cbranch_execz .LBB15_26
; %bb.23:
	v_mul_f32_e32 v4, s23, v1
	s_and_b64 vcc, exec, s[0:1]
	v_lshl_add_u64 v[0:1], v[6:7], 2, v[2:3]
	s_cbranch_vccnz .LBB15_25
; %bb.24:
	global_load_dword v2, v[0:1], off
	s_waitcnt vmcnt(0)
	v_fmac_f32_e32 v4, s22, v2
.LBB15_25:
	global_store_dword v[0:1], v4, off
.LBB15_26:
	s_endpgm
	.section	.rodata,"a",@progbits
	.p2align	6, 0x0
	.amdhsa_kernel _ZL29rocblas_internal_gemmt_kernelIiLi16ELi32ELi8ELc67ELc78ELc76ELb0ELb0EfPKfS1_PfEviT_T9_T10_S3_lS5_S3_lS4_T11_S3_li
		.amdhsa_group_segment_fixed_size 2048
		.amdhsa_private_segment_fixed_size 0
		.amdhsa_kernarg_size 100
		.amdhsa_user_sgpr_count 2
		.amdhsa_user_sgpr_dispatch_ptr 0
		.amdhsa_user_sgpr_queue_ptr 0
		.amdhsa_user_sgpr_kernarg_segment_ptr 1
		.amdhsa_user_sgpr_dispatch_id 0
		.amdhsa_user_sgpr_kernarg_preload_length 0
		.amdhsa_user_sgpr_kernarg_preload_offset 0
		.amdhsa_user_sgpr_private_segment_size 0
		.amdhsa_uses_dynamic_stack 0
		.amdhsa_enable_private_segment 0
		.amdhsa_system_sgpr_workgroup_id_x 1
		.amdhsa_system_sgpr_workgroup_id_y 1
		.amdhsa_system_sgpr_workgroup_id_z 1
		.amdhsa_system_sgpr_workgroup_info 0
		.amdhsa_system_vgpr_workitem_id 1
		.amdhsa_next_free_vgpr 48
		.amdhsa_next_free_sgpr 25
		.amdhsa_accum_offset 48
		.amdhsa_reserve_vcc 1
		.amdhsa_float_round_mode_32 0
		.amdhsa_float_round_mode_16_64 0
		.amdhsa_float_denorm_mode_32 3
		.amdhsa_float_denorm_mode_16_64 3
		.amdhsa_dx10_clamp 1
		.amdhsa_ieee_mode 1
		.amdhsa_fp16_overflow 0
		.amdhsa_tg_split 0
		.amdhsa_exception_fp_ieee_invalid_op 0
		.amdhsa_exception_fp_denorm_src 0
		.amdhsa_exception_fp_ieee_div_zero 0
		.amdhsa_exception_fp_ieee_overflow 0
		.amdhsa_exception_fp_ieee_underflow 0
		.amdhsa_exception_fp_ieee_inexact 0
		.amdhsa_exception_int_div_zero 0
	.end_amdhsa_kernel
	.section	.text._ZL29rocblas_internal_gemmt_kernelIiLi16ELi32ELi8ELc67ELc78ELc76ELb0ELb0EfPKfS1_PfEviT_T9_T10_S3_lS5_S3_lS4_T11_S3_li,"axG",@progbits,_ZL29rocblas_internal_gemmt_kernelIiLi16ELi32ELi8ELc67ELc78ELc76ELb0ELb0EfPKfS1_PfEviT_T9_T10_S3_lS5_S3_lS4_T11_S3_li,comdat
.Lfunc_end15:
	.size	_ZL29rocblas_internal_gemmt_kernelIiLi16ELi32ELi8ELc67ELc78ELc76ELb0ELb0EfPKfS1_PfEviT_T9_T10_S3_lS5_S3_lS4_T11_S3_li, .Lfunc_end15-_ZL29rocblas_internal_gemmt_kernelIiLi16ELi32ELi8ELc67ELc78ELc76ELb0ELb0EfPKfS1_PfEviT_T9_T10_S3_lS5_S3_lS4_T11_S3_li
                                        ; -- End function
	.set _ZL29rocblas_internal_gemmt_kernelIiLi16ELi32ELi8ELc67ELc78ELc76ELb0ELb0EfPKfS1_PfEviT_T9_T10_S3_lS5_S3_lS4_T11_S3_li.num_vgpr, 48
	.set _ZL29rocblas_internal_gemmt_kernelIiLi16ELi32ELi8ELc67ELc78ELc76ELb0ELb0EfPKfS1_PfEviT_T9_T10_S3_lS5_S3_lS4_T11_S3_li.num_agpr, 0
	.set _ZL29rocblas_internal_gemmt_kernelIiLi16ELi32ELi8ELc67ELc78ELc76ELb0ELb0EfPKfS1_PfEviT_T9_T10_S3_lS5_S3_lS4_T11_S3_li.numbered_sgpr, 25
	.set _ZL29rocblas_internal_gemmt_kernelIiLi16ELi32ELi8ELc67ELc78ELc76ELb0ELb0EfPKfS1_PfEviT_T9_T10_S3_lS5_S3_lS4_T11_S3_li.num_named_barrier, 0
	.set _ZL29rocblas_internal_gemmt_kernelIiLi16ELi32ELi8ELc67ELc78ELc76ELb0ELb0EfPKfS1_PfEviT_T9_T10_S3_lS5_S3_lS4_T11_S3_li.private_seg_size, 0
	.set _ZL29rocblas_internal_gemmt_kernelIiLi16ELi32ELi8ELc67ELc78ELc76ELb0ELb0EfPKfS1_PfEviT_T9_T10_S3_lS5_S3_lS4_T11_S3_li.uses_vcc, 1
	.set _ZL29rocblas_internal_gemmt_kernelIiLi16ELi32ELi8ELc67ELc78ELc76ELb0ELb0EfPKfS1_PfEviT_T9_T10_S3_lS5_S3_lS4_T11_S3_li.uses_flat_scratch, 0
	.set _ZL29rocblas_internal_gemmt_kernelIiLi16ELi32ELi8ELc67ELc78ELc76ELb0ELb0EfPKfS1_PfEviT_T9_T10_S3_lS5_S3_lS4_T11_S3_li.has_dyn_sized_stack, 0
	.set _ZL29rocblas_internal_gemmt_kernelIiLi16ELi32ELi8ELc67ELc78ELc76ELb0ELb0EfPKfS1_PfEviT_T9_T10_S3_lS5_S3_lS4_T11_S3_li.has_recursion, 0
	.set _ZL29rocblas_internal_gemmt_kernelIiLi16ELi32ELi8ELc67ELc78ELc76ELb0ELb0EfPKfS1_PfEviT_T9_T10_S3_lS5_S3_lS4_T11_S3_li.has_indirect_call, 0
	.section	.AMDGPU.csdata,"",@progbits
; Kernel info:
; codeLenInByte = 1244
; TotalNumSgprs: 31
; NumVgprs: 48
; NumAgprs: 0
; TotalNumVgprs: 48
; ScratchSize: 0
; MemoryBound: 0
; FloatMode: 240
; IeeeMode: 1
; LDSByteSize: 2048 bytes/workgroup (compile time only)
; SGPRBlocks: 3
; VGPRBlocks: 5
; NumSGPRsForWavesPerEU: 31
; NumVGPRsForWavesPerEU: 48
; AccumOffset: 48
; Occupancy: 8
; WaveLimiterHint : 0
; COMPUTE_PGM_RSRC2:SCRATCH_EN: 0
; COMPUTE_PGM_RSRC2:USER_SGPR: 2
; COMPUTE_PGM_RSRC2:TRAP_HANDLER: 0
; COMPUTE_PGM_RSRC2:TGID_X_EN: 1
; COMPUTE_PGM_RSRC2:TGID_Y_EN: 1
; COMPUTE_PGM_RSRC2:TGID_Z_EN: 1
; COMPUTE_PGM_RSRC2:TIDIG_COMP_CNT: 1
; COMPUTE_PGM_RSRC3_GFX90A:ACCUM_OFFSET: 11
; COMPUTE_PGM_RSRC3_GFX90A:TG_SPLIT: 0
	.section	.text._ZL29rocblas_internal_gemmt_kernelIiLi16ELi32ELi8ELc67ELc84ELc76ELb0ELb0EfPKfS1_PfEviT_T9_T10_S3_lS5_S3_lS4_T11_S3_li,"axG",@progbits,_ZL29rocblas_internal_gemmt_kernelIiLi16ELi32ELi8ELc67ELc84ELc76ELb0ELb0EfPKfS1_PfEviT_T9_T10_S3_lS5_S3_lS4_T11_S3_li,comdat
	.globl	_ZL29rocblas_internal_gemmt_kernelIiLi16ELi32ELi8ELc67ELc84ELc76ELb0ELb0EfPKfS1_PfEviT_T9_T10_S3_lS5_S3_lS4_T11_S3_li ; -- Begin function _ZL29rocblas_internal_gemmt_kernelIiLi16ELi32ELi8ELc67ELc84ELc76ELb0ELb0EfPKfS1_PfEviT_T9_T10_S3_lS5_S3_lS4_T11_S3_li
	.p2align	8
	.type	_ZL29rocblas_internal_gemmt_kernelIiLi16ELi32ELi8ELc67ELc84ELc76ELb0ELb0EfPKfS1_PfEviT_T9_T10_S3_lS5_S3_lS4_T11_S3_li,@function
_ZL29rocblas_internal_gemmt_kernelIiLi16ELi32ELi8ELc67ELc84ELc76ELb0ELb0EfPKfS1_PfEviT_T9_T10_S3_lS5_S3_lS4_T11_S3_li: ; @_ZL29rocblas_internal_gemmt_kernelIiLi16ELi32ELi8ELc67ELc84ELc76ELb0ELb0EfPKfS1_PfEviT_T9_T10_S3_lS5_S3_lS4_T11_S3_li
; %bb.0:
	s_load_dwordx4 s[8:11], s[0:1], 0x38
	s_load_dwordx4 s[12:15], s[0:1], 0x8
	s_waitcnt lgkmcnt(0)
	s_load_dword s22, s[10:11], 0x0
	s_load_dwordx2 s[20:21], s[0:1], 0x0
	s_load_dword s23, s[12:13], 0x0
	s_waitcnt lgkmcnt(0)
	v_cmp_neq_f32_e64 s[6:7], s22, 1.0
	s_and_b64 vcc, exec, s[6:7]
	s_cbranch_vccnz .LBB16_2
; %bb.1:
	s_cmp_lg_u32 s21, 0
	s_cselect_b64 s[6:7], -1, 0
	v_cmp_neq_f32_e64 s[10:11], s23, 0
	s_and_b64 s[6:7], s[6:7], s[10:11]
.LBB16_2:
	s_andn2_b64 vcc, exec, s[6:7]
	s_cbranch_vccnz .LBB16_26
; %bb.3:
	s_load_dwordx2 s[10:11], s[0:1], 0x48
	s_lshl_b32 s12, s2, 5
	s_lshl_b32 s5, s3, 5
	s_cmp_lt_i32 s21, 1
	v_cmp_eq_f32_e64 s[2:3], s23, 0
	s_cselect_b64 s[6:7], -1, 0
	v_mov_b32_e32 v3, 0
	s_or_b64 s[2:3], s[2:3], s[6:7]
	v_and_b32_e32 v9, 0x3ff, v0
	v_bfe_u32 v8, v0, 10, 10
	s_mov_b32 s13, 0
	s_and_b64 vcc, exec, s[2:3]
	v_mov_b32_e32 v2, v3
	v_mov_b32_e32 v1, v3
	;; [unrolled: 1-line block ×3, first 2 shown]
	s_cbranch_vccnz .LBB16_10
; %bb.4:
	v_lshl_add_u32 v0, v8, 4, v9
	v_lshrrev_b32_e32 v11, 5, v0
	v_lshrrev_b32_e32 v1, 3, v0
	v_and_b32_e32 v0, 31, v0
	v_or_b32_e32 v3, s12, v0
	s_load_dword s24, s[0:1], 0x18
	s_load_dword s6, s[0:1], 0x30
	s_load_dwordx4 s[16:19], s[0:1], 0x20
	v_and_b32_e32 v10, 7, v9
	v_cmp_gt_i32_e32 vcc, s20, v3
	v_lshlrev_b32_e32 v3, 2, v0
	v_lshl_or_b32 v12, v11, 7, v3
	v_lshlrev_b32_e32 v3, 2, v10
	v_add_u32_e32 v2, s5, v1
	v_lshl_or_b32 v1, v1, 5, v3
	v_add_u32_e32 v13, 0x400, v1
	v_mov_b32_e32 v1, 0x400
	v_add_u32_e32 v0, s12, v0
	v_lshl_add_u32 v15, v8, 5, v1
	s_waitcnt lgkmcnt(0)
	v_mad_i64_i32 v[0:1], s[24:25], s24, v0, 0
	s_mul_i32 s17, s17, s4
	s_mul_hi_u32 s24, s16, s4
	s_add_i32 s17, s24, s17
	s_mul_i32 s16, s16, s4
	s_lshl_b64 s[16:17], s[16:17], 2
	v_lshl_add_u64 v[4:5], v[0:1], 2, s[16:17]
	v_lshlrev_b32_e32 v0, 2, v11
	v_mov_b32_e32 v1, 0
	v_lshl_add_u64 v[4:5], v[4:5], 0, v[0:1]
	v_lshl_add_u64 v[4:5], s[14:15], 0, v[4:5]
	s_mul_i32 s9, s9, s4
	s_mul_hi_u32 s14, s8, s4
	s_add_i32 s9, s14, s9
	v_mad_i64_i32 v[6:7], s[14:15], s6, v10, 0
	s_mul_i32 s8, s8, s4
	v_lshlrev_b64 v[6:7], 2, v[6:7]
	v_ashrrev_i32_e32 v3, 31, v2
	v_lshl_add_u64 v[6:7], s[8:9], 2, v[6:7]
	s_ashr_i32 s7, s6, 31
	v_cmp_gt_i32_e64 s[2:3], s20, v2
	v_lshl_add_u64 v[2:3], v[2:3], 2, v[6:7]
	v_lshlrev_b32_e32 v14, 2, v9
	v_lshl_add_u64 v[6:7], s[18:19], 0, v[2:3]
	s_lshl_b64 s[8:9], s[6:7], 5
	v_mov_b32_e32 v0, v1
	v_mov_b32_e32 v2, v1
	;; [unrolled: 1-line block ×3, first 2 shown]
	s_branch .LBB16_6
.LBB16_5:                               ;   in Loop: Header=BB16_6 Depth=1
	s_or_b64 exec, exec, s[6:7]
	s_waitcnt vmcnt(0)
	ds_write_b32 v13, v16
	s_waitcnt lgkmcnt(0)
	s_barrier
	ds_read_b128 v[16:19], v15
	ds_read_b128 v[20:23], v15 offset:16
	ds_read2_b32 v[32:33], v14 offset1:16
	ds_read2_b32 v[34:35], v14 offset0:32 offset1:48
	ds_read2_b32 v[36:37], v14 offset0:64 offset1:80
	;; [unrolled: 1-line block ×4, first 2 shown]
	ds_read_b128 v[24:27], v15 offset:512
	ds_read_b128 v[28:31], v15 offset:528
	ds_read2_b32 v[42:43], v14 offset0:160 offset1:176
	ds_read2_b32 v[44:45], v14 offset0:192 offset1:208
	;; [unrolled: 1-line block ×3, first 2 shown]
	s_waitcnt lgkmcnt(9)
	v_pk_fma_f32 v[2:3], v[32:33], v[16:17], v[2:3] op_sel_hi:[1,0,1]
	s_waitcnt lgkmcnt(4)
	v_pk_fma_f32 v[0:1], v[32:33], v[24:25], v[0:1] op_sel_hi:[1,0,1]
	v_pk_fma_f32 v[2:3], v[34:35], v[16:17], v[2:3] op_sel:[0,1,0]
	v_mov_b32_e32 v16, v19
	v_pk_fma_f32 v[2:3], v[36:37], v[18:19], v[2:3] op_sel_hi:[1,0,1]
	v_pk_fma_f32 v[0:1], v[34:35], v[24:25], v[0:1] op_sel:[0,1,0]
	v_pk_fma_f32 v[2:3], v[38:39], v[16:17], v[2:3] op_sel_hi:[1,0,1]
	v_mov_b32_e32 v16, v23
	v_pk_fma_f32 v[2:3], v[40:41], v[20:21], v[2:3] op_sel_hi:[1,0,1]
	v_pk_fma_f32 v[0:1], v[36:37], v[26:27], v[0:1] op_sel_hi:[1,0,1]
	s_waitcnt lgkmcnt(2)
	v_pk_fma_f32 v[2:3], v[42:43], v[20:21], v[2:3] op_sel:[0,1,0]
	s_add_i32 s13, s13, 8
	s_waitcnt lgkmcnt(1)
	v_pk_fma_f32 v[2:3], v[44:45], v[22:23], v[2:3] op_sel_hi:[1,0,1]
	v_lshl_add_u64 v[4:5], v[4:5], 0, 32
	s_waitcnt lgkmcnt(0)
	v_pk_fma_f32 v[2:3], v[46:47], v[16:17], v[2:3] op_sel_hi:[1,0,1]
	v_mov_b32_e32 v16, v27
	v_pk_fma_f32 v[0:1], v[38:39], v[16:17], v[0:1] op_sel_hi:[1,0,1]
	v_mov_b32_e32 v16, v31
	v_pk_fma_f32 v[0:1], v[40:41], v[28:29], v[0:1] op_sel_hi:[1,0,1]
	s_cmp_lt_i32 s13, s21
	v_pk_fma_f32 v[0:1], v[42:43], v[28:29], v[0:1] op_sel:[0,1,0]
	v_lshl_add_u64 v[6:7], v[6:7], 0, s[8:9]
	v_pk_fma_f32 v[0:1], v[44:45], v[30:31], v[0:1] op_sel_hi:[1,0,1]
	s_nop 0
	v_pk_fma_f32 v[0:1], v[46:47], v[16:17], v[0:1] op_sel_hi:[1,0,1]
	s_barrier
	s_cbranch_scc0 .LBB16_10
.LBB16_6:                               ; =>This Inner Loop Header: Depth=1
	v_add_u32_e32 v16, s13, v11
	v_cmp_gt_i32_e64 s[6:7], s21, v16
	s_and_b64 s[14:15], vcc, s[6:7]
	v_mov_b32_e32 v16, 0
	s_and_saveexec_b64 s[6:7], s[14:15]
	s_cbranch_execz .LBB16_8
; %bb.7:                                ;   in Loop: Header=BB16_6 Depth=1
	global_load_dword v16, v[4:5], off
.LBB16_8:                               ;   in Loop: Header=BB16_6 Depth=1
	s_or_b64 exec, exec, s[6:7]
	s_waitcnt vmcnt(0)
	ds_write_b32 v12, v16
	v_add_u32_e32 v16, s13, v10
	v_cmp_gt_i32_e64 s[6:7], s21, v16
	s_and_b64 s[14:15], s[6:7], s[2:3]
	v_mov_b32_e32 v16, 0
	s_and_saveexec_b64 s[6:7], s[14:15]
	s_cbranch_execz .LBB16_5
; %bb.9:                                ;   in Loop: Header=BB16_6 Depth=1
	global_load_dword v16, v[6:7], off
	s_branch .LBB16_5
.LBB16_10:
	s_load_dwordx2 s[2:3], s[0:1], 0x58
	s_load_dword s13, s[0:1], 0x50
	v_add_u32_e32 v10, s5, v8
	v_add_u32_e32 v4, s12, v9
	v_cmp_le_i32_e32 vcc, v10, v4
	s_waitcnt lgkmcnt(0)
	s_mul_i32 s1, s3, s4
	s_mul_hi_u32 s3, s2, s4
	s_mul_i32 s0, s2, s4
	s_add_i32 s1, s3, s1
	s_lshl_b64 s[0:1], s[0:1], 2
	s_add_u32 s6, s10, s0
	s_addc_u32 s7, s11, s1
	v_mad_i64_i32 v[6:7], s[0:1], v10, s13, 0
	v_cmp_neq_f32_e64 s[0:1], s22, 0
	v_lshl_add_u64 v[8:9], v[6:7], 2, s[6:7]
	v_cmp_gt_i32_e64 s[2:3], s20, v4
	v_cndmask_b32_e64 v6, 0, 1, s[0:1]
	s_and_b64 s[8:9], vcc, s[2:3]
	v_ashrrev_i32_e32 v5, 31, v4
	v_cmp_ne_u32_e64 s[0:1], 1, v6
	s_and_saveexec_b64 s[4:5], s[8:9]
	s_cbranch_execz .LBB16_14
; %bb.11:
	v_mul_f32_e32 v2, s23, v2
	s_and_b64 vcc, exec, s[0:1]
	v_lshl_add_u64 v[6:7], v[4:5], 2, v[8:9]
	s_cbranch_vccnz .LBB16_13
; %bb.12:
	global_load_dword v11, v[6:7], off
	s_waitcnt vmcnt(0)
	v_fmac_f32_e32 v2, s22, v11
.LBB16_13:
	global_store_dword v[6:7], v2, off
.LBB16_14:
	s_or_b64 exec, exec, s[4:5]
	v_add_u32_e32 v6, 16, v4
	v_cmp_le_i32_e32 vcc, v10, v6
	v_cmp_gt_i32_e64 s[4:5], s20, v6
	s_and_b64 s[10:11], vcc, s[4:5]
	v_ashrrev_i32_e32 v7, 31, v6
	s_and_saveexec_b64 s[8:9], s[10:11]
	s_cbranch_execz .LBB16_18
; %bb.15:
	v_mul_f32_e32 v11, s23, v3
	s_and_b64 vcc, exec, s[0:1]
	v_lshl_add_u64 v[2:3], v[6:7], 2, v[8:9]
	s_cbranch_vccnz .LBB16_17
; %bb.16:
	global_load_dword v8, v[2:3], off
	s_waitcnt vmcnt(0)
	v_fmac_f32_e32 v11, s22, v8
.LBB16_17:
	global_store_dword v[2:3], v11, off
.LBB16_18:
	s_or_b64 exec, exec, s[8:9]
	v_add_u32_e32 v8, 16, v10
	v_mad_i64_i32 v[2:3], s[8:9], v8, s13, 0
	v_cmp_le_i32_e32 vcc, v8, v4
	v_lshl_add_u64 v[2:3], v[2:3], 2, s[6:7]
	s_and_b64 s[6:7], vcc, s[2:3]
	s_and_saveexec_b64 s[2:3], s[6:7]
	s_cbranch_execz .LBB16_22
; %bb.19:
	v_mul_f32_e32 v0, s23, v0
	s_and_b64 vcc, exec, s[0:1]
	v_lshl_add_u64 v[4:5], v[4:5], 2, v[2:3]
	s_cbranch_vccnz .LBB16_21
; %bb.20:
	global_load_dword v9, v[4:5], off
	s_waitcnt vmcnt(0)
	v_fmac_f32_e32 v0, s22, v9
.LBB16_21:
	global_store_dword v[4:5], v0, off
.LBB16_22:
	s_or_b64 exec, exec, s[2:3]
	v_cmp_le_i32_e32 vcc, v8, v6
	s_and_b64 s[2:3], vcc, s[4:5]
	s_and_saveexec_b64 s[4:5], s[2:3]
	s_cbranch_execz .LBB16_26
; %bb.23:
	v_mul_f32_e32 v4, s23, v1
	s_and_b64 vcc, exec, s[0:1]
	v_lshl_add_u64 v[0:1], v[6:7], 2, v[2:3]
	s_cbranch_vccnz .LBB16_25
; %bb.24:
	global_load_dword v2, v[0:1], off
	s_waitcnt vmcnt(0)
	v_fmac_f32_e32 v4, s22, v2
.LBB16_25:
	global_store_dword v[0:1], v4, off
.LBB16_26:
	s_endpgm
	.section	.rodata,"a",@progbits
	.p2align	6, 0x0
	.amdhsa_kernel _ZL29rocblas_internal_gemmt_kernelIiLi16ELi32ELi8ELc67ELc84ELc76ELb0ELb0EfPKfS1_PfEviT_T9_T10_S3_lS5_S3_lS4_T11_S3_li
		.amdhsa_group_segment_fixed_size 2048
		.amdhsa_private_segment_fixed_size 0
		.amdhsa_kernarg_size 100
		.amdhsa_user_sgpr_count 2
		.amdhsa_user_sgpr_dispatch_ptr 0
		.amdhsa_user_sgpr_queue_ptr 0
		.amdhsa_user_sgpr_kernarg_segment_ptr 1
		.amdhsa_user_sgpr_dispatch_id 0
		.amdhsa_user_sgpr_kernarg_preload_length 0
		.amdhsa_user_sgpr_kernarg_preload_offset 0
		.amdhsa_user_sgpr_private_segment_size 0
		.amdhsa_uses_dynamic_stack 0
		.amdhsa_enable_private_segment 0
		.amdhsa_system_sgpr_workgroup_id_x 1
		.amdhsa_system_sgpr_workgroup_id_y 1
		.amdhsa_system_sgpr_workgroup_id_z 1
		.amdhsa_system_sgpr_workgroup_info 0
		.amdhsa_system_vgpr_workitem_id 1
		.amdhsa_next_free_vgpr 48
		.amdhsa_next_free_sgpr 26
		.amdhsa_accum_offset 48
		.amdhsa_reserve_vcc 1
		.amdhsa_float_round_mode_32 0
		.amdhsa_float_round_mode_16_64 0
		.amdhsa_float_denorm_mode_32 3
		.amdhsa_float_denorm_mode_16_64 3
		.amdhsa_dx10_clamp 1
		.amdhsa_ieee_mode 1
		.amdhsa_fp16_overflow 0
		.amdhsa_tg_split 0
		.amdhsa_exception_fp_ieee_invalid_op 0
		.amdhsa_exception_fp_denorm_src 0
		.amdhsa_exception_fp_ieee_div_zero 0
		.amdhsa_exception_fp_ieee_overflow 0
		.amdhsa_exception_fp_ieee_underflow 0
		.amdhsa_exception_fp_ieee_inexact 0
		.amdhsa_exception_int_div_zero 0
	.end_amdhsa_kernel
	.section	.text._ZL29rocblas_internal_gemmt_kernelIiLi16ELi32ELi8ELc67ELc84ELc76ELb0ELb0EfPKfS1_PfEviT_T9_T10_S3_lS5_S3_lS4_T11_S3_li,"axG",@progbits,_ZL29rocblas_internal_gemmt_kernelIiLi16ELi32ELi8ELc67ELc84ELc76ELb0ELb0EfPKfS1_PfEviT_T9_T10_S3_lS5_S3_lS4_T11_S3_li,comdat
.Lfunc_end16:
	.size	_ZL29rocblas_internal_gemmt_kernelIiLi16ELi32ELi8ELc67ELc84ELc76ELb0ELb0EfPKfS1_PfEviT_T9_T10_S3_lS5_S3_lS4_T11_S3_li, .Lfunc_end16-_ZL29rocblas_internal_gemmt_kernelIiLi16ELi32ELi8ELc67ELc84ELc76ELb0ELb0EfPKfS1_PfEviT_T9_T10_S3_lS5_S3_lS4_T11_S3_li
                                        ; -- End function
	.set _ZL29rocblas_internal_gemmt_kernelIiLi16ELi32ELi8ELc67ELc84ELc76ELb0ELb0EfPKfS1_PfEviT_T9_T10_S3_lS5_S3_lS4_T11_S3_li.num_vgpr, 48
	.set _ZL29rocblas_internal_gemmt_kernelIiLi16ELi32ELi8ELc67ELc84ELc76ELb0ELb0EfPKfS1_PfEviT_T9_T10_S3_lS5_S3_lS4_T11_S3_li.num_agpr, 0
	.set _ZL29rocblas_internal_gemmt_kernelIiLi16ELi32ELi8ELc67ELc84ELc76ELb0ELb0EfPKfS1_PfEviT_T9_T10_S3_lS5_S3_lS4_T11_S3_li.numbered_sgpr, 26
	.set _ZL29rocblas_internal_gemmt_kernelIiLi16ELi32ELi8ELc67ELc84ELc76ELb0ELb0EfPKfS1_PfEviT_T9_T10_S3_lS5_S3_lS4_T11_S3_li.num_named_barrier, 0
	.set _ZL29rocblas_internal_gemmt_kernelIiLi16ELi32ELi8ELc67ELc84ELc76ELb0ELb0EfPKfS1_PfEviT_T9_T10_S3_lS5_S3_lS4_T11_S3_li.private_seg_size, 0
	.set _ZL29rocblas_internal_gemmt_kernelIiLi16ELi32ELi8ELc67ELc84ELc76ELb0ELb0EfPKfS1_PfEviT_T9_T10_S3_lS5_S3_lS4_T11_S3_li.uses_vcc, 1
	.set _ZL29rocblas_internal_gemmt_kernelIiLi16ELi32ELi8ELc67ELc84ELc76ELb0ELb0EfPKfS1_PfEviT_T9_T10_S3_lS5_S3_lS4_T11_S3_li.uses_flat_scratch, 0
	.set _ZL29rocblas_internal_gemmt_kernelIiLi16ELi32ELi8ELc67ELc84ELc76ELb0ELb0EfPKfS1_PfEviT_T9_T10_S3_lS5_S3_lS4_T11_S3_li.has_dyn_sized_stack, 0
	.set _ZL29rocblas_internal_gemmt_kernelIiLi16ELi32ELi8ELc67ELc84ELc76ELb0ELb0EfPKfS1_PfEviT_T9_T10_S3_lS5_S3_lS4_T11_S3_li.has_recursion, 0
	.set _ZL29rocblas_internal_gemmt_kernelIiLi16ELi32ELi8ELc67ELc84ELc76ELb0ELb0EfPKfS1_PfEviT_T9_T10_S3_lS5_S3_lS4_T11_S3_li.has_indirect_call, 0
	.section	.AMDGPU.csdata,"",@progbits
; Kernel info:
; codeLenInByte = 1256
; TotalNumSgprs: 32
; NumVgprs: 48
; NumAgprs: 0
; TotalNumVgprs: 48
; ScratchSize: 0
; MemoryBound: 0
; FloatMode: 240
; IeeeMode: 1
; LDSByteSize: 2048 bytes/workgroup (compile time only)
; SGPRBlocks: 3
; VGPRBlocks: 5
; NumSGPRsForWavesPerEU: 32
; NumVGPRsForWavesPerEU: 48
; AccumOffset: 48
; Occupancy: 8
; WaveLimiterHint : 0
; COMPUTE_PGM_RSRC2:SCRATCH_EN: 0
; COMPUTE_PGM_RSRC2:USER_SGPR: 2
; COMPUTE_PGM_RSRC2:TRAP_HANDLER: 0
; COMPUTE_PGM_RSRC2:TGID_X_EN: 1
; COMPUTE_PGM_RSRC2:TGID_Y_EN: 1
; COMPUTE_PGM_RSRC2:TGID_Z_EN: 1
; COMPUTE_PGM_RSRC2:TIDIG_COMP_CNT: 1
; COMPUTE_PGM_RSRC3_GFX90A:ACCUM_OFFSET: 11
; COMPUTE_PGM_RSRC3_GFX90A:TG_SPLIT: 0
	.section	.text._ZL29rocblas_internal_gemmt_kernelIiLi16ELi32ELi8ELc67ELc67ELc76ELb0ELb0EfPKfS1_PfEviT_T9_T10_S3_lS5_S3_lS4_T11_S3_li,"axG",@progbits,_ZL29rocblas_internal_gemmt_kernelIiLi16ELi32ELi8ELc67ELc67ELc76ELb0ELb0EfPKfS1_PfEviT_T9_T10_S3_lS5_S3_lS4_T11_S3_li,comdat
	.globl	_ZL29rocblas_internal_gemmt_kernelIiLi16ELi32ELi8ELc67ELc67ELc76ELb0ELb0EfPKfS1_PfEviT_T9_T10_S3_lS5_S3_lS4_T11_S3_li ; -- Begin function _ZL29rocblas_internal_gemmt_kernelIiLi16ELi32ELi8ELc67ELc67ELc76ELb0ELb0EfPKfS1_PfEviT_T9_T10_S3_lS5_S3_lS4_T11_S3_li
	.p2align	8
	.type	_ZL29rocblas_internal_gemmt_kernelIiLi16ELi32ELi8ELc67ELc67ELc76ELb0ELb0EfPKfS1_PfEviT_T9_T10_S3_lS5_S3_lS4_T11_S3_li,@function
_ZL29rocblas_internal_gemmt_kernelIiLi16ELi32ELi8ELc67ELc67ELc76ELb0ELb0EfPKfS1_PfEviT_T9_T10_S3_lS5_S3_lS4_T11_S3_li: ; @_ZL29rocblas_internal_gemmt_kernelIiLi16ELi32ELi8ELc67ELc67ELc76ELb0ELb0EfPKfS1_PfEviT_T9_T10_S3_lS5_S3_lS4_T11_S3_li
; %bb.0:
	s_load_dwordx4 s[8:11], s[0:1], 0x38
	s_load_dwordx4 s[12:15], s[0:1], 0x8
	s_waitcnt lgkmcnt(0)
	s_load_dword s22, s[10:11], 0x0
	s_load_dwordx2 s[20:21], s[0:1], 0x0
	s_load_dword s23, s[12:13], 0x0
	s_waitcnt lgkmcnt(0)
	v_cmp_neq_f32_e64 s[6:7], s22, 1.0
	s_and_b64 vcc, exec, s[6:7]
	s_cbranch_vccnz .LBB17_2
; %bb.1:
	s_cmp_lg_u32 s21, 0
	s_cselect_b64 s[6:7], -1, 0
	v_cmp_neq_f32_e64 s[10:11], s23, 0
	s_and_b64 s[6:7], s[6:7], s[10:11]
.LBB17_2:
	s_andn2_b64 vcc, exec, s[6:7]
	s_cbranch_vccnz .LBB17_26
; %bb.3:
	s_load_dwordx2 s[10:11], s[0:1], 0x48
	s_lshl_b32 s12, s2, 5
	s_lshl_b32 s5, s3, 5
	s_cmp_lt_i32 s21, 1
	v_cmp_eq_f32_e64 s[2:3], s23, 0
	s_cselect_b64 s[6:7], -1, 0
	v_mov_b32_e32 v3, 0
	s_or_b64 s[2:3], s[2:3], s[6:7]
	v_and_b32_e32 v9, 0x3ff, v0
	v_bfe_u32 v8, v0, 10, 10
	s_mov_b32 s13, 0
	s_and_b64 vcc, exec, s[2:3]
	v_mov_b32_e32 v2, v3
	v_mov_b32_e32 v1, v3
	;; [unrolled: 1-line block ×3, first 2 shown]
	s_cbranch_vccnz .LBB17_10
; %bb.4:
	v_lshl_add_u32 v0, v8, 4, v9
	v_lshrrev_b32_e32 v11, 5, v0
	v_lshrrev_b32_e32 v1, 3, v0
	v_and_b32_e32 v0, 31, v0
	v_or_b32_e32 v3, s12, v0
	s_load_dword s24, s[0:1], 0x18
	s_load_dword s6, s[0:1], 0x30
	s_load_dwordx4 s[16:19], s[0:1], 0x20
	v_and_b32_e32 v10, 7, v9
	v_cmp_gt_i32_e32 vcc, s20, v3
	v_lshlrev_b32_e32 v3, 2, v0
	v_lshl_or_b32 v12, v11, 7, v3
	v_lshlrev_b32_e32 v3, 2, v10
	v_add_u32_e32 v2, s5, v1
	v_lshl_or_b32 v1, v1, 5, v3
	v_add_u32_e32 v13, 0x400, v1
	v_mov_b32_e32 v1, 0x400
	v_add_u32_e32 v0, s12, v0
	v_lshl_add_u32 v15, v8, 5, v1
	s_waitcnt lgkmcnt(0)
	v_mad_i64_i32 v[0:1], s[24:25], s24, v0, 0
	s_mul_i32 s17, s17, s4
	s_mul_hi_u32 s24, s16, s4
	s_add_i32 s17, s24, s17
	s_mul_i32 s16, s16, s4
	s_lshl_b64 s[16:17], s[16:17], 2
	v_lshl_add_u64 v[4:5], v[0:1], 2, s[16:17]
	v_lshlrev_b32_e32 v0, 2, v11
	v_mov_b32_e32 v1, 0
	v_lshl_add_u64 v[4:5], v[4:5], 0, v[0:1]
	v_lshl_add_u64 v[4:5], s[14:15], 0, v[4:5]
	s_mul_i32 s9, s9, s4
	s_mul_hi_u32 s14, s8, s4
	s_add_i32 s9, s14, s9
	v_mad_i64_i32 v[6:7], s[14:15], s6, v10, 0
	s_mul_i32 s8, s8, s4
	v_lshlrev_b64 v[6:7], 2, v[6:7]
	v_ashrrev_i32_e32 v3, 31, v2
	v_lshl_add_u64 v[6:7], s[8:9], 2, v[6:7]
	s_ashr_i32 s7, s6, 31
	v_cmp_gt_i32_e64 s[2:3], s20, v2
	v_lshl_add_u64 v[2:3], v[2:3], 2, v[6:7]
	v_lshlrev_b32_e32 v14, 2, v9
	v_lshl_add_u64 v[6:7], s[18:19], 0, v[2:3]
	s_lshl_b64 s[8:9], s[6:7], 5
	v_mov_b32_e32 v0, v1
	v_mov_b32_e32 v2, v1
	;; [unrolled: 1-line block ×3, first 2 shown]
	s_branch .LBB17_6
.LBB17_5:                               ;   in Loop: Header=BB17_6 Depth=1
	s_or_b64 exec, exec, s[6:7]
	s_waitcnt vmcnt(0)
	ds_write_b32 v13, v16
	s_waitcnt lgkmcnt(0)
	s_barrier
	ds_read_b128 v[16:19], v15
	ds_read_b128 v[20:23], v15 offset:16
	ds_read2_b32 v[32:33], v14 offset1:16
	ds_read2_b32 v[34:35], v14 offset0:32 offset1:48
	ds_read2_b32 v[36:37], v14 offset0:64 offset1:80
	ds_read2_b32 v[38:39], v14 offset0:96 offset1:112
	ds_read2_b32 v[40:41], v14 offset0:128 offset1:144
	ds_read_b128 v[24:27], v15 offset:512
	ds_read_b128 v[28:31], v15 offset:528
	ds_read2_b32 v[42:43], v14 offset0:160 offset1:176
	ds_read2_b32 v[44:45], v14 offset0:192 offset1:208
	;; [unrolled: 1-line block ×3, first 2 shown]
	s_waitcnt lgkmcnt(9)
	v_pk_fma_f32 v[2:3], v[32:33], v[16:17], v[2:3] op_sel_hi:[1,0,1]
	s_waitcnt lgkmcnt(4)
	v_pk_fma_f32 v[0:1], v[32:33], v[24:25], v[0:1] op_sel_hi:[1,0,1]
	v_pk_fma_f32 v[2:3], v[34:35], v[16:17], v[2:3] op_sel:[0,1,0]
	v_mov_b32_e32 v16, v19
	v_pk_fma_f32 v[2:3], v[36:37], v[18:19], v[2:3] op_sel_hi:[1,0,1]
	v_pk_fma_f32 v[0:1], v[34:35], v[24:25], v[0:1] op_sel:[0,1,0]
	v_pk_fma_f32 v[2:3], v[38:39], v[16:17], v[2:3] op_sel_hi:[1,0,1]
	v_mov_b32_e32 v16, v23
	v_pk_fma_f32 v[2:3], v[40:41], v[20:21], v[2:3] op_sel_hi:[1,0,1]
	v_pk_fma_f32 v[0:1], v[36:37], v[26:27], v[0:1] op_sel_hi:[1,0,1]
	s_waitcnt lgkmcnt(2)
	v_pk_fma_f32 v[2:3], v[42:43], v[20:21], v[2:3] op_sel:[0,1,0]
	s_add_i32 s13, s13, 8
	s_waitcnt lgkmcnt(1)
	v_pk_fma_f32 v[2:3], v[44:45], v[22:23], v[2:3] op_sel_hi:[1,0,1]
	v_lshl_add_u64 v[4:5], v[4:5], 0, 32
	s_waitcnt lgkmcnt(0)
	v_pk_fma_f32 v[2:3], v[46:47], v[16:17], v[2:3] op_sel_hi:[1,0,1]
	v_mov_b32_e32 v16, v27
	v_pk_fma_f32 v[0:1], v[38:39], v[16:17], v[0:1] op_sel_hi:[1,0,1]
	v_mov_b32_e32 v16, v31
	v_pk_fma_f32 v[0:1], v[40:41], v[28:29], v[0:1] op_sel_hi:[1,0,1]
	s_cmp_lt_i32 s13, s21
	v_pk_fma_f32 v[0:1], v[42:43], v[28:29], v[0:1] op_sel:[0,1,0]
	v_lshl_add_u64 v[6:7], v[6:7], 0, s[8:9]
	v_pk_fma_f32 v[0:1], v[44:45], v[30:31], v[0:1] op_sel_hi:[1,0,1]
	s_nop 0
	v_pk_fma_f32 v[0:1], v[46:47], v[16:17], v[0:1] op_sel_hi:[1,0,1]
	s_barrier
	s_cbranch_scc0 .LBB17_10
.LBB17_6:                               ; =>This Inner Loop Header: Depth=1
	v_add_u32_e32 v16, s13, v11
	v_cmp_gt_i32_e64 s[6:7], s21, v16
	s_and_b64 s[14:15], vcc, s[6:7]
	v_mov_b32_e32 v16, 0
	s_and_saveexec_b64 s[6:7], s[14:15]
	s_cbranch_execz .LBB17_8
; %bb.7:                                ;   in Loop: Header=BB17_6 Depth=1
	global_load_dword v16, v[4:5], off
.LBB17_8:                               ;   in Loop: Header=BB17_6 Depth=1
	s_or_b64 exec, exec, s[6:7]
	s_waitcnt vmcnt(0)
	ds_write_b32 v12, v16
	v_add_u32_e32 v16, s13, v10
	v_cmp_gt_i32_e64 s[6:7], s21, v16
	s_and_b64 s[14:15], s[6:7], s[2:3]
	v_mov_b32_e32 v16, 0
	s_and_saveexec_b64 s[6:7], s[14:15]
	s_cbranch_execz .LBB17_5
; %bb.9:                                ;   in Loop: Header=BB17_6 Depth=1
	global_load_dword v16, v[6:7], off
	s_branch .LBB17_5
.LBB17_10:
	s_load_dwordx2 s[2:3], s[0:1], 0x58
	s_load_dword s13, s[0:1], 0x50
	v_add_u32_e32 v10, s5, v8
	v_add_u32_e32 v4, s12, v9
	v_cmp_le_i32_e32 vcc, v10, v4
	s_waitcnt lgkmcnt(0)
	s_mul_i32 s1, s3, s4
	s_mul_hi_u32 s3, s2, s4
	s_mul_i32 s0, s2, s4
	s_add_i32 s1, s3, s1
	s_lshl_b64 s[0:1], s[0:1], 2
	s_add_u32 s6, s10, s0
	s_addc_u32 s7, s11, s1
	v_mad_i64_i32 v[6:7], s[0:1], v10, s13, 0
	v_cmp_neq_f32_e64 s[0:1], s22, 0
	v_lshl_add_u64 v[8:9], v[6:7], 2, s[6:7]
	v_cmp_gt_i32_e64 s[2:3], s20, v4
	v_cndmask_b32_e64 v6, 0, 1, s[0:1]
	s_and_b64 s[8:9], vcc, s[2:3]
	v_ashrrev_i32_e32 v5, 31, v4
	v_cmp_ne_u32_e64 s[0:1], 1, v6
	s_and_saveexec_b64 s[4:5], s[8:9]
	s_cbranch_execz .LBB17_14
; %bb.11:
	v_mul_f32_e32 v2, s23, v2
	s_and_b64 vcc, exec, s[0:1]
	v_lshl_add_u64 v[6:7], v[4:5], 2, v[8:9]
	s_cbranch_vccnz .LBB17_13
; %bb.12:
	global_load_dword v11, v[6:7], off
	s_waitcnt vmcnt(0)
	v_fmac_f32_e32 v2, s22, v11
.LBB17_13:
	global_store_dword v[6:7], v2, off
.LBB17_14:
	s_or_b64 exec, exec, s[4:5]
	v_add_u32_e32 v6, 16, v4
	v_cmp_le_i32_e32 vcc, v10, v6
	v_cmp_gt_i32_e64 s[4:5], s20, v6
	s_and_b64 s[10:11], vcc, s[4:5]
	v_ashrrev_i32_e32 v7, 31, v6
	s_and_saveexec_b64 s[8:9], s[10:11]
	s_cbranch_execz .LBB17_18
; %bb.15:
	v_mul_f32_e32 v11, s23, v3
	s_and_b64 vcc, exec, s[0:1]
	v_lshl_add_u64 v[2:3], v[6:7], 2, v[8:9]
	s_cbranch_vccnz .LBB17_17
; %bb.16:
	global_load_dword v8, v[2:3], off
	s_waitcnt vmcnt(0)
	v_fmac_f32_e32 v11, s22, v8
.LBB17_17:
	global_store_dword v[2:3], v11, off
.LBB17_18:
	s_or_b64 exec, exec, s[8:9]
	v_add_u32_e32 v8, 16, v10
	v_mad_i64_i32 v[2:3], s[8:9], v8, s13, 0
	v_cmp_le_i32_e32 vcc, v8, v4
	v_lshl_add_u64 v[2:3], v[2:3], 2, s[6:7]
	s_and_b64 s[6:7], vcc, s[2:3]
	s_and_saveexec_b64 s[2:3], s[6:7]
	s_cbranch_execz .LBB17_22
; %bb.19:
	v_mul_f32_e32 v0, s23, v0
	s_and_b64 vcc, exec, s[0:1]
	v_lshl_add_u64 v[4:5], v[4:5], 2, v[2:3]
	s_cbranch_vccnz .LBB17_21
; %bb.20:
	global_load_dword v9, v[4:5], off
	s_waitcnt vmcnt(0)
	v_fmac_f32_e32 v0, s22, v9
.LBB17_21:
	global_store_dword v[4:5], v0, off
.LBB17_22:
	s_or_b64 exec, exec, s[2:3]
	v_cmp_le_i32_e32 vcc, v8, v6
	s_and_b64 s[2:3], vcc, s[4:5]
	s_and_saveexec_b64 s[4:5], s[2:3]
	s_cbranch_execz .LBB17_26
; %bb.23:
	v_mul_f32_e32 v4, s23, v1
	s_and_b64 vcc, exec, s[0:1]
	v_lshl_add_u64 v[0:1], v[6:7], 2, v[2:3]
	s_cbranch_vccnz .LBB17_25
; %bb.24:
	global_load_dword v2, v[0:1], off
	s_waitcnt vmcnt(0)
	v_fmac_f32_e32 v4, s22, v2
.LBB17_25:
	global_store_dword v[0:1], v4, off
.LBB17_26:
	s_endpgm
	.section	.rodata,"a",@progbits
	.p2align	6, 0x0
	.amdhsa_kernel _ZL29rocblas_internal_gemmt_kernelIiLi16ELi32ELi8ELc67ELc67ELc76ELb0ELb0EfPKfS1_PfEviT_T9_T10_S3_lS5_S3_lS4_T11_S3_li
		.amdhsa_group_segment_fixed_size 2048
		.amdhsa_private_segment_fixed_size 0
		.amdhsa_kernarg_size 100
		.amdhsa_user_sgpr_count 2
		.amdhsa_user_sgpr_dispatch_ptr 0
		.amdhsa_user_sgpr_queue_ptr 0
		.amdhsa_user_sgpr_kernarg_segment_ptr 1
		.amdhsa_user_sgpr_dispatch_id 0
		.amdhsa_user_sgpr_kernarg_preload_length 0
		.amdhsa_user_sgpr_kernarg_preload_offset 0
		.amdhsa_user_sgpr_private_segment_size 0
		.amdhsa_uses_dynamic_stack 0
		.amdhsa_enable_private_segment 0
		.amdhsa_system_sgpr_workgroup_id_x 1
		.amdhsa_system_sgpr_workgroup_id_y 1
		.amdhsa_system_sgpr_workgroup_id_z 1
		.amdhsa_system_sgpr_workgroup_info 0
		.amdhsa_system_vgpr_workitem_id 1
		.amdhsa_next_free_vgpr 48
		.amdhsa_next_free_sgpr 26
		.amdhsa_accum_offset 48
		.amdhsa_reserve_vcc 1
		.amdhsa_float_round_mode_32 0
		.amdhsa_float_round_mode_16_64 0
		.amdhsa_float_denorm_mode_32 3
		.amdhsa_float_denorm_mode_16_64 3
		.amdhsa_dx10_clamp 1
		.amdhsa_ieee_mode 1
		.amdhsa_fp16_overflow 0
		.amdhsa_tg_split 0
		.amdhsa_exception_fp_ieee_invalid_op 0
		.amdhsa_exception_fp_denorm_src 0
		.amdhsa_exception_fp_ieee_div_zero 0
		.amdhsa_exception_fp_ieee_overflow 0
		.amdhsa_exception_fp_ieee_underflow 0
		.amdhsa_exception_fp_ieee_inexact 0
		.amdhsa_exception_int_div_zero 0
	.end_amdhsa_kernel
	.section	.text._ZL29rocblas_internal_gemmt_kernelIiLi16ELi32ELi8ELc67ELc67ELc76ELb0ELb0EfPKfS1_PfEviT_T9_T10_S3_lS5_S3_lS4_T11_S3_li,"axG",@progbits,_ZL29rocblas_internal_gemmt_kernelIiLi16ELi32ELi8ELc67ELc67ELc76ELb0ELb0EfPKfS1_PfEviT_T9_T10_S3_lS5_S3_lS4_T11_S3_li,comdat
.Lfunc_end17:
	.size	_ZL29rocblas_internal_gemmt_kernelIiLi16ELi32ELi8ELc67ELc67ELc76ELb0ELb0EfPKfS1_PfEviT_T9_T10_S3_lS5_S3_lS4_T11_S3_li, .Lfunc_end17-_ZL29rocblas_internal_gemmt_kernelIiLi16ELi32ELi8ELc67ELc67ELc76ELb0ELb0EfPKfS1_PfEviT_T9_T10_S3_lS5_S3_lS4_T11_S3_li
                                        ; -- End function
	.set _ZL29rocblas_internal_gemmt_kernelIiLi16ELi32ELi8ELc67ELc67ELc76ELb0ELb0EfPKfS1_PfEviT_T9_T10_S3_lS5_S3_lS4_T11_S3_li.num_vgpr, 48
	.set _ZL29rocblas_internal_gemmt_kernelIiLi16ELi32ELi8ELc67ELc67ELc76ELb0ELb0EfPKfS1_PfEviT_T9_T10_S3_lS5_S3_lS4_T11_S3_li.num_agpr, 0
	.set _ZL29rocblas_internal_gemmt_kernelIiLi16ELi32ELi8ELc67ELc67ELc76ELb0ELb0EfPKfS1_PfEviT_T9_T10_S3_lS5_S3_lS4_T11_S3_li.numbered_sgpr, 26
	.set _ZL29rocblas_internal_gemmt_kernelIiLi16ELi32ELi8ELc67ELc67ELc76ELb0ELb0EfPKfS1_PfEviT_T9_T10_S3_lS5_S3_lS4_T11_S3_li.num_named_barrier, 0
	.set _ZL29rocblas_internal_gemmt_kernelIiLi16ELi32ELi8ELc67ELc67ELc76ELb0ELb0EfPKfS1_PfEviT_T9_T10_S3_lS5_S3_lS4_T11_S3_li.private_seg_size, 0
	.set _ZL29rocblas_internal_gemmt_kernelIiLi16ELi32ELi8ELc67ELc67ELc76ELb0ELb0EfPKfS1_PfEviT_T9_T10_S3_lS5_S3_lS4_T11_S3_li.uses_vcc, 1
	.set _ZL29rocblas_internal_gemmt_kernelIiLi16ELi32ELi8ELc67ELc67ELc76ELb0ELb0EfPKfS1_PfEviT_T9_T10_S3_lS5_S3_lS4_T11_S3_li.uses_flat_scratch, 0
	.set _ZL29rocblas_internal_gemmt_kernelIiLi16ELi32ELi8ELc67ELc67ELc76ELb0ELb0EfPKfS1_PfEviT_T9_T10_S3_lS5_S3_lS4_T11_S3_li.has_dyn_sized_stack, 0
	.set _ZL29rocblas_internal_gemmt_kernelIiLi16ELi32ELi8ELc67ELc67ELc76ELb0ELb0EfPKfS1_PfEviT_T9_T10_S3_lS5_S3_lS4_T11_S3_li.has_recursion, 0
	.set _ZL29rocblas_internal_gemmt_kernelIiLi16ELi32ELi8ELc67ELc67ELc76ELb0ELb0EfPKfS1_PfEviT_T9_T10_S3_lS5_S3_lS4_T11_S3_li.has_indirect_call, 0
	.section	.AMDGPU.csdata,"",@progbits
; Kernel info:
; codeLenInByte = 1256
; TotalNumSgprs: 32
; NumVgprs: 48
; NumAgprs: 0
; TotalNumVgprs: 48
; ScratchSize: 0
; MemoryBound: 0
; FloatMode: 240
; IeeeMode: 1
; LDSByteSize: 2048 bytes/workgroup (compile time only)
; SGPRBlocks: 3
; VGPRBlocks: 5
; NumSGPRsForWavesPerEU: 32
; NumVGPRsForWavesPerEU: 48
; AccumOffset: 48
; Occupancy: 8
; WaveLimiterHint : 0
; COMPUTE_PGM_RSRC2:SCRATCH_EN: 0
; COMPUTE_PGM_RSRC2:USER_SGPR: 2
; COMPUTE_PGM_RSRC2:TRAP_HANDLER: 0
; COMPUTE_PGM_RSRC2:TGID_X_EN: 1
; COMPUTE_PGM_RSRC2:TGID_Y_EN: 1
; COMPUTE_PGM_RSRC2:TGID_Z_EN: 1
; COMPUTE_PGM_RSRC2:TIDIG_COMP_CNT: 1
; COMPUTE_PGM_RSRC3_GFX90A:ACCUM_OFFSET: 11
; COMPUTE_PGM_RSRC3_GFX90A:TG_SPLIT: 0
	.section	.text._ZL29rocblas_internal_gemmt_kernelIiLi16ELi32ELi8ELc78ELc78ELc85ELb0ELb0EffPKfPfEviT_T9_T10_S3_lS5_S3_lS4_T11_S3_li,"axG",@progbits,_ZL29rocblas_internal_gemmt_kernelIiLi16ELi32ELi8ELc78ELc78ELc85ELb0ELb0EffPKfPfEviT_T9_T10_S3_lS5_S3_lS4_T11_S3_li,comdat
	.globl	_ZL29rocblas_internal_gemmt_kernelIiLi16ELi32ELi8ELc78ELc78ELc85ELb0ELb0EffPKfPfEviT_T9_T10_S3_lS5_S3_lS4_T11_S3_li ; -- Begin function _ZL29rocblas_internal_gemmt_kernelIiLi16ELi32ELi8ELc78ELc78ELc85ELb0ELb0EffPKfPfEviT_T9_T10_S3_lS5_S3_lS4_T11_S3_li
	.p2align	8
	.type	_ZL29rocblas_internal_gemmt_kernelIiLi16ELi32ELi8ELc78ELc78ELc85ELb0ELb0EffPKfPfEviT_T9_T10_S3_lS5_S3_lS4_T11_S3_li,@function
_ZL29rocblas_internal_gemmt_kernelIiLi16ELi32ELi8ELc78ELc78ELc85ELb0ELb0EffPKfPfEviT_T9_T10_S3_lS5_S3_lS4_T11_S3_li: ; @_ZL29rocblas_internal_gemmt_kernelIiLi16ELi32ELi8ELc78ELc78ELc85ELb0ELb0EffPKfPfEviT_T9_T10_S3_lS5_S3_lS4_T11_S3_li
; %bb.0:
	s_load_dword s16, s[0:1], 0x40
	s_load_dwordx4 s[8:11], s[0:1], 0x0
	s_waitcnt lgkmcnt(0)
	v_cmp_neq_f32_e64 s[6:7], s16, 1.0
	s_and_b64 vcc, exec, s[6:7]
	s_cbranch_vccnz .LBB18_2
; %bb.1:
	s_cmp_lg_u32 s9, 0
	s_cselect_b64 s[6:7], -1, 0
	v_cmp_neq_f32_e64 s[12:13], s10, 0
	s_and_b64 s[6:7], s[6:7], s[12:13]
.LBB18_2:
	s_andn2_b64 vcc, exec, s[6:7]
	s_cbranch_vccnz .LBB18_26
; %bb.3:
	s_lshl_b32 s11, s2, 5
	s_lshl_b32 s17, s3, 5
	s_cmp_lt_i32 s9, 1
	v_cmp_eq_f32_e64 s[2:3], s10, 0
	s_cselect_b64 s[6:7], -1, 0
	v_mov_b32_e32 v3, 0
	s_or_b64 s[2:3], s[2:3], s[6:7]
	v_and_b32_e32 v8, 0x3ff, v0
	v_bfe_u32 v9, v0, 10, 10
	s_mov_b32 s5, 0
	s_and_b64 vcc, exec, s[2:3]
	v_mov_b32_e32 v2, v3
	v_mov_b32_e32 v1, v3
	;; [unrolled: 1-line block ×3, first 2 shown]
	s_cbranch_vccnz .LBB18_10
; %bb.4:
	s_load_dwordx2 s[6:7], s[0:1], 0x10
	s_load_dword s18, s[0:1], 0x18
	v_lshl_add_u32 v0, v9, 4, v8
	s_load_dwordx4 s[12:15], s[0:1], 0x20
	s_load_dword s24, s[0:1], 0x30
	s_load_dwordx2 s[20:21], s[0:1], 0x38
	v_lshrrev_b32_e32 v11, 5, v0
	v_and_b32_e32 v4, 31, v0
	s_waitcnt lgkmcnt(0)
	v_mad_i64_i32 v[2:3], s[22:23], v11, s18, 0
	s_mul_i32 s13, s13, s4
	s_mul_hi_u32 s22, s12, s4
	v_lshrrev_b32_e32 v1, 3, v0
	v_or_b32_e32 v0, s11, v4
	s_add_i32 s13, s22, s13
	s_mul_i32 s12, s12, s4
	v_cmp_gt_i32_e32 vcc, s8, v0
	v_lshlrev_b32_e32 v0, 2, v4
	s_lshl_b64 s[12:13], s[12:13], 2
	v_add_u32_e32 v4, s11, v4
	v_lshl_add_u64 v[2:3], v[2:3], 2, s[12:13]
	v_ashrrev_i32_e32 v5, 31, v4
	v_add_u32_e32 v6, s17, v1
	v_lshl_add_u64 v[2:3], v[4:5], 2, v[2:3]
	v_and_b32_e32 v10, 7, v8
	v_lshl_add_u64 v[4:5], s[6:7], 0, v[2:3]
	v_mad_i64_i32 v[2:3], s[6:7], s24, v6, 0
	v_lshl_or_b32 v12, v11, 7, v0
	v_lshlrev_b32_e32 v0, 2, v10
	s_mul_i32 s6, s21, s4
	s_mul_hi_u32 s7, s20, s4
	v_lshl_or_b32 v1, v1, 5, v0
	s_add_i32 s7, s7, s6
	s_mul_i32 s6, s20, s4
	v_add_u32_e32 v13, 0x400, v1
	v_mov_b32_e32 v1, 0x400
	s_lshl_b64 s[6:7], s[6:7], 2
	v_lshl_add_u32 v15, v9, 5, v1
	v_lshl_add_u64 v[2:3], v[2:3], 2, s[6:7]
	v_mov_b32_e32 v1, 0
	s_ashr_i32 s19, s18, 31
	v_lshl_add_u64 v[2:3], v[2:3], 0, v[0:1]
	v_cmp_gt_i32_e64 s[2:3], s8, v6
	v_lshlrev_b32_e32 v14, 2, v8
	s_lshl_b64 s[12:13], s[18:19], 5
	v_lshl_add_u64 v[6:7], s[14:15], 0, v[2:3]
	v_mov_b32_e32 v0, v1
	v_mov_b32_e32 v2, v1
	;; [unrolled: 1-line block ×3, first 2 shown]
	s_branch .LBB18_6
.LBB18_5:                               ;   in Loop: Header=BB18_6 Depth=1
	s_or_b64 exec, exec, s[6:7]
	s_waitcnt vmcnt(0)
	ds_write_b32 v13, v16
	s_waitcnt lgkmcnt(0)
	s_barrier
	ds_read_b128 v[16:19], v15
	ds_read_b128 v[20:23], v15 offset:16
	ds_read2_b32 v[32:33], v14 offset1:16
	ds_read2_b32 v[34:35], v14 offset0:32 offset1:48
	ds_read2_b32 v[36:37], v14 offset0:64 offset1:80
	;; [unrolled: 1-line block ×4, first 2 shown]
	ds_read_b128 v[24:27], v15 offset:512
	ds_read_b128 v[28:31], v15 offset:528
	ds_read2_b32 v[42:43], v14 offset0:160 offset1:176
	ds_read2_b32 v[44:45], v14 offset0:192 offset1:208
	;; [unrolled: 1-line block ×3, first 2 shown]
	s_waitcnt lgkmcnt(9)
	v_pk_fma_f32 v[2:3], v[32:33], v[16:17], v[2:3] op_sel_hi:[1,0,1]
	s_waitcnt lgkmcnt(4)
	v_pk_fma_f32 v[0:1], v[32:33], v[24:25], v[0:1] op_sel_hi:[1,0,1]
	v_pk_fma_f32 v[2:3], v[34:35], v[16:17], v[2:3] op_sel:[0,1,0]
	v_mov_b32_e32 v16, v19
	v_pk_fma_f32 v[2:3], v[36:37], v[18:19], v[2:3] op_sel_hi:[1,0,1]
	v_pk_fma_f32 v[0:1], v[34:35], v[24:25], v[0:1] op_sel:[0,1,0]
	v_pk_fma_f32 v[2:3], v[38:39], v[16:17], v[2:3] op_sel_hi:[1,0,1]
	v_mov_b32_e32 v16, v23
	v_pk_fma_f32 v[2:3], v[40:41], v[20:21], v[2:3] op_sel_hi:[1,0,1]
	v_pk_fma_f32 v[0:1], v[36:37], v[26:27], v[0:1] op_sel_hi:[1,0,1]
	s_waitcnt lgkmcnt(2)
	v_pk_fma_f32 v[2:3], v[42:43], v[20:21], v[2:3] op_sel:[0,1,0]
	s_add_i32 s5, s5, 8
	s_waitcnt lgkmcnt(1)
	v_pk_fma_f32 v[2:3], v[44:45], v[22:23], v[2:3] op_sel_hi:[1,0,1]
	v_lshl_add_u64 v[4:5], v[4:5], 0, s[12:13]
	s_waitcnt lgkmcnt(0)
	v_pk_fma_f32 v[2:3], v[46:47], v[16:17], v[2:3] op_sel_hi:[1,0,1]
	v_mov_b32_e32 v16, v27
	v_pk_fma_f32 v[0:1], v[38:39], v[16:17], v[0:1] op_sel_hi:[1,0,1]
	v_mov_b32_e32 v16, v31
	v_pk_fma_f32 v[0:1], v[40:41], v[28:29], v[0:1] op_sel_hi:[1,0,1]
	s_cmp_lt_i32 s5, s9
	v_pk_fma_f32 v[0:1], v[42:43], v[28:29], v[0:1] op_sel:[0,1,0]
	v_lshl_add_u64 v[6:7], v[6:7], 0, 32
	v_pk_fma_f32 v[0:1], v[44:45], v[30:31], v[0:1] op_sel_hi:[1,0,1]
	s_nop 0
	v_pk_fma_f32 v[0:1], v[46:47], v[16:17], v[0:1] op_sel_hi:[1,0,1]
	s_barrier
	s_cbranch_scc0 .LBB18_10
.LBB18_6:                               ; =>This Inner Loop Header: Depth=1
	v_add_u32_e32 v16, s5, v11
	v_cmp_gt_i32_e64 s[6:7], s9, v16
	s_and_b64 s[14:15], vcc, s[6:7]
	v_mov_b32_e32 v16, 0
	s_and_saveexec_b64 s[6:7], s[14:15]
	s_cbranch_execz .LBB18_8
; %bb.7:                                ;   in Loop: Header=BB18_6 Depth=1
	global_load_dword v16, v[4:5], off
.LBB18_8:                               ;   in Loop: Header=BB18_6 Depth=1
	s_or_b64 exec, exec, s[6:7]
	s_waitcnt vmcnt(0)
	ds_write_b32 v12, v16
	v_add_u32_e32 v16, s5, v10
	v_cmp_gt_i32_e64 s[6:7], s9, v16
	s_and_b64 s[14:15], s[6:7], s[2:3]
	v_mov_b32_e32 v16, 0
	s_and_saveexec_b64 s[6:7], s[14:15]
	s_cbranch_execz .LBB18_5
; %bb.9:                                ;   in Loop: Header=BB18_6 Depth=1
	global_load_dword v16, v[6:7], off
	s_branch .LBB18_5
.LBB18_10:
	s_load_dwordx2 s[2:3], s[0:1], 0x58
	s_load_dwordx2 s[6:7], s[0:1], 0x48
	s_load_dword s9, s[0:1], 0x50
	v_add_u32_e32 v10, s17, v9
	v_add_u32_e32 v4, s11, v8
	s_waitcnt lgkmcnt(0)
	s_mul_i32 s1, s3, s4
	s_mul_hi_u32 s3, s2, s4
	s_mul_i32 s0, s2, s4
	s_add_i32 s1, s3, s1
	s_lshl_b64 s[0:1], s[0:1], 2
	s_add_u32 s4, s6, s0
	s_addc_u32 s5, s7, s1
	v_mad_i64_i32 v[6:7], s[0:1], v10, s9, 0
	v_cmp_neq_f32_e64 s[0:1], s16, 0
	v_cmp_gt_i32_e64 s[2:3], s8, v10
	v_lshl_add_u64 v[8:9], v[6:7], 2, s[4:5]
	v_cmp_le_i32_e32 vcc, v4, v10
	v_cndmask_b32_e64 v6, 0, 1, s[0:1]
	s_and_b64 s[12:13], s[2:3], vcc
	v_ashrrev_i32_e32 v5, 31, v4
	v_cmp_ne_u32_e64 s[0:1], 1, v6
	s_and_saveexec_b64 s[6:7], s[12:13]
	s_cbranch_execz .LBB18_14
; %bb.11:
	v_mul_f32_e32 v2, s10, v2
	s_and_b64 vcc, exec, s[0:1]
	v_lshl_add_u64 v[6:7], v[4:5], 2, v[8:9]
	s_cbranch_vccnz .LBB18_13
; %bb.12:
	global_load_dword v11, v[6:7], off
	s_waitcnt vmcnt(0)
	v_fmac_f32_e32 v2, s16, v11
.LBB18_13:
	global_store_dword v[6:7], v2, off
.LBB18_14:
	s_or_b64 exec, exec, s[6:7]
	v_add_u32_e32 v6, 16, v4
	v_cmp_le_i32_e32 vcc, v6, v10
	s_and_b64 s[6:7], s[2:3], vcc
	v_ashrrev_i32_e32 v7, 31, v6
	s_and_saveexec_b64 s[2:3], s[6:7]
	s_cbranch_execz .LBB18_18
; %bb.15:
	v_mul_f32_e32 v11, s10, v3
	s_and_b64 vcc, exec, s[0:1]
	v_lshl_add_u64 v[2:3], v[6:7], 2, v[8:9]
	s_cbranch_vccnz .LBB18_17
; %bb.16:
	global_load_dword v8, v[2:3], off
	s_waitcnt vmcnt(0)
	v_fmac_f32_e32 v11, s16, v8
.LBB18_17:
	global_store_dword v[2:3], v11, off
.LBB18_18:
	s_or_b64 exec, exec, s[2:3]
	v_add_u32_e32 v8, 16, v10
	v_cmp_gt_i32_e64 s[2:3], s8, v8
	v_mad_i64_i32 v[2:3], s[6:7], v8, s9, 0
	v_cmp_le_i32_e32 vcc, v4, v8
	v_lshl_add_u64 v[2:3], v[2:3], 2, s[4:5]
	s_and_b64 s[6:7], s[2:3], vcc
	s_and_saveexec_b64 s[4:5], s[6:7]
	s_cbranch_execz .LBB18_22
; %bb.19:
	v_mul_f32_e32 v0, s10, v0
	s_and_b64 vcc, exec, s[0:1]
	v_lshl_add_u64 v[4:5], v[4:5], 2, v[2:3]
	s_cbranch_vccnz .LBB18_21
; %bb.20:
	global_load_dword v9, v[4:5], off
	s_waitcnt vmcnt(0)
	v_fmac_f32_e32 v0, s16, v9
.LBB18_21:
	global_store_dword v[4:5], v0, off
.LBB18_22:
	s_or_b64 exec, exec, s[4:5]
	v_cmp_le_i32_e32 vcc, v6, v8
	s_and_b64 s[2:3], s[2:3], vcc
	s_and_saveexec_b64 s[4:5], s[2:3]
	s_cbranch_execz .LBB18_26
; %bb.23:
	v_mul_f32_e32 v4, s10, v1
	s_and_b64 vcc, exec, s[0:1]
	v_lshl_add_u64 v[0:1], v[6:7], 2, v[2:3]
	s_cbranch_vccnz .LBB18_25
; %bb.24:
	global_load_dword v2, v[0:1], off
	s_waitcnt vmcnt(0)
	v_fmac_f32_e32 v4, s16, v2
.LBB18_25:
	global_store_dword v[0:1], v4, off
.LBB18_26:
	s_endpgm
	.section	.rodata,"a",@progbits
	.p2align	6, 0x0
	.amdhsa_kernel _ZL29rocblas_internal_gemmt_kernelIiLi16ELi32ELi8ELc78ELc78ELc85ELb0ELb0EffPKfPfEviT_T9_T10_S3_lS5_S3_lS4_T11_S3_li
		.amdhsa_group_segment_fixed_size 2048
		.amdhsa_private_segment_fixed_size 0
		.amdhsa_kernarg_size 100
		.amdhsa_user_sgpr_count 2
		.amdhsa_user_sgpr_dispatch_ptr 0
		.amdhsa_user_sgpr_queue_ptr 0
		.amdhsa_user_sgpr_kernarg_segment_ptr 1
		.amdhsa_user_sgpr_dispatch_id 0
		.amdhsa_user_sgpr_kernarg_preload_length 0
		.amdhsa_user_sgpr_kernarg_preload_offset 0
		.amdhsa_user_sgpr_private_segment_size 0
		.amdhsa_uses_dynamic_stack 0
		.amdhsa_enable_private_segment 0
		.amdhsa_system_sgpr_workgroup_id_x 1
		.amdhsa_system_sgpr_workgroup_id_y 1
		.amdhsa_system_sgpr_workgroup_id_z 1
		.amdhsa_system_sgpr_workgroup_info 0
		.amdhsa_system_vgpr_workitem_id 1
		.amdhsa_next_free_vgpr 48
		.amdhsa_next_free_sgpr 25
		.amdhsa_accum_offset 48
		.amdhsa_reserve_vcc 1
		.amdhsa_float_round_mode_32 0
		.amdhsa_float_round_mode_16_64 0
		.amdhsa_float_denorm_mode_32 3
		.amdhsa_float_denorm_mode_16_64 3
		.amdhsa_dx10_clamp 1
		.amdhsa_ieee_mode 1
		.amdhsa_fp16_overflow 0
		.amdhsa_tg_split 0
		.amdhsa_exception_fp_ieee_invalid_op 0
		.amdhsa_exception_fp_denorm_src 0
		.amdhsa_exception_fp_ieee_div_zero 0
		.amdhsa_exception_fp_ieee_overflow 0
		.amdhsa_exception_fp_ieee_underflow 0
		.amdhsa_exception_fp_ieee_inexact 0
		.amdhsa_exception_int_div_zero 0
	.end_amdhsa_kernel
	.section	.text._ZL29rocblas_internal_gemmt_kernelIiLi16ELi32ELi8ELc78ELc78ELc85ELb0ELb0EffPKfPfEviT_T9_T10_S3_lS5_S3_lS4_T11_S3_li,"axG",@progbits,_ZL29rocblas_internal_gemmt_kernelIiLi16ELi32ELi8ELc78ELc78ELc85ELb0ELb0EffPKfPfEviT_T9_T10_S3_lS5_S3_lS4_T11_S3_li,comdat
.Lfunc_end18:
	.size	_ZL29rocblas_internal_gemmt_kernelIiLi16ELi32ELi8ELc78ELc78ELc85ELb0ELb0EffPKfPfEviT_T9_T10_S3_lS5_S3_lS4_T11_S3_li, .Lfunc_end18-_ZL29rocblas_internal_gemmt_kernelIiLi16ELi32ELi8ELc78ELc78ELc85ELb0ELb0EffPKfPfEviT_T9_T10_S3_lS5_S3_lS4_T11_S3_li
                                        ; -- End function
	.set _ZL29rocblas_internal_gemmt_kernelIiLi16ELi32ELi8ELc78ELc78ELc85ELb0ELb0EffPKfPfEviT_T9_T10_S3_lS5_S3_lS4_T11_S3_li.num_vgpr, 48
	.set _ZL29rocblas_internal_gemmt_kernelIiLi16ELi32ELi8ELc78ELc78ELc85ELb0ELb0EffPKfPfEviT_T9_T10_S3_lS5_S3_lS4_T11_S3_li.num_agpr, 0
	.set _ZL29rocblas_internal_gemmt_kernelIiLi16ELi32ELi8ELc78ELc78ELc85ELb0ELb0EffPKfPfEviT_T9_T10_S3_lS5_S3_lS4_T11_S3_li.numbered_sgpr, 25
	.set _ZL29rocblas_internal_gemmt_kernelIiLi16ELi32ELi8ELc78ELc78ELc85ELb0ELb0EffPKfPfEviT_T9_T10_S3_lS5_S3_lS4_T11_S3_li.num_named_barrier, 0
	.set _ZL29rocblas_internal_gemmt_kernelIiLi16ELi32ELi8ELc78ELc78ELc85ELb0ELb0EffPKfPfEviT_T9_T10_S3_lS5_S3_lS4_T11_S3_li.private_seg_size, 0
	.set _ZL29rocblas_internal_gemmt_kernelIiLi16ELi32ELi8ELc78ELc78ELc85ELb0ELb0EffPKfPfEviT_T9_T10_S3_lS5_S3_lS4_T11_S3_li.uses_vcc, 1
	.set _ZL29rocblas_internal_gemmt_kernelIiLi16ELi32ELi8ELc78ELc78ELc85ELb0ELb0EffPKfPfEviT_T9_T10_S3_lS5_S3_lS4_T11_S3_li.uses_flat_scratch, 0
	.set _ZL29rocblas_internal_gemmt_kernelIiLi16ELi32ELi8ELc78ELc78ELc85ELb0ELb0EffPKfPfEviT_T9_T10_S3_lS5_S3_lS4_T11_S3_li.has_dyn_sized_stack, 0
	.set _ZL29rocblas_internal_gemmt_kernelIiLi16ELi32ELi8ELc78ELc78ELc85ELb0ELb0EffPKfPfEviT_T9_T10_S3_lS5_S3_lS4_T11_S3_li.has_recursion, 0
	.set _ZL29rocblas_internal_gemmt_kernelIiLi16ELi32ELi8ELc78ELc78ELc85ELb0ELb0EffPKfPfEviT_T9_T10_S3_lS5_S3_lS4_T11_S3_li.has_indirect_call, 0
	.section	.AMDGPU.csdata,"",@progbits
; Kernel info:
; codeLenInByte = 1236
; TotalNumSgprs: 31
; NumVgprs: 48
; NumAgprs: 0
; TotalNumVgprs: 48
; ScratchSize: 0
; MemoryBound: 0
; FloatMode: 240
; IeeeMode: 1
; LDSByteSize: 2048 bytes/workgroup (compile time only)
; SGPRBlocks: 3
; VGPRBlocks: 5
; NumSGPRsForWavesPerEU: 31
; NumVGPRsForWavesPerEU: 48
; AccumOffset: 48
; Occupancy: 8
; WaveLimiterHint : 0
; COMPUTE_PGM_RSRC2:SCRATCH_EN: 0
; COMPUTE_PGM_RSRC2:USER_SGPR: 2
; COMPUTE_PGM_RSRC2:TRAP_HANDLER: 0
; COMPUTE_PGM_RSRC2:TGID_X_EN: 1
; COMPUTE_PGM_RSRC2:TGID_Y_EN: 1
; COMPUTE_PGM_RSRC2:TGID_Z_EN: 1
; COMPUTE_PGM_RSRC2:TIDIG_COMP_CNT: 1
; COMPUTE_PGM_RSRC3_GFX90A:ACCUM_OFFSET: 11
; COMPUTE_PGM_RSRC3_GFX90A:TG_SPLIT: 0
	.section	.text._ZL29rocblas_internal_gemmt_kernelIiLi16ELi32ELi8ELc78ELc84ELc85ELb0ELb0EffPKfPfEviT_T9_T10_S3_lS5_S3_lS4_T11_S3_li,"axG",@progbits,_ZL29rocblas_internal_gemmt_kernelIiLi16ELi32ELi8ELc78ELc84ELc85ELb0ELb0EffPKfPfEviT_T9_T10_S3_lS5_S3_lS4_T11_S3_li,comdat
	.globl	_ZL29rocblas_internal_gemmt_kernelIiLi16ELi32ELi8ELc78ELc84ELc85ELb0ELb0EffPKfPfEviT_T9_T10_S3_lS5_S3_lS4_T11_S3_li ; -- Begin function _ZL29rocblas_internal_gemmt_kernelIiLi16ELi32ELi8ELc78ELc84ELc85ELb0ELb0EffPKfPfEviT_T9_T10_S3_lS5_S3_lS4_T11_S3_li
	.p2align	8
	.type	_ZL29rocblas_internal_gemmt_kernelIiLi16ELi32ELi8ELc78ELc84ELc85ELb0ELb0EffPKfPfEviT_T9_T10_S3_lS5_S3_lS4_T11_S3_li,@function
_ZL29rocblas_internal_gemmt_kernelIiLi16ELi32ELi8ELc78ELc84ELc85ELb0ELb0EffPKfPfEviT_T9_T10_S3_lS5_S3_lS4_T11_S3_li: ; @_ZL29rocblas_internal_gemmt_kernelIiLi16ELi32ELi8ELc78ELc84ELc85ELb0ELb0EffPKfPfEviT_T9_T10_S3_lS5_S3_lS4_T11_S3_li
; %bb.0:
	s_load_dword s16, s[0:1], 0x40
	s_load_dwordx4 s[8:11], s[0:1], 0x0
	s_waitcnt lgkmcnt(0)
	v_cmp_neq_f32_e64 s[6:7], s16, 1.0
	s_and_b64 vcc, exec, s[6:7]
	s_cbranch_vccnz .LBB19_2
; %bb.1:
	s_cmp_lg_u32 s9, 0
	s_cselect_b64 s[6:7], -1, 0
	v_cmp_neq_f32_e64 s[12:13], s10, 0
	s_and_b64 s[6:7], s[6:7], s[12:13]
.LBB19_2:
	s_andn2_b64 vcc, exec, s[6:7]
	s_cbranch_vccnz .LBB19_26
; %bb.3:
	s_lshl_b32 s11, s2, 5
	s_lshl_b32 s17, s3, 5
	s_cmp_lt_i32 s9, 1
	v_cmp_eq_f32_e64 s[2:3], s10, 0
	s_cselect_b64 s[6:7], -1, 0
	v_mov_b32_e32 v3, 0
	s_or_b64 s[2:3], s[2:3], s[6:7]
	v_and_b32_e32 v8, 0x3ff, v0
	v_bfe_u32 v9, v0, 10, 10
	s_mov_b32 s5, 0
	s_and_b64 vcc, exec, s[2:3]
	v_mov_b32_e32 v2, v3
	v_mov_b32_e32 v1, v3
	;; [unrolled: 1-line block ×3, first 2 shown]
	s_cbranch_vccnz .LBB19_10
; %bb.4:
	v_lshl_add_u32 v1, v9, 4, v8
	v_and_b32_e32 v4, 31, v1
	v_lshrrev_b32_e32 v11, 5, v1
	v_lshrrev_b32_e32 v2, 3, v1
	v_or_b32_e32 v1, s11, v4
	s_load_dwordx2 s[6:7], s[0:1], 0x10
	s_load_dword s18, s[0:1], 0x18
	s_load_dwordx4 s[12:15], s[0:1], 0x20
	s_load_dword s20, s[0:1], 0x30
	v_and_b32_e32 v10, 7, v8
	v_cmp_gt_i32_e32 vcc, s8, v1
	v_lshlrev_b32_e32 v1, 2, v4
	v_lshl_or_b32 v12, v11, 7, v1
	v_lshlrev_b32_e32 v1, 2, v10
	v_add_u32_e32 v0, s17, v2
	v_lshl_or_b32 v1, v2, 5, v1
	v_mov_b32_e32 v2, 0x400
	v_lshl_add_u32 v15, v9, 5, v2
	s_waitcnt lgkmcnt(0)
	v_mad_i64_i32 v[2:3], s[24:25], v11, s18, 0
	s_load_dwordx2 s[22:23], s[0:1], 0x38
	s_mul_i32 s13, s13, s4
	s_mul_hi_u32 s24, s12, s4
	s_add_i32 s13, s24, s13
	s_mul_i32 s12, s12, s4
	s_lshl_b64 s[12:13], s[12:13], 2
	v_add_u32_e32 v4, s11, v4
	v_lshl_add_u64 v[2:3], v[2:3], 2, s[12:13]
	v_ashrrev_i32_e32 v5, 31, v4
	s_ashr_i32 s19, s18, 31
	v_lshl_add_u64 v[2:3], v[4:5], 2, v[2:3]
	v_lshl_add_u64 v[4:5], s[6:7], 0, v[2:3]
	s_lshl_b64 s[12:13], s[18:19], 5
	s_waitcnt lgkmcnt(0)
	s_mul_i32 s6, s23, s4
	s_mul_hi_u32 s7, s22, s4
	v_mad_i64_i32 v[2:3], s[18:19], s20, v10, 0
	s_add_i32 s7, s7, s6
	s_mul_i32 s6, s22, s4
	v_lshlrev_b64 v[2:3], 2, v[2:3]
	v_add_u32_e32 v13, 0x400, v1
	v_ashrrev_i32_e32 v1, 31, v0
	v_lshl_add_u64 v[2:3], s[6:7], 2, v[2:3]
	v_cmp_gt_i32_e64 s[2:3], s8, v0
	v_lshl_add_u64 v[0:1], v[0:1], 2, v[2:3]
	s_ashr_i32 s21, s20, 31
	v_lshl_add_u64 v[6:7], s[14:15], 0, v[0:1]
	v_mov_b32_e32 v0, 0
	v_lshlrev_b32_e32 v14, 2, v8
	s_lshl_b64 s[14:15], s[20:21], 5
	v_mov_b32_e32 v1, v0
	v_mov_b32_e32 v2, v0
	v_mov_b32_e32 v3, v0
	s_branch .LBB19_6
.LBB19_5:                               ;   in Loop: Header=BB19_6 Depth=1
	s_or_b64 exec, exec, s[6:7]
	s_waitcnt vmcnt(0)
	ds_write_b32 v13, v16
	s_waitcnt lgkmcnt(0)
	s_barrier
	ds_read_b128 v[16:19], v15
	ds_read_b128 v[20:23], v15 offset:16
	ds_read2_b32 v[32:33], v14 offset1:16
	ds_read2_b32 v[34:35], v14 offset0:32 offset1:48
	ds_read2_b32 v[36:37], v14 offset0:64 offset1:80
	;; [unrolled: 1-line block ×4, first 2 shown]
	ds_read_b128 v[24:27], v15 offset:512
	ds_read_b128 v[28:31], v15 offset:528
	ds_read2_b32 v[42:43], v14 offset0:160 offset1:176
	ds_read2_b32 v[44:45], v14 offset0:192 offset1:208
	;; [unrolled: 1-line block ×3, first 2 shown]
	s_waitcnt lgkmcnt(9)
	v_pk_fma_f32 v[2:3], v[32:33], v[16:17], v[2:3] op_sel_hi:[1,0,1]
	s_waitcnt lgkmcnt(4)
	v_pk_fma_f32 v[0:1], v[32:33], v[24:25], v[0:1] op_sel_hi:[1,0,1]
	v_pk_fma_f32 v[2:3], v[34:35], v[16:17], v[2:3] op_sel:[0,1,0]
	v_mov_b32_e32 v16, v19
	v_pk_fma_f32 v[2:3], v[36:37], v[18:19], v[2:3] op_sel_hi:[1,0,1]
	v_pk_fma_f32 v[0:1], v[34:35], v[24:25], v[0:1] op_sel:[0,1,0]
	v_pk_fma_f32 v[2:3], v[38:39], v[16:17], v[2:3] op_sel_hi:[1,0,1]
	v_mov_b32_e32 v16, v23
	v_pk_fma_f32 v[2:3], v[40:41], v[20:21], v[2:3] op_sel_hi:[1,0,1]
	v_pk_fma_f32 v[0:1], v[36:37], v[26:27], v[0:1] op_sel_hi:[1,0,1]
	s_waitcnt lgkmcnt(2)
	v_pk_fma_f32 v[2:3], v[42:43], v[20:21], v[2:3] op_sel:[0,1,0]
	s_add_i32 s5, s5, 8
	s_waitcnt lgkmcnt(1)
	v_pk_fma_f32 v[2:3], v[44:45], v[22:23], v[2:3] op_sel_hi:[1,0,1]
	v_lshl_add_u64 v[4:5], v[4:5], 0, s[12:13]
	s_waitcnt lgkmcnt(0)
	v_pk_fma_f32 v[2:3], v[46:47], v[16:17], v[2:3] op_sel_hi:[1,0,1]
	v_mov_b32_e32 v16, v27
	v_pk_fma_f32 v[0:1], v[38:39], v[16:17], v[0:1] op_sel_hi:[1,0,1]
	v_mov_b32_e32 v16, v31
	v_pk_fma_f32 v[0:1], v[40:41], v[28:29], v[0:1] op_sel_hi:[1,0,1]
	s_cmp_lt_i32 s5, s9
	v_pk_fma_f32 v[0:1], v[42:43], v[28:29], v[0:1] op_sel:[0,1,0]
	v_lshl_add_u64 v[6:7], v[6:7], 0, s[14:15]
	v_pk_fma_f32 v[0:1], v[44:45], v[30:31], v[0:1] op_sel_hi:[1,0,1]
	s_nop 0
	v_pk_fma_f32 v[0:1], v[46:47], v[16:17], v[0:1] op_sel_hi:[1,0,1]
	s_barrier
	s_cbranch_scc0 .LBB19_10
.LBB19_6:                               ; =>This Inner Loop Header: Depth=1
	v_add_u32_e32 v16, s5, v11
	v_cmp_gt_i32_e64 s[6:7], s9, v16
	s_and_b64 s[18:19], vcc, s[6:7]
	v_mov_b32_e32 v16, 0
	s_and_saveexec_b64 s[6:7], s[18:19]
	s_cbranch_execz .LBB19_8
; %bb.7:                                ;   in Loop: Header=BB19_6 Depth=1
	global_load_dword v16, v[4:5], off
.LBB19_8:                               ;   in Loop: Header=BB19_6 Depth=1
	s_or_b64 exec, exec, s[6:7]
	s_waitcnt vmcnt(0)
	ds_write_b32 v12, v16
	v_add_u32_e32 v16, s5, v10
	v_cmp_gt_i32_e64 s[6:7], s9, v16
	s_and_b64 s[18:19], s[6:7], s[2:3]
	v_mov_b32_e32 v16, 0
	s_and_saveexec_b64 s[6:7], s[18:19]
	s_cbranch_execz .LBB19_5
; %bb.9:                                ;   in Loop: Header=BB19_6 Depth=1
	global_load_dword v16, v[6:7], off
	s_branch .LBB19_5
.LBB19_10:
	s_load_dwordx2 s[2:3], s[0:1], 0x58
	s_load_dwordx2 s[6:7], s[0:1], 0x48
	s_load_dword s9, s[0:1], 0x50
	v_add_u32_e32 v10, s17, v9
	v_add_u32_e32 v4, s11, v8
	s_waitcnt lgkmcnt(0)
	s_mul_i32 s1, s3, s4
	s_mul_hi_u32 s3, s2, s4
	s_mul_i32 s0, s2, s4
	s_add_i32 s1, s3, s1
	s_lshl_b64 s[0:1], s[0:1], 2
	s_add_u32 s4, s6, s0
	s_addc_u32 s5, s7, s1
	v_mad_i64_i32 v[6:7], s[0:1], v10, s9, 0
	v_cmp_neq_f32_e64 s[0:1], s16, 0
	v_cmp_gt_i32_e64 s[2:3], s8, v10
	v_lshl_add_u64 v[8:9], v[6:7], 2, s[4:5]
	v_cmp_le_i32_e32 vcc, v4, v10
	v_cndmask_b32_e64 v6, 0, 1, s[0:1]
	s_and_b64 s[12:13], s[2:3], vcc
	v_ashrrev_i32_e32 v5, 31, v4
	v_cmp_ne_u32_e64 s[0:1], 1, v6
	s_and_saveexec_b64 s[6:7], s[12:13]
	s_cbranch_execz .LBB19_14
; %bb.11:
	v_mul_f32_e32 v2, s10, v2
	s_and_b64 vcc, exec, s[0:1]
	v_lshl_add_u64 v[6:7], v[4:5], 2, v[8:9]
	s_cbranch_vccnz .LBB19_13
; %bb.12:
	global_load_dword v11, v[6:7], off
	s_waitcnt vmcnt(0)
	v_fmac_f32_e32 v2, s16, v11
.LBB19_13:
	global_store_dword v[6:7], v2, off
.LBB19_14:
	s_or_b64 exec, exec, s[6:7]
	v_add_u32_e32 v6, 16, v4
	v_cmp_le_i32_e32 vcc, v6, v10
	s_and_b64 s[6:7], s[2:3], vcc
	v_ashrrev_i32_e32 v7, 31, v6
	s_and_saveexec_b64 s[2:3], s[6:7]
	s_cbranch_execz .LBB19_18
; %bb.15:
	v_mul_f32_e32 v11, s10, v3
	s_and_b64 vcc, exec, s[0:1]
	v_lshl_add_u64 v[2:3], v[6:7], 2, v[8:9]
	s_cbranch_vccnz .LBB19_17
; %bb.16:
	global_load_dword v8, v[2:3], off
	s_waitcnt vmcnt(0)
	v_fmac_f32_e32 v11, s16, v8
.LBB19_17:
	global_store_dword v[2:3], v11, off
.LBB19_18:
	s_or_b64 exec, exec, s[2:3]
	v_add_u32_e32 v8, 16, v10
	v_cmp_gt_i32_e64 s[2:3], s8, v8
	v_mad_i64_i32 v[2:3], s[6:7], v8, s9, 0
	v_cmp_le_i32_e32 vcc, v4, v8
	v_lshl_add_u64 v[2:3], v[2:3], 2, s[4:5]
	s_and_b64 s[6:7], s[2:3], vcc
	s_and_saveexec_b64 s[4:5], s[6:7]
	s_cbranch_execz .LBB19_22
; %bb.19:
	v_mul_f32_e32 v0, s10, v0
	s_and_b64 vcc, exec, s[0:1]
	v_lshl_add_u64 v[4:5], v[4:5], 2, v[2:3]
	s_cbranch_vccnz .LBB19_21
; %bb.20:
	global_load_dword v9, v[4:5], off
	s_waitcnt vmcnt(0)
	v_fmac_f32_e32 v0, s16, v9
.LBB19_21:
	global_store_dword v[4:5], v0, off
.LBB19_22:
	s_or_b64 exec, exec, s[4:5]
	v_cmp_le_i32_e32 vcc, v6, v8
	s_and_b64 s[2:3], s[2:3], vcc
	s_and_saveexec_b64 s[4:5], s[2:3]
	s_cbranch_execz .LBB19_26
; %bb.23:
	v_mul_f32_e32 v4, s10, v1
	s_and_b64 vcc, exec, s[0:1]
	v_lshl_add_u64 v[0:1], v[6:7], 2, v[2:3]
	s_cbranch_vccnz .LBB19_25
; %bb.24:
	global_load_dword v2, v[0:1], off
	s_waitcnt vmcnt(0)
	v_fmac_f32_e32 v4, s16, v2
.LBB19_25:
	global_store_dword v[0:1], v4, off
.LBB19_26:
	s_endpgm
	.section	.rodata,"a",@progbits
	.p2align	6, 0x0
	.amdhsa_kernel _ZL29rocblas_internal_gemmt_kernelIiLi16ELi32ELi8ELc78ELc84ELc85ELb0ELb0EffPKfPfEviT_T9_T10_S3_lS5_S3_lS4_T11_S3_li
		.amdhsa_group_segment_fixed_size 2048
		.amdhsa_private_segment_fixed_size 0
		.amdhsa_kernarg_size 100
		.amdhsa_user_sgpr_count 2
		.amdhsa_user_sgpr_dispatch_ptr 0
		.amdhsa_user_sgpr_queue_ptr 0
		.amdhsa_user_sgpr_kernarg_segment_ptr 1
		.amdhsa_user_sgpr_dispatch_id 0
		.amdhsa_user_sgpr_kernarg_preload_length 0
		.amdhsa_user_sgpr_kernarg_preload_offset 0
		.amdhsa_user_sgpr_private_segment_size 0
		.amdhsa_uses_dynamic_stack 0
		.amdhsa_enable_private_segment 0
		.amdhsa_system_sgpr_workgroup_id_x 1
		.amdhsa_system_sgpr_workgroup_id_y 1
		.amdhsa_system_sgpr_workgroup_id_z 1
		.amdhsa_system_sgpr_workgroup_info 0
		.amdhsa_system_vgpr_workitem_id 1
		.amdhsa_next_free_vgpr 48
		.amdhsa_next_free_sgpr 26
		.amdhsa_accum_offset 48
		.amdhsa_reserve_vcc 1
		.amdhsa_float_round_mode_32 0
		.amdhsa_float_round_mode_16_64 0
		.amdhsa_float_denorm_mode_32 3
		.amdhsa_float_denorm_mode_16_64 3
		.amdhsa_dx10_clamp 1
		.amdhsa_ieee_mode 1
		.amdhsa_fp16_overflow 0
		.amdhsa_tg_split 0
		.amdhsa_exception_fp_ieee_invalid_op 0
		.amdhsa_exception_fp_denorm_src 0
		.amdhsa_exception_fp_ieee_div_zero 0
		.amdhsa_exception_fp_ieee_overflow 0
		.amdhsa_exception_fp_ieee_underflow 0
		.amdhsa_exception_fp_ieee_inexact 0
		.amdhsa_exception_int_div_zero 0
	.end_amdhsa_kernel
	.section	.text._ZL29rocblas_internal_gemmt_kernelIiLi16ELi32ELi8ELc78ELc84ELc85ELb0ELb0EffPKfPfEviT_T9_T10_S3_lS5_S3_lS4_T11_S3_li,"axG",@progbits,_ZL29rocblas_internal_gemmt_kernelIiLi16ELi32ELi8ELc78ELc84ELc85ELb0ELb0EffPKfPfEviT_T9_T10_S3_lS5_S3_lS4_T11_S3_li,comdat
.Lfunc_end19:
	.size	_ZL29rocblas_internal_gemmt_kernelIiLi16ELi32ELi8ELc78ELc84ELc85ELb0ELb0EffPKfPfEviT_T9_T10_S3_lS5_S3_lS4_T11_S3_li, .Lfunc_end19-_ZL29rocblas_internal_gemmt_kernelIiLi16ELi32ELi8ELc78ELc84ELc85ELb0ELb0EffPKfPfEviT_T9_T10_S3_lS5_S3_lS4_T11_S3_li
                                        ; -- End function
	.set _ZL29rocblas_internal_gemmt_kernelIiLi16ELi32ELi8ELc78ELc84ELc85ELb0ELb0EffPKfPfEviT_T9_T10_S3_lS5_S3_lS4_T11_S3_li.num_vgpr, 48
	.set _ZL29rocblas_internal_gemmt_kernelIiLi16ELi32ELi8ELc78ELc84ELc85ELb0ELb0EffPKfPfEviT_T9_T10_S3_lS5_S3_lS4_T11_S3_li.num_agpr, 0
	.set _ZL29rocblas_internal_gemmt_kernelIiLi16ELi32ELi8ELc78ELc84ELc85ELb0ELb0EffPKfPfEviT_T9_T10_S3_lS5_S3_lS4_T11_S3_li.numbered_sgpr, 26
	.set _ZL29rocblas_internal_gemmt_kernelIiLi16ELi32ELi8ELc78ELc84ELc85ELb0ELb0EffPKfPfEviT_T9_T10_S3_lS5_S3_lS4_T11_S3_li.num_named_barrier, 0
	.set _ZL29rocblas_internal_gemmt_kernelIiLi16ELi32ELi8ELc78ELc84ELc85ELb0ELb0EffPKfPfEviT_T9_T10_S3_lS5_S3_lS4_T11_S3_li.private_seg_size, 0
	.set _ZL29rocblas_internal_gemmt_kernelIiLi16ELi32ELi8ELc78ELc84ELc85ELb0ELb0EffPKfPfEviT_T9_T10_S3_lS5_S3_lS4_T11_S3_li.uses_vcc, 1
	.set _ZL29rocblas_internal_gemmt_kernelIiLi16ELi32ELi8ELc78ELc84ELc85ELb0ELb0EffPKfPfEviT_T9_T10_S3_lS5_S3_lS4_T11_S3_li.uses_flat_scratch, 0
	.set _ZL29rocblas_internal_gemmt_kernelIiLi16ELi32ELi8ELc78ELc84ELc85ELb0ELb0EffPKfPfEviT_T9_T10_S3_lS5_S3_lS4_T11_S3_li.has_dyn_sized_stack, 0
	.set _ZL29rocblas_internal_gemmt_kernelIiLi16ELi32ELi8ELc78ELc84ELc85ELb0ELb0EffPKfPfEviT_T9_T10_S3_lS5_S3_lS4_T11_S3_li.has_recursion, 0
	.set _ZL29rocblas_internal_gemmt_kernelIiLi16ELi32ELi8ELc78ELc84ELc85ELb0ELb0EffPKfPfEviT_T9_T10_S3_lS5_S3_lS4_T11_S3_li.has_indirect_call, 0
	.section	.AMDGPU.csdata,"",@progbits
; Kernel info:
; codeLenInByte = 1256
; TotalNumSgprs: 32
; NumVgprs: 48
; NumAgprs: 0
; TotalNumVgprs: 48
; ScratchSize: 0
; MemoryBound: 0
; FloatMode: 240
; IeeeMode: 1
; LDSByteSize: 2048 bytes/workgroup (compile time only)
; SGPRBlocks: 3
; VGPRBlocks: 5
; NumSGPRsForWavesPerEU: 32
; NumVGPRsForWavesPerEU: 48
; AccumOffset: 48
; Occupancy: 8
; WaveLimiterHint : 0
; COMPUTE_PGM_RSRC2:SCRATCH_EN: 0
; COMPUTE_PGM_RSRC2:USER_SGPR: 2
; COMPUTE_PGM_RSRC2:TRAP_HANDLER: 0
; COMPUTE_PGM_RSRC2:TGID_X_EN: 1
; COMPUTE_PGM_RSRC2:TGID_Y_EN: 1
; COMPUTE_PGM_RSRC2:TGID_Z_EN: 1
; COMPUTE_PGM_RSRC2:TIDIG_COMP_CNT: 1
; COMPUTE_PGM_RSRC3_GFX90A:ACCUM_OFFSET: 11
; COMPUTE_PGM_RSRC3_GFX90A:TG_SPLIT: 0
	.section	.text._ZL29rocblas_internal_gemmt_kernelIiLi16ELi32ELi8ELc78ELc67ELc85ELb0ELb0EffPKfPfEviT_T9_T10_S3_lS5_S3_lS4_T11_S3_li,"axG",@progbits,_ZL29rocblas_internal_gemmt_kernelIiLi16ELi32ELi8ELc78ELc67ELc85ELb0ELb0EffPKfPfEviT_T9_T10_S3_lS5_S3_lS4_T11_S3_li,comdat
	.globl	_ZL29rocblas_internal_gemmt_kernelIiLi16ELi32ELi8ELc78ELc67ELc85ELb0ELb0EffPKfPfEviT_T9_T10_S3_lS5_S3_lS4_T11_S3_li ; -- Begin function _ZL29rocblas_internal_gemmt_kernelIiLi16ELi32ELi8ELc78ELc67ELc85ELb0ELb0EffPKfPfEviT_T9_T10_S3_lS5_S3_lS4_T11_S3_li
	.p2align	8
	.type	_ZL29rocblas_internal_gemmt_kernelIiLi16ELi32ELi8ELc78ELc67ELc85ELb0ELb0EffPKfPfEviT_T9_T10_S3_lS5_S3_lS4_T11_S3_li,@function
_ZL29rocblas_internal_gemmt_kernelIiLi16ELi32ELi8ELc78ELc67ELc85ELb0ELb0EffPKfPfEviT_T9_T10_S3_lS5_S3_lS4_T11_S3_li: ; @_ZL29rocblas_internal_gemmt_kernelIiLi16ELi32ELi8ELc78ELc67ELc85ELb0ELb0EffPKfPfEviT_T9_T10_S3_lS5_S3_lS4_T11_S3_li
; %bb.0:
	s_load_dword s16, s[0:1], 0x40
	s_load_dwordx4 s[8:11], s[0:1], 0x0
	s_waitcnt lgkmcnt(0)
	v_cmp_neq_f32_e64 s[6:7], s16, 1.0
	s_and_b64 vcc, exec, s[6:7]
	s_cbranch_vccnz .LBB20_2
; %bb.1:
	s_cmp_lg_u32 s9, 0
	s_cselect_b64 s[6:7], -1, 0
	v_cmp_neq_f32_e64 s[12:13], s10, 0
	s_and_b64 s[6:7], s[6:7], s[12:13]
.LBB20_2:
	s_andn2_b64 vcc, exec, s[6:7]
	s_cbranch_vccnz .LBB20_26
; %bb.3:
	s_lshl_b32 s11, s2, 5
	s_lshl_b32 s17, s3, 5
	s_cmp_lt_i32 s9, 1
	v_cmp_eq_f32_e64 s[2:3], s10, 0
	s_cselect_b64 s[6:7], -1, 0
	v_mov_b32_e32 v3, 0
	s_or_b64 s[2:3], s[2:3], s[6:7]
	v_and_b32_e32 v8, 0x3ff, v0
	v_bfe_u32 v9, v0, 10, 10
	s_mov_b32 s5, 0
	s_and_b64 vcc, exec, s[2:3]
	v_mov_b32_e32 v2, v3
	v_mov_b32_e32 v1, v3
	;; [unrolled: 1-line block ×3, first 2 shown]
	s_cbranch_vccnz .LBB20_10
; %bb.4:
	v_lshl_add_u32 v1, v9, 4, v8
	v_and_b32_e32 v4, 31, v1
	v_lshrrev_b32_e32 v11, 5, v1
	v_lshrrev_b32_e32 v2, 3, v1
	v_or_b32_e32 v1, s11, v4
	s_load_dwordx2 s[6:7], s[0:1], 0x10
	s_load_dword s18, s[0:1], 0x18
	s_load_dwordx4 s[12:15], s[0:1], 0x20
	s_load_dword s20, s[0:1], 0x30
	v_and_b32_e32 v10, 7, v8
	v_cmp_gt_i32_e32 vcc, s8, v1
	v_lshlrev_b32_e32 v1, 2, v4
	v_lshl_or_b32 v12, v11, 7, v1
	v_lshlrev_b32_e32 v1, 2, v10
	v_add_u32_e32 v0, s17, v2
	v_lshl_or_b32 v1, v2, 5, v1
	v_mov_b32_e32 v2, 0x400
	v_lshl_add_u32 v15, v9, 5, v2
	s_waitcnt lgkmcnt(0)
	v_mad_i64_i32 v[2:3], s[24:25], v11, s18, 0
	s_load_dwordx2 s[22:23], s[0:1], 0x38
	s_mul_i32 s13, s13, s4
	s_mul_hi_u32 s24, s12, s4
	s_add_i32 s13, s24, s13
	s_mul_i32 s12, s12, s4
	s_lshl_b64 s[12:13], s[12:13], 2
	v_add_u32_e32 v4, s11, v4
	v_lshl_add_u64 v[2:3], v[2:3], 2, s[12:13]
	v_ashrrev_i32_e32 v5, 31, v4
	s_ashr_i32 s19, s18, 31
	v_lshl_add_u64 v[2:3], v[4:5], 2, v[2:3]
	v_lshl_add_u64 v[4:5], s[6:7], 0, v[2:3]
	s_lshl_b64 s[12:13], s[18:19], 5
	s_waitcnt lgkmcnt(0)
	s_mul_i32 s6, s23, s4
	s_mul_hi_u32 s7, s22, s4
	v_mad_i64_i32 v[2:3], s[18:19], s20, v10, 0
	s_add_i32 s7, s7, s6
	s_mul_i32 s6, s22, s4
	v_lshlrev_b64 v[2:3], 2, v[2:3]
	v_add_u32_e32 v13, 0x400, v1
	v_ashrrev_i32_e32 v1, 31, v0
	v_lshl_add_u64 v[2:3], s[6:7], 2, v[2:3]
	v_cmp_gt_i32_e64 s[2:3], s8, v0
	v_lshl_add_u64 v[0:1], v[0:1], 2, v[2:3]
	s_ashr_i32 s21, s20, 31
	v_lshl_add_u64 v[6:7], s[14:15], 0, v[0:1]
	v_mov_b32_e32 v0, 0
	v_lshlrev_b32_e32 v14, 2, v8
	s_lshl_b64 s[14:15], s[20:21], 5
	v_mov_b32_e32 v1, v0
	v_mov_b32_e32 v2, v0
	;; [unrolled: 1-line block ×3, first 2 shown]
	s_branch .LBB20_6
.LBB20_5:                               ;   in Loop: Header=BB20_6 Depth=1
	s_or_b64 exec, exec, s[6:7]
	s_waitcnt vmcnt(0)
	ds_write_b32 v13, v16
	s_waitcnt lgkmcnt(0)
	s_barrier
	ds_read_b128 v[16:19], v15
	ds_read_b128 v[20:23], v15 offset:16
	ds_read2_b32 v[32:33], v14 offset1:16
	ds_read2_b32 v[34:35], v14 offset0:32 offset1:48
	ds_read2_b32 v[36:37], v14 offset0:64 offset1:80
	;; [unrolled: 1-line block ×4, first 2 shown]
	ds_read_b128 v[24:27], v15 offset:512
	ds_read_b128 v[28:31], v15 offset:528
	ds_read2_b32 v[42:43], v14 offset0:160 offset1:176
	ds_read2_b32 v[44:45], v14 offset0:192 offset1:208
	;; [unrolled: 1-line block ×3, first 2 shown]
	s_waitcnt lgkmcnt(9)
	v_pk_fma_f32 v[2:3], v[32:33], v[16:17], v[2:3] op_sel_hi:[1,0,1]
	s_waitcnt lgkmcnt(4)
	v_pk_fma_f32 v[0:1], v[32:33], v[24:25], v[0:1] op_sel_hi:[1,0,1]
	v_pk_fma_f32 v[2:3], v[34:35], v[16:17], v[2:3] op_sel:[0,1,0]
	v_mov_b32_e32 v16, v19
	v_pk_fma_f32 v[2:3], v[36:37], v[18:19], v[2:3] op_sel_hi:[1,0,1]
	v_pk_fma_f32 v[0:1], v[34:35], v[24:25], v[0:1] op_sel:[0,1,0]
	v_pk_fma_f32 v[2:3], v[38:39], v[16:17], v[2:3] op_sel_hi:[1,0,1]
	v_mov_b32_e32 v16, v23
	v_pk_fma_f32 v[2:3], v[40:41], v[20:21], v[2:3] op_sel_hi:[1,0,1]
	v_pk_fma_f32 v[0:1], v[36:37], v[26:27], v[0:1] op_sel_hi:[1,0,1]
	s_waitcnt lgkmcnt(2)
	v_pk_fma_f32 v[2:3], v[42:43], v[20:21], v[2:3] op_sel:[0,1,0]
	s_add_i32 s5, s5, 8
	s_waitcnt lgkmcnt(1)
	v_pk_fma_f32 v[2:3], v[44:45], v[22:23], v[2:3] op_sel_hi:[1,0,1]
	v_lshl_add_u64 v[4:5], v[4:5], 0, s[12:13]
	s_waitcnt lgkmcnt(0)
	v_pk_fma_f32 v[2:3], v[46:47], v[16:17], v[2:3] op_sel_hi:[1,0,1]
	v_mov_b32_e32 v16, v27
	v_pk_fma_f32 v[0:1], v[38:39], v[16:17], v[0:1] op_sel_hi:[1,0,1]
	v_mov_b32_e32 v16, v31
	v_pk_fma_f32 v[0:1], v[40:41], v[28:29], v[0:1] op_sel_hi:[1,0,1]
	s_cmp_lt_i32 s5, s9
	v_pk_fma_f32 v[0:1], v[42:43], v[28:29], v[0:1] op_sel:[0,1,0]
	v_lshl_add_u64 v[6:7], v[6:7], 0, s[14:15]
	v_pk_fma_f32 v[0:1], v[44:45], v[30:31], v[0:1] op_sel_hi:[1,0,1]
	s_nop 0
	v_pk_fma_f32 v[0:1], v[46:47], v[16:17], v[0:1] op_sel_hi:[1,0,1]
	s_barrier
	s_cbranch_scc0 .LBB20_10
.LBB20_6:                               ; =>This Inner Loop Header: Depth=1
	v_add_u32_e32 v16, s5, v11
	v_cmp_gt_i32_e64 s[6:7], s9, v16
	s_and_b64 s[18:19], vcc, s[6:7]
	v_mov_b32_e32 v16, 0
	s_and_saveexec_b64 s[6:7], s[18:19]
	s_cbranch_execz .LBB20_8
; %bb.7:                                ;   in Loop: Header=BB20_6 Depth=1
	global_load_dword v16, v[4:5], off
.LBB20_8:                               ;   in Loop: Header=BB20_6 Depth=1
	s_or_b64 exec, exec, s[6:7]
	s_waitcnt vmcnt(0)
	ds_write_b32 v12, v16
	v_add_u32_e32 v16, s5, v10
	v_cmp_gt_i32_e64 s[6:7], s9, v16
	s_and_b64 s[18:19], s[6:7], s[2:3]
	v_mov_b32_e32 v16, 0
	s_and_saveexec_b64 s[6:7], s[18:19]
	s_cbranch_execz .LBB20_5
; %bb.9:                                ;   in Loop: Header=BB20_6 Depth=1
	global_load_dword v16, v[6:7], off
	s_branch .LBB20_5
.LBB20_10:
	s_load_dwordx2 s[2:3], s[0:1], 0x58
	s_load_dwordx2 s[6:7], s[0:1], 0x48
	s_load_dword s9, s[0:1], 0x50
	v_add_u32_e32 v10, s17, v9
	v_add_u32_e32 v4, s11, v8
	s_waitcnt lgkmcnt(0)
	s_mul_i32 s1, s3, s4
	s_mul_hi_u32 s3, s2, s4
	s_mul_i32 s0, s2, s4
	s_add_i32 s1, s3, s1
	s_lshl_b64 s[0:1], s[0:1], 2
	s_add_u32 s4, s6, s0
	s_addc_u32 s5, s7, s1
	v_mad_i64_i32 v[6:7], s[0:1], v10, s9, 0
	v_cmp_neq_f32_e64 s[0:1], s16, 0
	v_cmp_gt_i32_e64 s[2:3], s8, v10
	v_lshl_add_u64 v[8:9], v[6:7], 2, s[4:5]
	v_cmp_le_i32_e32 vcc, v4, v10
	v_cndmask_b32_e64 v6, 0, 1, s[0:1]
	s_and_b64 s[12:13], s[2:3], vcc
	v_ashrrev_i32_e32 v5, 31, v4
	v_cmp_ne_u32_e64 s[0:1], 1, v6
	s_and_saveexec_b64 s[6:7], s[12:13]
	s_cbranch_execz .LBB20_14
; %bb.11:
	v_mul_f32_e32 v2, s10, v2
	s_and_b64 vcc, exec, s[0:1]
	v_lshl_add_u64 v[6:7], v[4:5], 2, v[8:9]
	s_cbranch_vccnz .LBB20_13
; %bb.12:
	global_load_dword v11, v[6:7], off
	s_waitcnt vmcnt(0)
	v_fmac_f32_e32 v2, s16, v11
.LBB20_13:
	global_store_dword v[6:7], v2, off
.LBB20_14:
	s_or_b64 exec, exec, s[6:7]
	v_add_u32_e32 v6, 16, v4
	v_cmp_le_i32_e32 vcc, v6, v10
	s_and_b64 s[6:7], s[2:3], vcc
	v_ashrrev_i32_e32 v7, 31, v6
	s_and_saveexec_b64 s[2:3], s[6:7]
	s_cbranch_execz .LBB20_18
; %bb.15:
	v_mul_f32_e32 v11, s10, v3
	s_and_b64 vcc, exec, s[0:1]
	v_lshl_add_u64 v[2:3], v[6:7], 2, v[8:9]
	s_cbranch_vccnz .LBB20_17
; %bb.16:
	global_load_dword v8, v[2:3], off
	s_waitcnt vmcnt(0)
	v_fmac_f32_e32 v11, s16, v8
.LBB20_17:
	global_store_dword v[2:3], v11, off
.LBB20_18:
	s_or_b64 exec, exec, s[2:3]
	v_add_u32_e32 v8, 16, v10
	v_cmp_gt_i32_e64 s[2:3], s8, v8
	v_mad_i64_i32 v[2:3], s[6:7], v8, s9, 0
	v_cmp_le_i32_e32 vcc, v4, v8
	v_lshl_add_u64 v[2:3], v[2:3], 2, s[4:5]
	s_and_b64 s[6:7], s[2:3], vcc
	s_and_saveexec_b64 s[4:5], s[6:7]
	s_cbranch_execz .LBB20_22
; %bb.19:
	v_mul_f32_e32 v0, s10, v0
	s_and_b64 vcc, exec, s[0:1]
	v_lshl_add_u64 v[4:5], v[4:5], 2, v[2:3]
	s_cbranch_vccnz .LBB20_21
; %bb.20:
	global_load_dword v9, v[4:5], off
	s_waitcnt vmcnt(0)
	v_fmac_f32_e32 v0, s16, v9
.LBB20_21:
	global_store_dword v[4:5], v0, off
.LBB20_22:
	s_or_b64 exec, exec, s[4:5]
	v_cmp_le_i32_e32 vcc, v6, v8
	s_and_b64 s[2:3], s[2:3], vcc
	s_and_saveexec_b64 s[4:5], s[2:3]
	s_cbranch_execz .LBB20_26
; %bb.23:
	v_mul_f32_e32 v4, s10, v1
	s_and_b64 vcc, exec, s[0:1]
	v_lshl_add_u64 v[0:1], v[6:7], 2, v[2:3]
	s_cbranch_vccnz .LBB20_25
; %bb.24:
	global_load_dword v2, v[0:1], off
	s_waitcnt vmcnt(0)
	v_fmac_f32_e32 v4, s16, v2
.LBB20_25:
	global_store_dword v[0:1], v4, off
.LBB20_26:
	s_endpgm
	.section	.rodata,"a",@progbits
	.p2align	6, 0x0
	.amdhsa_kernel _ZL29rocblas_internal_gemmt_kernelIiLi16ELi32ELi8ELc78ELc67ELc85ELb0ELb0EffPKfPfEviT_T9_T10_S3_lS5_S3_lS4_T11_S3_li
		.amdhsa_group_segment_fixed_size 2048
		.amdhsa_private_segment_fixed_size 0
		.amdhsa_kernarg_size 100
		.amdhsa_user_sgpr_count 2
		.amdhsa_user_sgpr_dispatch_ptr 0
		.amdhsa_user_sgpr_queue_ptr 0
		.amdhsa_user_sgpr_kernarg_segment_ptr 1
		.amdhsa_user_sgpr_dispatch_id 0
		.amdhsa_user_sgpr_kernarg_preload_length 0
		.amdhsa_user_sgpr_kernarg_preload_offset 0
		.amdhsa_user_sgpr_private_segment_size 0
		.amdhsa_uses_dynamic_stack 0
		.amdhsa_enable_private_segment 0
		.amdhsa_system_sgpr_workgroup_id_x 1
		.amdhsa_system_sgpr_workgroup_id_y 1
		.amdhsa_system_sgpr_workgroup_id_z 1
		.amdhsa_system_sgpr_workgroup_info 0
		.amdhsa_system_vgpr_workitem_id 1
		.amdhsa_next_free_vgpr 48
		.amdhsa_next_free_sgpr 26
		.amdhsa_accum_offset 48
		.amdhsa_reserve_vcc 1
		.amdhsa_float_round_mode_32 0
		.amdhsa_float_round_mode_16_64 0
		.amdhsa_float_denorm_mode_32 3
		.amdhsa_float_denorm_mode_16_64 3
		.amdhsa_dx10_clamp 1
		.amdhsa_ieee_mode 1
		.amdhsa_fp16_overflow 0
		.amdhsa_tg_split 0
		.amdhsa_exception_fp_ieee_invalid_op 0
		.amdhsa_exception_fp_denorm_src 0
		.amdhsa_exception_fp_ieee_div_zero 0
		.amdhsa_exception_fp_ieee_overflow 0
		.amdhsa_exception_fp_ieee_underflow 0
		.amdhsa_exception_fp_ieee_inexact 0
		.amdhsa_exception_int_div_zero 0
	.end_amdhsa_kernel
	.section	.text._ZL29rocblas_internal_gemmt_kernelIiLi16ELi32ELi8ELc78ELc67ELc85ELb0ELb0EffPKfPfEviT_T9_T10_S3_lS5_S3_lS4_T11_S3_li,"axG",@progbits,_ZL29rocblas_internal_gemmt_kernelIiLi16ELi32ELi8ELc78ELc67ELc85ELb0ELb0EffPKfPfEviT_T9_T10_S3_lS5_S3_lS4_T11_S3_li,comdat
.Lfunc_end20:
	.size	_ZL29rocblas_internal_gemmt_kernelIiLi16ELi32ELi8ELc78ELc67ELc85ELb0ELb0EffPKfPfEviT_T9_T10_S3_lS5_S3_lS4_T11_S3_li, .Lfunc_end20-_ZL29rocblas_internal_gemmt_kernelIiLi16ELi32ELi8ELc78ELc67ELc85ELb0ELb0EffPKfPfEviT_T9_T10_S3_lS5_S3_lS4_T11_S3_li
                                        ; -- End function
	.set _ZL29rocblas_internal_gemmt_kernelIiLi16ELi32ELi8ELc78ELc67ELc85ELb0ELb0EffPKfPfEviT_T9_T10_S3_lS5_S3_lS4_T11_S3_li.num_vgpr, 48
	.set _ZL29rocblas_internal_gemmt_kernelIiLi16ELi32ELi8ELc78ELc67ELc85ELb0ELb0EffPKfPfEviT_T9_T10_S3_lS5_S3_lS4_T11_S3_li.num_agpr, 0
	.set _ZL29rocblas_internal_gemmt_kernelIiLi16ELi32ELi8ELc78ELc67ELc85ELb0ELb0EffPKfPfEviT_T9_T10_S3_lS5_S3_lS4_T11_S3_li.numbered_sgpr, 26
	.set _ZL29rocblas_internal_gemmt_kernelIiLi16ELi32ELi8ELc78ELc67ELc85ELb0ELb0EffPKfPfEviT_T9_T10_S3_lS5_S3_lS4_T11_S3_li.num_named_barrier, 0
	.set _ZL29rocblas_internal_gemmt_kernelIiLi16ELi32ELi8ELc78ELc67ELc85ELb0ELb0EffPKfPfEviT_T9_T10_S3_lS5_S3_lS4_T11_S3_li.private_seg_size, 0
	.set _ZL29rocblas_internal_gemmt_kernelIiLi16ELi32ELi8ELc78ELc67ELc85ELb0ELb0EffPKfPfEviT_T9_T10_S3_lS5_S3_lS4_T11_S3_li.uses_vcc, 1
	.set _ZL29rocblas_internal_gemmt_kernelIiLi16ELi32ELi8ELc78ELc67ELc85ELb0ELb0EffPKfPfEviT_T9_T10_S3_lS5_S3_lS4_T11_S3_li.uses_flat_scratch, 0
	.set _ZL29rocblas_internal_gemmt_kernelIiLi16ELi32ELi8ELc78ELc67ELc85ELb0ELb0EffPKfPfEviT_T9_T10_S3_lS5_S3_lS4_T11_S3_li.has_dyn_sized_stack, 0
	.set _ZL29rocblas_internal_gemmt_kernelIiLi16ELi32ELi8ELc78ELc67ELc85ELb0ELb0EffPKfPfEviT_T9_T10_S3_lS5_S3_lS4_T11_S3_li.has_recursion, 0
	.set _ZL29rocblas_internal_gemmt_kernelIiLi16ELi32ELi8ELc78ELc67ELc85ELb0ELb0EffPKfPfEviT_T9_T10_S3_lS5_S3_lS4_T11_S3_li.has_indirect_call, 0
	.section	.AMDGPU.csdata,"",@progbits
; Kernel info:
; codeLenInByte = 1256
; TotalNumSgprs: 32
; NumVgprs: 48
; NumAgprs: 0
; TotalNumVgprs: 48
; ScratchSize: 0
; MemoryBound: 0
; FloatMode: 240
; IeeeMode: 1
; LDSByteSize: 2048 bytes/workgroup (compile time only)
; SGPRBlocks: 3
; VGPRBlocks: 5
; NumSGPRsForWavesPerEU: 32
; NumVGPRsForWavesPerEU: 48
; AccumOffset: 48
; Occupancy: 8
; WaveLimiterHint : 0
; COMPUTE_PGM_RSRC2:SCRATCH_EN: 0
; COMPUTE_PGM_RSRC2:USER_SGPR: 2
; COMPUTE_PGM_RSRC2:TRAP_HANDLER: 0
; COMPUTE_PGM_RSRC2:TGID_X_EN: 1
; COMPUTE_PGM_RSRC2:TGID_Y_EN: 1
; COMPUTE_PGM_RSRC2:TGID_Z_EN: 1
; COMPUTE_PGM_RSRC2:TIDIG_COMP_CNT: 1
; COMPUTE_PGM_RSRC3_GFX90A:ACCUM_OFFSET: 11
; COMPUTE_PGM_RSRC3_GFX90A:TG_SPLIT: 0
	.section	.text._ZL29rocblas_internal_gemmt_kernelIiLi16ELi32ELi8ELc84ELc78ELc85ELb0ELb0EffPKfPfEviT_T9_T10_S3_lS5_S3_lS4_T11_S3_li,"axG",@progbits,_ZL29rocblas_internal_gemmt_kernelIiLi16ELi32ELi8ELc84ELc78ELc85ELb0ELb0EffPKfPfEviT_T9_T10_S3_lS5_S3_lS4_T11_S3_li,comdat
	.globl	_ZL29rocblas_internal_gemmt_kernelIiLi16ELi32ELi8ELc84ELc78ELc85ELb0ELb0EffPKfPfEviT_T9_T10_S3_lS5_S3_lS4_T11_S3_li ; -- Begin function _ZL29rocblas_internal_gemmt_kernelIiLi16ELi32ELi8ELc84ELc78ELc85ELb0ELb0EffPKfPfEviT_T9_T10_S3_lS5_S3_lS4_T11_S3_li
	.p2align	8
	.type	_ZL29rocblas_internal_gemmt_kernelIiLi16ELi32ELi8ELc84ELc78ELc85ELb0ELb0EffPKfPfEviT_T9_T10_S3_lS5_S3_lS4_T11_S3_li,@function
_ZL29rocblas_internal_gemmt_kernelIiLi16ELi32ELi8ELc84ELc78ELc85ELb0ELb0EffPKfPfEviT_T9_T10_S3_lS5_S3_lS4_T11_S3_li: ; @_ZL29rocblas_internal_gemmt_kernelIiLi16ELi32ELi8ELc84ELc78ELc85ELb0ELb0EffPKfPfEviT_T9_T10_S3_lS5_S3_lS4_T11_S3_li
; %bb.0:
	s_load_dword s16, s[0:1], 0x40
	s_load_dwordx4 s[8:11], s[0:1], 0x0
	s_waitcnt lgkmcnt(0)
	v_cmp_neq_f32_e64 s[6:7], s16, 1.0
	s_and_b64 vcc, exec, s[6:7]
	s_cbranch_vccnz .LBB21_2
; %bb.1:
	s_cmp_lg_u32 s9, 0
	s_cselect_b64 s[6:7], -1, 0
	v_cmp_neq_f32_e64 s[12:13], s10, 0
	s_and_b64 s[6:7], s[6:7], s[12:13]
.LBB21_2:
	s_andn2_b64 vcc, exec, s[6:7]
	s_cbranch_vccnz .LBB21_26
; %bb.3:
	s_lshl_b32 s11, s2, 5
	s_lshl_b32 s17, s3, 5
	s_cmp_lt_i32 s9, 1
	v_cmp_eq_f32_e64 s[2:3], s10, 0
	s_cselect_b64 s[6:7], -1, 0
	v_mov_b32_e32 v3, 0
	s_or_b64 s[2:3], s[2:3], s[6:7]
	v_and_b32_e32 v8, 0x3ff, v0
	v_bfe_u32 v9, v0, 10, 10
	s_mov_b32 s5, 0
	s_and_b64 vcc, exec, s[2:3]
	v_mov_b32_e32 v2, v3
	v_mov_b32_e32 v1, v3
	;; [unrolled: 1-line block ×3, first 2 shown]
	s_cbranch_vccnz .LBB21_10
; %bb.4:
	v_lshl_add_u32 v0, v9, 4, v8
	v_lshrrev_b32_e32 v11, 5, v0
	v_lshrrev_b32_e32 v1, 3, v0
	v_and_b32_e32 v0, 31, v0
	v_or_b32_e32 v2, s11, v0
	v_and_b32_e32 v10, 7, v8
	v_cmp_gt_i32_e32 vcc, s8, v2
	v_lshlrev_b32_e32 v2, 2, v0
	v_lshl_or_b32 v12, v11, 7, v2
	v_lshlrev_b32_e32 v2, 2, v10
	s_load_dwordx2 s[6:7], s[0:1], 0x10
	s_load_dword s20, s[0:1], 0x18
	s_load_dwordx4 s[12:15], s[0:1], 0x20
	s_load_dword s22, s[0:1], 0x30
	s_load_dwordx2 s[18:19], s[0:1], 0x38
	v_add_u32_e32 v3, s17, v1
	v_lshl_or_b32 v1, v1, 5, v2
	v_add_u32_e32 v13, 0x400, v1
	v_mov_b32_e32 v1, 0x400
	v_add_u32_e32 v0, s11, v0
	v_lshl_add_u32 v15, v9, 5, v1
	s_waitcnt lgkmcnt(0)
	v_mad_i64_i32 v[0:1], s[20:21], s20, v0, 0
	s_mul_i32 s13, s13, s4
	s_mul_hi_u32 s20, s12, s4
	s_add_i32 s13, s20, s13
	s_mul_i32 s12, s12, s4
	s_lshl_b64 s[12:13], s[12:13], 2
	v_lshl_add_u64 v[4:5], v[0:1], 2, s[12:13]
	v_lshlrev_b32_e32 v0, 2, v11
	v_mov_b32_e32 v1, 0
	v_lshl_add_u64 v[4:5], v[4:5], 0, v[0:1]
	v_lshl_add_u64 v[4:5], s[6:7], 0, v[4:5]
	v_mad_i64_i32 v[6:7], s[6:7], s22, v3, 0
	s_mul_i32 s6, s19, s4
	s_mul_hi_u32 s7, s18, s4
	s_add_i32 s7, s7, s6
	s_mul_i32 s6, s18, s4
	s_lshl_b64 s[6:7], s[6:7], 2
	v_cmp_gt_i32_e64 s[2:3], s8, v3
	v_lshl_add_u64 v[6:7], v[6:7], 2, s[6:7]
	v_mov_b32_e32 v3, v1
	v_lshl_add_u64 v[2:3], v[6:7], 0, v[2:3]
	v_lshlrev_b32_e32 v14, 2, v8
	v_lshl_add_u64 v[6:7], s[14:15], 0, v[2:3]
	v_mov_b32_e32 v0, v1
	v_mov_b32_e32 v2, v1
	;; [unrolled: 1-line block ×3, first 2 shown]
	s_branch .LBB21_6
.LBB21_5:                               ;   in Loop: Header=BB21_6 Depth=1
	s_or_b64 exec, exec, s[6:7]
	s_waitcnt vmcnt(0)
	ds_write_b32 v13, v16
	s_waitcnt lgkmcnt(0)
	s_barrier
	ds_read_b128 v[16:19], v15
	ds_read_b128 v[20:23], v15 offset:16
	ds_read2_b32 v[32:33], v14 offset1:16
	ds_read2_b32 v[34:35], v14 offset0:32 offset1:48
	ds_read2_b32 v[36:37], v14 offset0:64 offset1:80
	;; [unrolled: 1-line block ×4, first 2 shown]
	ds_read_b128 v[24:27], v15 offset:512
	ds_read_b128 v[28:31], v15 offset:528
	ds_read2_b32 v[42:43], v14 offset0:160 offset1:176
	ds_read2_b32 v[44:45], v14 offset0:192 offset1:208
	;; [unrolled: 1-line block ×3, first 2 shown]
	s_waitcnt lgkmcnt(9)
	v_pk_fma_f32 v[2:3], v[32:33], v[16:17], v[2:3] op_sel_hi:[1,0,1]
	s_waitcnt lgkmcnt(4)
	v_pk_fma_f32 v[0:1], v[32:33], v[24:25], v[0:1] op_sel_hi:[1,0,1]
	v_pk_fma_f32 v[2:3], v[34:35], v[16:17], v[2:3] op_sel:[0,1,0]
	v_mov_b32_e32 v16, v19
	v_pk_fma_f32 v[2:3], v[36:37], v[18:19], v[2:3] op_sel_hi:[1,0,1]
	v_pk_fma_f32 v[0:1], v[34:35], v[24:25], v[0:1] op_sel:[0,1,0]
	v_pk_fma_f32 v[2:3], v[38:39], v[16:17], v[2:3] op_sel_hi:[1,0,1]
	v_mov_b32_e32 v16, v23
	v_pk_fma_f32 v[2:3], v[40:41], v[20:21], v[2:3] op_sel_hi:[1,0,1]
	v_pk_fma_f32 v[0:1], v[36:37], v[26:27], v[0:1] op_sel_hi:[1,0,1]
	s_waitcnt lgkmcnt(2)
	v_pk_fma_f32 v[2:3], v[42:43], v[20:21], v[2:3] op_sel:[0,1,0]
	s_add_i32 s5, s5, 8
	s_waitcnt lgkmcnt(1)
	v_pk_fma_f32 v[2:3], v[44:45], v[22:23], v[2:3] op_sel_hi:[1,0,1]
	v_lshl_add_u64 v[4:5], v[4:5], 0, 32
	s_waitcnt lgkmcnt(0)
	v_pk_fma_f32 v[2:3], v[46:47], v[16:17], v[2:3] op_sel_hi:[1,0,1]
	v_mov_b32_e32 v16, v27
	v_pk_fma_f32 v[0:1], v[38:39], v[16:17], v[0:1] op_sel_hi:[1,0,1]
	v_mov_b32_e32 v16, v31
	v_pk_fma_f32 v[0:1], v[40:41], v[28:29], v[0:1] op_sel_hi:[1,0,1]
	s_cmp_lt_i32 s5, s9
	v_pk_fma_f32 v[0:1], v[42:43], v[28:29], v[0:1] op_sel:[0,1,0]
	v_lshl_add_u64 v[6:7], v[6:7], 0, 32
	v_pk_fma_f32 v[0:1], v[44:45], v[30:31], v[0:1] op_sel_hi:[1,0,1]
	s_nop 0
	v_pk_fma_f32 v[0:1], v[46:47], v[16:17], v[0:1] op_sel_hi:[1,0,1]
	s_barrier
	s_cbranch_scc0 .LBB21_10
.LBB21_6:                               ; =>This Inner Loop Header: Depth=1
	v_add_u32_e32 v16, s5, v11
	v_cmp_gt_i32_e64 s[6:7], s9, v16
	s_and_b64 s[12:13], vcc, s[6:7]
	v_mov_b32_e32 v16, 0
	s_and_saveexec_b64 s[6:7], s[12:13]
	s_cbranch_execz .LBB21_8
; %bb.7:                                ;   in Loop: Header=BB21_6 Depth=1
	global_load_dword v16, v[4:5], off
.LBB21_8:                               ;   in Loop: Header=BB21_6 Depth=1
	s_or_b64 exec, exec, s[6:7]
	s_waitcnt vmcnt(0)
	ds_write_b32 v12, v16
	v_add_u32_e32 v16, s5, v10
	v_cmp_gt_i32_e64 s[6:7], s9, v16
	s_and_b64 s[12:13], s[6:7], s[2:3]
	v_mov_b32_e32 v16, 0
	s_and_saveexec_b64 s[6:7], s[12:13]
	s_cbranch_execz .LBB21_5
; %bb.9:                                ;   in Loop: Header=BB21_6 Depth=1
	global_load_dword v16, v[6:7], off
	s_branch .LBB21_5
.LBB21_10:
	s_load_dwordx2 s[2:3], s[0:1], 0x58
	s_load_dwordx2 s[6:7], s[0:1], 0x48
	s_load_dword s9, s[0:1], 0x50
	v_add_u32_e32 v10, s17, v9
	v_add_u32_e32 v4, s11, v8
	s_waitcnt lgkmcnt(0)
	s_mul_i32 s1, s3, s4
	s_mul_hi_u32 s3, s2, s4
	s_mul_i32 s0, s2, s4
	s_add_i32 s1, s3, s1
	s_lshl_b64 s[0:1], s[0:1], 2
	s_add_u32 s4, s6, s0
	s_addc_u32 s5, s7, s1
	v_mad_i64_i32 v[6:7], s[0:1], v10, s9, 0
	v_cmp_neq_f32_e64 s[0:1], s16, 0
	v_cmp_gt_i32_e64 s[2:3], s8, v10
	v_lshl_add_u64 v[8:9], v[6:7], 2, s[4:5]
	v_cmp_le_i32_e32 vcc, v4, v10
	v_cndmask_b32_e64 v6, 0, 1, s[0:1]
	s_and_b64 s[12:13], s[2:3], vcc
	v_ashrrev_i32_e32 v5, 31, v4
	v_cmp_ne_u32_e64 s[0:1], 1, v6
	s_and_saveexec_b64 s[6:7], s[12:13]
	s_cbranch_execz .LBB21_14
; %bb.11:
	v_mul_f32_e32 v2, s10, v2
	s_and_b64 vcc, exec, s[0:1]
	v_lshl_add_u64 v[6:7], v[4:5], 2, v[8:9]
	s_cbranch_vccnz .LBB21_13
; %bb.12:
	global_load_dword v11, v[6:7], off
	s_waitcnt vmcnt(0)
	v_fmac_f32_e32 v2, s16, v11
.LBB21_13:
	global_store_dword v[6:7], v2, off
.LBB21_14:
	s_or_b64 exec, exec, s[6:7]
	v_add_u32_e32 v6, 16, v4
	v_cmp_le_i32_e32 vcc, v6, v10
	s_and_b64 s[6:7], s[2:3], vcc
	v_ashrrev_i32_e32 v7, 31, v6
	s_and_saveexec_b64 s[2:3], s[6:7]
	s_cbranch_execz .LBB21_18
; %bb.15:
	v_mul_f32_e32 v11, s10, v3
	s_and_b64 vcc, exec, s[0:1]
	v_lshl_add_u64 v[2:3], v[6:7], 2, v[8:9]
	s_cbranch_vccnz .LBB21_17
; %bb.16:
	global_load_dword v8, v[2:3], off
	s_waitcnt vmcnt(0)
	v_fmac_f32_e32 v11, s16, v8
.LBB21_17:
	global_store_dword v[2:3], v11, off
.LBB21_18:
	s_or_b64 exec, exec, s[2:3]
	v_add_u32_e32 v8, 16, v10
	v_cmp_gt_i32_e64 s[2:3], s8, v8
	v_mad_i64_i32 v[2:3], s[6:7], v8, s9, 0
	v_cmp_le_i32_e32 vcc, v4, v8
	v_lshl_add_u64 v[2:3], v[2:3], 2, s[4:5]
	s_and_b64 s[6:7], s[2:3], vcc
	s_and_saveexec_b64 s[4:5], s[6:7]
	s_cbranch_execz .LBB21_22
; %bb.19:
	v_mul_f32_e32 v0, s10, v0
	s_and_b64 vcc, exec, s[0:1]
	v_lshl_add_u64 v[4:5], v[4:5], 2, v[2:3]
	s_cbranch_vccnz .LBB21_21
; %bb.20:
	global_load_dword v9, v[4:5], off
	s_waitcnt vmcnt(0)
	v_fmac_f32_e32 v0, s16, v9
.LBB21_21:
	global_store_dword v[4:5], v0, off
.LBB21_22:
	s_or_b64 exec, exec, s[4:5]
	v_cmp_le_i32_e32 vcc, v6, v8
	s_and_b64 s[2:3], s[2:3], vcc
	s_and_saveexec_b64 s[4:5], s[2:3]
	s_cbranch_execz .LBB21_26
; %bb.23:
	v_mul_f32_e32 v4, s10, v1
	s_and_b64 vcc, exec, s[0:1]
	v_lshl_add_u64 v[0:1], v[6:7], 2, v[2:3]
	s_cbranch_vccnz .LBB21_25
; %bb.24:
	global_load_dword v2, v[0:1], off
	s_waitcnt vmcnt(0)
	v_fmac_f32_e32 v4, s16, v2
.LBB21_25:
	global_store_dword v[0:1], v4, off
.LBB21_26:
	s_endpgm
	.section	.rodata,"a",@progbits
	.p2align	6, 0x0
	.amdhsa_kernel _ZL29rocblas_internal_gemmt_kernelIiLi16ELi32ELi8ELc84ELc78ELc85ELb0ELb0EffPKfPfEviT_T9_T10_S3_lS5_S3_lS4_T11_S3_li
		.amdhsa_group_segment_fixed_size 2048
		.amdhsa_private_segment_fixed_size 0
		.amdhsa_kernarg_size 100
		.amdhsa_user_sgpr_count 2
		.amdhsa_user_sgpr_dispatch_ptr 0
		.amdhsa_user_sgpr_queue_ptr 0
		.amdhsa_user_sgpr_kernarg_segment_ptr 1
		.amdhsa_user_sgpr_dispatch_id 0
		.amdhsa_user_sgpr_kernarg_preload_length 0
		.amdhsa_user_sgpr_kernarg_preload_offset 0
		.amdhsa_user_sgpr_private_segment_size 0
		.amdhsa_uses_dynamic_stack 0
		.amdhsa_enable_private_segment 0
		.amdhsa_system_sgpr_workgroup_id_x 1
		.amdhsa_system_sgpr_workgroup_id_y 1
		.amdhsa_system_sgpr_workgroup_id_z 1
		.amdhsa_system_sgpr_workgroup_info 0
		.amdhsa_system_vgpr_workitem_id 1
		.amdhsa_next_free_vgpr 48
		.amdhsa_next_free_sgpr 23
		.amdhsa_accum_offset 48
		.amdhsa_reserve_vcc 1
		.amdhsa_float_round_mode_32 0
		.amdhsa_float_round_mode_16_64 0
		.amdhsa_float_denorm_mode_32 3
		.amdhsa_float_denorm_mode_16_64 3
		.amdhsa_dx10_clamp 1
		.amdhsa_ieee_mode 1
		.amdhsa_fp16_overflow 0
		.amdhsa_tg_split 0
		.amdhsa_exception_fp_ieee_invalid_op 0
		.amdhsa_exception_fp_denorm_src 0
		.amdhsa_exception_fp_ieee_div_zero 0
		.amdhsa_exception_fp_ieee_overflow 0
		.amdhsa_exception_fp_ieee_underflow 0
		.amdhsa_exception_fp_ieee_inexact 0
		.amdhsa_exception_int_div_zero 0
	.end_amdhsa_kernel
	.section	.text._ZL29rocblas_internal_gemmt_kernelIiLi16ELi32ELi8ELc84ELc78ELc85ELb0ELb0EffPKfPfEviT_T9_T10_S3_lS5_S3_lS4_T11_S3_li,"axG",@progbits,_ZL29rocblas_internal_gemmt_kernelIiLi16ELi32ELi8ELc84ELc78ELc85ELb0ELb0EffPKfPfEviT_T9_T10_S3_lS5_S3_lS4_T11_S3_li,comdat
.Lfunc_end21:
	.size	_ZL29rocblas_internal_gemmt_kernelIiLi16ELi32ELi8ELc84ELc78ELc85ELb0ELb0EffPKfPfEviT_T9_T10_S3_lS5_S3_lS4_T11_S3_li, .Lfunc_end21-_ZL29rocblas_internal_gemmt_kernelIiLi16ELi32ELi8ELc84ELc78ELc85ELb0ELb0EffPKfPfEviT_T9_T10_S3_lS5_S3_lS4_T11_S3_li
                                        ; -- End function
	.set _ZL29rocblas_internal_gemmt_kernelIiLi16ELi32ELi8ELc84ELc78ELc85ELb0ELb0EffPKfPfEviT_T9_T10_S3_lS5_S3_lS4_T11_S3_li.num_vgpr, 48
	.set _ZL29rocblas_internal_gemmt_kernelIiLi16ELi32ELi8ELc84ELc78ELc85ELb0ELb0EffPKfPfEviT_T9_T10_S3_lS5_S3_lS4_T11_S3_li.num_agpr, 0
	.set _ZL29rocblas_internal_gemmt_kernelIiLi16ELi32ELi8ELc84ELc78ELc85ELb0ELb0EffPKfPfEviT_T9_T10_S3_lS5_S3_lS4_T11_S3_li.numbered_sgpr, 23
	.set _ZL29rocblas_internal_gemmt_kernelIiLi16ELi32ELi8ELc84ELc78ELc85ELb0ELb0EffPKfPfEviT_T9_T10_S3_lS5_S3_lS4_T11_S3_li.num_named_barrier, 0
	.set _ZL29rocblas_internal_gemmt_kernelIiLi16ELi32ELi8ELc84ELc78ELc85ELb0ELb0EffPKfPfEviT_T9_T10_S3_lS5_S3_lS4_T11_S3_li.private_seg_size, 0
	.set _ZL29rocblas_internal_gemmt_kernelIiLi16ELi32ELi8ELc84ELc78ELc85ELb0ELb0EffPKfPfEviT_T9_T10_S3_lS5_S3_lS4_T11_S3_li.uses_vcc, 1
	.set _ZL29rocblas_internal_gemmt_kernelIiLi16ELi32ELi8ELc84ELc78ELc85ELb0ELb0EffPKfPfEviT_T9_T10_S3_lS5_S3_lS4_T11_S3_li.uses_flat_scratch, 0
	.set _ZL29rocblas_internal_gemmt_kernelIiLi16ELi32ELi8ELc84ELc78ELc85ELb0ELb0EffPKfPfEviT_T9_T10_S3_lS5_S3_lS4_T11_S3_li.has_dyn_sized_stack, 0
	.set _ZL29rocblas_internal_gemmt_kernelIiLi16ELi32ELi8ELc84ELc78ELc85ELb0ELb0EffPKfPfEviT_T9_T10_S3_lS5_S3_lS4_T11_S3_li.has_recursion, 0
	.set _ZL29rocblas_internal_gemmt_kernelIiLi16ELi32ELi8ELc84ELc78ELc85ELb0ELb0EffPKfPfEviT_T9_T10_S3_lS5_S3_lS4_T11_S3_li.has_indirect_call, 0
	.section	.AMDGPU.csdata,"",@progbits
; Kernel info:
; codeLenInByte = 1232
; TotalNumSgprs: 29
; NumVgprs: 48
; NumAgprs: 0
; TotalNumVgprs: 48
; ScratchSize: 0
; MemoryBound: 0
; FloatMode: 240
; IeeeMode: 1
; LDSByteSize: 2048 bytes/workgroup (compile time only)
; SGPRBlocks: 3
; VGPRBlocks: 5
; NumSGPRsForWavesPerEU: 29
; NumVGPRsForWavesPerEU: 48
; AccumOffset: 48
; Occupancy: 8
; WaveLimiterHint : 0
; COMPUTE_PGM_RSRC2:SCRATCH_EN: 0
; COMPUTE_PGM_RSRC2:USER_SGPR: 2
; COMPUTE_PGM_RSRC2:TRAP_HANDLER: 0
; COMPUTE_PGM_RSRC2:TGID_X_EN: 1
; COMPUTE_PGM_RSRC2:TGID_Y_EN: 1
; COMPUTE_PGM_RSRC2:TGID_Z_EN: 1
; COMPUTE_PGM_RSRC2:TIDIG_COMP_CNT: 1
; COMPUTE_PGM_RSRC3_GFX90A:ACCUM_OFFSET: 11
; COMPUTE_PGM_RSRC3_GFX90A:TG_SPLIT: 0
	.section	.text._ZL29rocblas_internal_gemmt_kernelIiLi16ELi32ELi8ELc84ELc84ELc85ELb0ELb0EffPKfPfEviT_T9_T10_S3_lS5_S3_lS4_T11_S3_li,"axG",@progbits,_ZL29rocblas_internal_gemmt_kernelIiLi16ELi32ELi8ELc84ELc84ELc85ELb0ELb0EffPKfPfEviT_T9_T10_S3_lS5_S3_lS4_T11_S3_li,comdat
	.globl	_ZL29rocblas_internal_gemmt_kernelIiLi16ELi32ELi8ELc84ELc84ELc85ELb0ELb0EffPKfPfEviT_T9_T10_S3_lS5_S3_lS4_T11_S3_li ; -- Begin function _ZL29rocblas_internal_gemmt_kernelIiLi16ELi32ELi8ELc84ELc84ELc85ELb0ELb0EffPKfPfEviT_T9_T10_S3_lS5_S3_lS4_T11_S3_li
	.p2align	8
	.type	_ZL29rocblas_internal_gemmt_kernelIiLi16ELi32ELi8ELc84ELc84ELc85ELb0ELb0EffPKfPfEviT_T9_T10_S3_lS5_S3_lS4_T11_S3_li,@function
_ZL29rocblas_internal_gemmt_kernelIiLi16ELi32ELi8ELc84ELc84ELc85ELb0ELb0EffPKfPfEviT_T9_T10_S3_lS5_S3_lS4_T11_S3_li: ; @_ZL29rocblas_internal_gemmt_kernelIiLi16ELi32ELi8ELc84ELc84ELc85ELb0ELb0EffPKfPfEviT_T9_T10_S3_lS5_S3_lS4_T11_S3_li
; %bb.0:
	s_load_dword s16, s[0:1], 0x40
	s_load_dwordx4 s[8:11], s[0:1], 0x0
	s_waitcnt lgkmcnt(0)
	v_cmp_neq_f32_e64 s[6:7], s16, 1.0
	s_and_b64 vcc, exec, s[6:7]
	s_cbranch_vccnz .LBB22_2
; %bb.1:
	s_cmp_lg_u32 s9, 0
	s_cselect_b64 s[6:7], -1, 0
	v_cmp_neq_f32_e64 s[12:13], s10, 0
	s_and_b64 s[6:7], s[6:7], s[12:13]
.LBB22_2:
	s_andn2_b64 vcc, exec, s[6:7]
	s_cbranch_vccnz .LBB22_26
; %bb.3:
	s_lshl_b32 s11, s2, 5
	s_lshl_b32 s17, s3, 5
	s_cmp_lt_i32 s9, 1
	v_cmp_eq_f32_e64 s[2:3], s10, 0
	s_cselect_b64 s[6:7], -1, 0
	v_mov_b32_e32 v3, 0
	s_or_b64 s[2:3], s[2:3], s[6:7]
	v_and_b32_e32 v8, 0x3ff, v0
	v_bfe_u32 v9, v0, 10, 10
	s_mov_b32 s5, 0
	s_and_b64 vcc, exec, s[2:3]
	v_mov_b32_e32 v2, v3
	v_mov_b32_e32 v1, v3
	;; [unrolled: 1-line block ×3, first 2 shown]
	s_cbranch_vccnz .LBB22_10
; %bb.4:
	v_lshl_add_u32 v0, v9, 4, v8
	v_lshrrev_b32_e32 v11, 5, v0
	v_lshrrev_b32_e32 v1, 3, v0
	v_and_b32_e32 v0, 31, v0
	v_or_b32_e32 v3, s11, v0
	v_and_b32_e32 v10, 7, v8
	s_load_dwordx4 s[12:15], s[0:1], 0x20
	s_load_dword s6, s[0:1], 0x30
	s_load_dwordx2 s[18:19], s[0:1], 0x10
	s_load_dword s22, s[0:1], 0x18
	s_load_dwordx2 s[20:21], s[0:1], 0x38
	v_cmp_gt_i32_e32 vcc, s8, v3
	v_lshlrev_b32_e32 v3, 2, v0
	v_lshl_or_b32 v12, v11, 7, v3
	v_lshlrev_b32_e32 v3, 2, v10
	v_add_u32_e32 v2, s17, v1
	v_lshl_or_b32 v1, v1, 5, v3
	v_add_u32_e32 v13, 0x400, v1
	v_mov_b32_e32 v1, 0x400
	v_add_u32_e32 v0, s11, v0
	v_lshl_add_u32 v15, v9, 5, v1
	s_waitcnt lgkmcnt(0)
	v_mad_i64_i32 v[0:1], s[22:23], s22, v0, 0
	s_mul_i32 s13, s13, s4
	s_mul_hi_u32 s22, s12, s4
	s_add_i32 s13, s22, s13
	s_mul_i32 s12, s12, s4
	s_lshl_b64 s[12:13], s[12:13], 2
	v_lshl_add_u64 v[4:5], v[0:1], 2, s[12:13]
	v_lshlrev_b32_e32 v0, 2, v11
	v_mov_b32_e32 v1, 0
	v_lshl_add_u64 v[4:5], v[4:5], 0, v[0:1]
	v_lshl_add_u64 v[4:5], s[18:19], 0, v[4:5]
	s_mul_i32 s12, s21, s4
	s_mul_hi_u32 s13, s20, s4
	v_mad_i64_i32 v[6:7], s[18:19], s6, v10, 0
	s_add_i32 s13, s13, s12
	s_mul_i32 s12, s20, s4
	v_lshlrev_b64 v[6:7], 2, v[6:7]
	v_ashrrev_i32_e32 v3, 31, v2
	v_lshl_add_u64 v[6:7], s[12:13], 2, v[6:7]
	s_ashr_i32 s7, s6, 31
	v_cmp_gt_i32_e64 s[2:3], s8, v2
	v_lshl_add_u64 v[2:3], v[2:3], 2, v[6:7]
	v_lshlrev_b32_e32 v14, 2, v8
	v_lshl_add_u64 v[6:7], s[14:15], 0, v[2:3]
	s_lshl_b64 s[12:13], s[6:7], 5
	v_mov_b32_e32 v0, v1
	v_mov_b32_e32 v2, v1
	;; [unrolled: 1-line block ×3, first 2 shown]
	s_branch .LBB22_6
.LBB22_5:                               ;   in Loop: Header=BB22_6 Depth=1
	s_or_b64 exec, exec, s[6:7]
	s_waitcnt vmcnt(0)
	ds_write_b32 v13, v16
	s_waitcnt lgkmcnt(0)
	s_barrier
	ds_read_b128 v[16:19], v15
	ds_read_b128 v[20:23], v15 offset:16
	ds_read2_b32 v[32:33], v14 offset1:16
	ds_read2_b32 v[34:35], v14 offset0:32 offset1:48
	ds_read2_b32 v[36:37], v14 offset0:64 offset1:80
	;; [unrolled: 1-line block ×4, first 2 shown]
	ds_read_b128 v[24:27], v15 offset:512
	ds_read_b128 v[28:31], v15 offset:528
	ds_read2_b32 v[42:43], v14 offset0:160 offset1:176
	ds_read2_b32 v[44:45], v14 offset0:192 offset1:208
	;; [unrolled: 1-line block ×3, first 2 shown]
	s_waitcnt lgkmcnt(9)
	v_pk_fma_f32 v[2:3], v[32:33], v[16:17], v[2:3] op_sel_hi:[1,0,1]
	s_waitcnt lgkmcnt(4)
	v_pk_fma_f32 v[0:1], v[32:33], v[24:25], v[0:1] op_sel_hi:[1,0,1]
	v_pk_fma_f32 v[2:3], v[34:35], v[16:17], v[2:3] op_sel:[0,1,0]
	v_mov_b32_e32 v16, v19
	v_pk_fma_f32 v[2:3], v[36:37], v[18:19], v[2:3] op_sel_hi:[1,0,1]
	v_pk_fma_f32 v[0:1], v[34:35], v[24:25], v[0:1] op_sel:[0,1,0]
	v_pk_fma_f32 v[2:3], v[38:39], v[16:17], v[2:3] op_sel_hi:[1,0,1]
	v_mov_b32_e32 v16, v23
	v_pk_fma_f32 v[2:3], v[40:41], v[20:21], v[2:3] op_sel_hi:[1,0,1]
	v_pk_fma_f32 v[0:1], v[36:37], v[26:27], v[0:1] op_sel_hi:[1,0,1]
	s_waitcnt lgkmcnt(2)
	v_pk_fma_f32 v[2:3], v[42:43], v[20:21], v[2:3] op_sel:[0,1,0]
	s_add_i32 s5, s5, 8
	s_waitcnt lgkmcnt(1)
	v_pk_fma_f32 v[2:3], v[44:45], v[22:23], v[2:3] op_sel_hi:[1,0,1]
	v_lshl_add_u64 v[4:5], v[4:5], 0, 32
	s_waitcnt lgkmcnt(0)
	v_pk_fma_f32 v[2:3], v[46:47], v[16:17], v[2:3] op_sel_hi:[1,0,1]
	v_mov_b32_e32 v16, v27
	v_pk_fma_f32 v[0:1], v[38:39], v[16:17], v[0:1] op_sel_hi:[1,0,1]
	v_mov_b32_e32 v16, v31
	v_pk_fma_f32 v[0:1], v[40:41], v[28:29], v[0:1] op_sel_hi:[1,0,1]
	s_cmp_lt_i32 s5, s9
	v_pk_fma_f32 v[0:1], v[42:43], v[28:29], v[0:1] op_sel:[0,1,0]
	v_lshl_add_u64 v[6:7], v[6:7], 0, s[12:13]
	v_pk_fma_f32 v[0:1], v[44:45], v[30:31], v[0:1] op_sel_hi:[1,0,1]
	s_nop 0
	v_pk_fma_f32 v[0:1], v[46:47], v[16:17], v[0:1] op_sel_hi:[1,0,1]
	s_barrier
	s_cbranch_scc0 .LBB22_10
.LBB22_6:                               ; =>This Inner Loop Header: Depth=1
	v_add_u32_e32 v16, s5, v11
	v_cmp_gt_i32_e64 s[6:7], s9, v16
	s_and_b64 s[14:15], vcc, s[6:7]
	v_mov_b32_e32 v16, 0
	s_and_saveexec_b64 s[6:7], s[14:15]
	s_cbranch_execz .LBB22_8
; %bb.7:                                ;   in Loop: Header=BB22_6 Depth=1
	global_load_dword v16, v[4:5], off
.LBB22_8:                               ;   in Loop: Header=BB22_6 Depth=1
	s_or_b64 exec, exec, s[6:7]
	s_waitcnt vmcnt(0)
	ds_write_b32 v12, v16
	v_add_u32_e32 v16, s5, v10
	v_cmp_gt_i32_e64 s[6:7], s9, v16
	s_and_b64 s[14:15], s[6:7], s[2:3]
	v_mov_b32_e32 v16, 0
	s_and_saveexec_b64 s[6:7], s[14:15]
	s_cbranch_execz .LBB22_5
; %bb.9:                                ;   in Loop: Header=BB22_6 Depth=1
	global_load_dword v16, v[6:7], off
	s_branch .LBB22_5
.LBB22_10:
	s_load_dwordx2 s[2:3], s[0:1], 0x58
	s_load_dwordx2 s[6:7], s[0:1], 0x48
	s_load_dword s9, s[0:1], 0x50
	v_add_u32_e32 v10, s17, v9
	v_add_u32_e32 v4, s11, v8
	s_waitcnt lgkmcnt(0)
	s_mul_i32 s1, s3, s4
	s_mul_hi_u32 s3, s2, s4
	s_mul_i32 s0, s2, s4
	s_add_i32 s1, s3, s1
	s_lshl_b64 s[0:1], s[0:1], 2
	s_add_u32 s4, s6, s0
	s_addc_u32 s5, s7, s1
	v_mad_i64_i32 v[6:7], s[0:1], v10, s9, 0
	v_cmp_neq_f32_e64 s[0:1], s16, 0
	v_cmp_gt_i32_e64 s[2:3], s8, v10
	v_lshl_add_u64 v[8:9], v[6:7], 2, s[4:5]
	v_cmp_le_i32_e32 vcc, v4, v10
	v_cndmask_b32_e64 v6, 0, 1, s[0:1]
	s_and_b64 s[12:13], s[2:3], vcc
	v_ashrrev_i32_e32 v5, 31, v4
	v_cmp_ne_u32_e64 s[0:1], 1, v6
	s_and_saveexec_b64 s[6:7], s[12:13]
	s_cbranch_execz .LBB22_14
; %bb.11:
	v_mul_f32_e32 v2, s10, v2
	s_and_b64 vcc, exec, s[0:1]
	v_lshl_add_u64 v[6:7], v[4:5], 2, v[8:9]
	s_cbranch_vccnz .LBB22_13
; %bb.12:
	global_load_dword v11, v[6:7], off
	s_waitcnt vmcnt(0)
	v_fmac_f32_e32 v2, s16, v11
.LBB22_13:
	global_store_dword v[6:7], v2, off
.LBB22_14:
	s_or_b64 exec, exec, s[6:7]
	v_add_u32_e32 v6, 16, v4
	v_cmp_le_i32_e32 vcc, v6, v10
	s_and_b64 s[6:7], s[2:3], vcc
	v_ashrrev_i32_e32 v7, 31, v6
	s_and_saveexec_b64 s[2:3], s[6:7]
	s_cbranch_execz .LBB22_18
; %bb.15:
	v_mul_f32_e32 v11, s10, v3
	s_and_b64 vcc, exec, s[0:1]
	v_lshl_add_u64 v[2:3], v[6:7], 2, v[8:9]
	s_cbranch_vccnz .LBB22_17
; %bb.16:
	global_load_dword v8, v[2:3], off
	s_waitcnt vmcnt(0)
	v_fmac_f32_e32 v11, s16, v8
.LBB22_17:
	global_store_dword v[2:3], v11, off
.LBB22_18:
	s_or_b64 exec, exec, s[2:3]
	v_add_u32_e32 v8, 16, v10
	v_cmp_gt_i32_e64 s[2:3], s8, v8
	v_mad_i64_i32 v[2:3], s[6:7], v8, s9, 0
	v_cmp_le_i32_e32 vcc, v4, v8
	v_lshl_add_u64 v[2:3], v[2:3], 2, s[4:5]
	s_and_b64 s[6:7], s[2:3], vcc
	s_and_saveexec_b64 s[4:5], s[6:7]
	s_cbranch_execz .LBB22_22
; %bb.19:
	v_mul_f32_e32 v0, s10, v0
	s_and_b64 vcc, exec, s[0:1]
	v_lshl_add_u64 v[4:5], v[4:5], 2, v[2:3]
	s_cbranch_vccnz .LBB22_21
; %bb.20:
	global_load_dword v9, v[4:5], off
	s_waitcnt vmcnt(0)
	v_fmac_f32_e32 v0, s16, v9
.LBB22_21:
	global_store_dword v[4:5], v0, off
.LBB22_22:
	s_or_b64 exec, exec, s[4:5]
	v_cmp_le_i32_e32 vcc, v6, v8
	s_and_b64 s[2:3], s[2:3], vcc
	s_and_saveexec_b64 s[4:5], s[2:3]
	s_cbranch_execz .LBB22_26
; %bb.23:
	v_mul_f32_e32 v4, s10, v1
	s_and_b64 vcc, exec, s[0:1]
	v_lshl_add_u64 v[0:1], v[6:7], 2, v[2:3]
	s_cbranch_vccnz .LBB22_25
; %bb.24:
	global_load_dword v2, v[0:1], off
	s_waitcnt vmcnt(0)
	v_fmac_f32_e32 v4, s16, v2
.LBB22_25:
	global_store_dword v[0:1], v4, off
.LBB22_26:
	s_endpgm
	.section	.rodata,"a",@progbits
	.p2align	6, 0x0
	.amdhsa_kernel _ZL29rocblas_internal_gemmt_kernelIiLi16ELi32ELi8ELc84ELc84ELc85ELb0ELb0EffPKfPfEviT_T9_T10_S3_lS5_S3_lS4_T11_S3_li
		.amdhsa_group_segment_fixed_size 2048
		.amdhsa_private_segment_fixed_size 0
		.amdhsa_kernarg_size 100
		.amdhsa_user_sgpr_count 2
		.amdhsa_user_sgpr_dispatch_ptr 0
		.amdhsa_user_sgpr_queue_ptr 0
		.amdhsa_user_sgpr_kernarg_segment_ptr 1
		.amdhsa_user_sgpr_dispatch_id 0
		.amdhsa_user_sgpr_kernarg_preload_length 0
		.amdhsa_user_sgpr_kernarg_preload_offset 0
		.amdhsa_user_sgpr_private_segment_size 0
		.amdhsa_uses_dynamic_stack 0
		.amdhsa_enable_private_segment 0
		.amdhsa_system_sgpr_workgroup_id_x 1
		.amdhsa_system_sgpr_workgroup_id_y 1
		.amdhsa_system_sgpr_workgroup_id_z 1
		.amdhsa_system_sgpr_workgroup_info 0
		.amdhsa_system_vgpr_workitem_id 1
		.amdhsa_next_free_vgpr 48
		.amdhsa_next_free_sgpr 24
		.amdhsa_accum_offset 48
		.amdhsa_reserve_vcc 1
		.amdhsa_float_round_mode_32 0
		.amdhsa_float_round_mode_16_64 0
		.amdhsa_float_denorm_mode_32 3
		.amdhsa_float_denorm_mode_16_64 3
		.amdhsa_dx10_clamp 1
		.amdhsa_ieee_mode 1
		.amdhsa_fp16_overflow 0
		.amdhsa_tg_split 0
		.amdhsa_exception_fp_ieee_invalid_op 0
		.amdhsa_exception_fp_denorm_src 0
		.amdhsa_exception_fp_ieee_div_zero 0
		.amdhsa_exception_fp_ieee_overflow 0
		.amdhsa_exception_fp_ieee_underflow 0
		.amdhsa_exception_fp_ieee_inexact 0
		.amdhsa_exception_int_div_zero 0
	.end_amdhsa_kernel
	.section	.text._ZL29rocblas_internal_gemmt_kernelIiLi16ELi32ELi8ELc84ELc84ELc85ELb0ELb0EffPKfPfEviT_T9_T10_S3_lS5_S3_lS4_T11_S3_li,"axG",@progbits,_ZL29rocblas_internal_gemmt_kernelIiLi16ELi32ELi8ELc84ELc84ELc85ELb0ELb0EffPKfPfEviT_T9_T10_S3_lS5_S3_lS4_T11_S3_li,comdat
.Lfunc_end22:
	.size	_ZL29rocblas_internal_gemmt_kernelIiLi16ELi32ELi8ELc84ELc84ELc85ELb0ELb0EffPKfPfEviT_T9_T10_S3_lS5_S3_lS4_T11_S3_li, .Lfunc_end22-_ZL29rocblas_internal_gemmt_kernelIiLi16ELi32ELi8ELc84ELc84ELc85ELb0ELb0EffPKfPfEviT_T9_T10_S3_lS5_S3_lS4_T11_S3_li
                                        ; -- End function
	.set _ZL29rocblas_internal_gemmt_kernelIiLi16ELi32ELi8ELc84ELc84ELc85ELb0ELb0EffPKfPfEviT_T9_T10_S3_lS5_S3_lS4_T11_S3_li.num_vgpr, 48
	.set _ZL29rocblas_internal_gemmt_kernelIiLi16ELi32ELi8ELc84ELc84ELc85ELb0ELb0EffPKfPfEviT_T9_T10_S3_lS5_S3_lS4_T11_S3_li.num_agpr, 0
	.set _ZL29rocblas_internal_gemmt_kernelIiLi16ELi32ELi8ELc84ELc84ELc85ELb0ELb0EffPKfPfEviT_T9_T10_S3_lS5_S3_lS4_T11_S3_li.numbered_sgpr, 24
	.set _ZL29rocblas_internal_gemmt_kernelIiLi16ELi32ELi8ELc84ELc84ELc85ELb0ELb0EffPKfPfEviT_T9_T10_S3_lS5_S3_lS4_T11_S3_li.num_named_barrier, 0
	.set _ZL29rocblas_internal_gemmt_kernelIiLi16ELi32ELi8ELc84ELc84ELc85ELb0ELb0EffPKfPfEviT_T9_T10_S3_lS5_S3_lS4_T11_S3_li.private_seg_size, 0
	.set _ZL29rocblas_internal_gemmt_kernelIiLi16ELi32ELi8ELc84ELc84ELc85ELb0ELb0EffPKfPfEviT_T9_T10_S3_lS5_S3_lS4_T11_S3_li.uses_vcc, 1
	.set _ZL29rocblas_internal_gemmt_kernelIiLi16ELi32ELi8ELc84ELc84ELc85ELb0ELb0EffPKfPfEviT_T9_T10_S3_lS5_S3_lS4_T11_S3_li.uses_flat_scratch, 0
	.set _ZL29rocblas_internal_gemmt_kernelIiLi16ELi32ELi8ELc84ELc84ELc85ELb0ELb0EffPKfPfEviT_T9_T10_S3_lS5_S3_lS4_T11_S3_li.has_dyn_sized_stack, 0
	.set _ZL29rocblas_internal_gemmt_kernelIiLi16ELi32ELi8ELc84ELc84ELc85ELb0ELb0EffPKfPfEviT_T9_T10_S3_lS5_S3_lS4_T11_S3_li.has_recursion, 0
	.set _ZL29rocblas_internal_gemmt_kernelIiLi16ELi32ELi8ELc84ELc84ELc85ELb0ELb0EffPKfPfEviT_T9_T10_S3_lS5_S3_lS4_T11_S3_li.has_indirect_call, 0
	.section	.AMDGPU.csdata,"",@progbits
; Kernel info:
; codeLenInByte = 1244
; TotalNumSgprs: 30
; NumVgprs: 48
; NumAgprs: 0
; TotalNumVgprs: 48
; ScratchSize: 0
; MemoryBound: 0
; FloatMode: 240
; IeeeMode: 1
; LDSByteSize: 2048 bytes/workgroup (compile time only)
; SGPRBlocks: 3
; VGPRBlocks: 5
; NumSGPRsForWavesPerEU: 30
; NumVGPRsForWavesPerEU: 48
; AccumOffset: 48
; Occupancy: 8
; WaveLimiterHint : 0
; COMPUTE_PGM_RSRC2:SCRATCH_EN: 0
; COMPUTE_PGM_RSRC2:USER_SGPR: 2
; COMPUTE_PGM_RSRC2:TRAP_HANDLER: 0
; COMPUTE_PGM_RSRC2:TGID_X_EN: 1
; COMPUTE_PGM_RSRC2:TGID_Y_EN: 1
; COMPUTE_PGM_RSRC2:TGID_Z_EN: 1
; COMPUTE_PGM_RSRC2:TIDIG_COMP_CNT: 1
; COMPUTE_PGM_RSRC3_GFX90A:ACCUM_OFFSET: 11
; COMPUTE_PGM_RSRC3_GFX90A:TG_SPLIT: 0
	.section	.text._ZL29rocblas_internal_gemmt_kernelIiLi16ELi32ELi8ELc84ELc67ELc85ELb0ELb0EffPKfPfEviT_T9_T10_S3_lS5_S3_lS4_T11_S3_li,"axG",@progbits,_ZL29rocblas_internal_gemmt_kernelIiLi16ELi32ELi8ELc84ELc67ELc85ELb0ELb0EffPKfPfEviT_T9_T10_S3_lS5_S3_lS4_T11_S3_li,comdat
	.globl	_ZL29rocblas_internal_gemmt_kernelIiLi16ELi32ELi8ELc84ELc67ELc85ELb0ELb0EffPKfPfEviT_T9_T10_S3_lS5_S3_lS4_T11_S3_li ; -- Begin function _ZL29rocblas_internal_gemmt_kernelIiLi16ELi32ELi8ELc84ELc67ELc85ELb0ELb0EffPKfPfEviT_T9_T10_S3_lS5_S3_lS4_T11_S3_li
	.p2align	8
	.type	_ZL29rocblas_internal_gemmt_kernelIiLi16ELi32ELi8ELc84ELc67ELc85ELb0ELb0EffPKfPfEviT_T9_T10_S3_lS5_S3_lS4_T11_S3_li,@function
_ZL29rocblas_internal_gemmt_kernelIiLi16ELi32ELi8ELc84ELc67ELc85ELb0ELb0EffPKfPfEviT_T9_T10_S3_lS5_S3_lS4_T11_S3_li: ; @_ZL29rocblas_internal_gemmt_kernelIiLi16ELi32ELi8ELc84ELc67ELc85ELb0ELb0EffPKfPfEviT_T9_T10_S3_lS5_S3_lS4_T11_S3_li
; %bb.0:
	s_load_dword s16, s[0:1], 0x40
	s_load_dwordx4 s[8:11], s[0:1], 0x0
	s_waitcnt lgkmcnt(0)
	v_cmp_neq_f32_e64 s[6:7], s16, 1.0
	s_and_b64 vcc, exec, s[6:7]
	s_cbranch_vccnz .LBB23_2
; %bb.1:
	s_cmp_lg_u32 s9, 0
	s_cselect_b64 s[6:7], -1, 0
	v_cmp_neq_f32_e64 s[12:13], s10, 0
	s_and_b64 s[6:7], s[6:7], s[12:13]
.LBB23_2:
	s_andn2_b64 vcc, exec, s[6:7]
	s_cbranch_vccnz .LBB23_26
; %bb.3:
	s_lshl_b32 s11, s2, 5
	s_lshl_b32 s17, s3, 5
	s_cmp_lt_i32 s9, 1
	v_cmp_eq_f32_e64 s[2:3], s10, 0
	s_cselect_b64 s[6:7], -1, 0
	v_mov_b32_e32 v3, 0
	s_or_b64 s[2:3], s[2:3], s[6:7]
	v_and_b32_e32 v8, 0x3ff, v0
	v_bfe_u32 v9, v0, 10, 10
	s_mov_b32 s5, 0
	s_and_b64 vcc, exec, s[2:3]
	v_mov_b32_e32 v2, v3
	v_mov_b32_e32 v1, v3
	;; [unrolled: 1-line block ×3, first 2 shown]
	s_cbranch_vccnz .LBB23_10
; %bb.4:
	v_lshl_add_u32 v0, v9, 4, v8
	v_lshrrev_b32_e32 v11, 5, v0
	v_lshrrev_b32_e32 v1, 3, v0
	v_and_b32_e32 v0, 31, v0
	v_or_b32_e32 v3, s11, v0
	v_and_b32_e32 v10, 7, v8
	s_load_dwordx4 s[12:15], s[0:1], 0x20
	s_load_dword s6, s[0:1], 0x30
	s_load_dwordx2 s[18:19], s[0:1], 0x10
	s_load_dword s22, s[0:1], 0x18
	s_load_dwordx2 s[20:21], s[0:1], 0x38
	v_cmp_gt_i32_e32 vcc, s8, v3
	v_lshlrev_b32_e32 v3, 2, v0
	v_lshl_or_b32 v12, v11, 7, v3
	v_lshlrev_b32_e32 v3, 2, v10
	v_add_u32_e32 v2, s17, v1
	v_lshl_or_b32 v1, v1, 5, v3
	v_add_u32_e32 v13, 0x400, v1
	v_mov_b32_e32 v1, 0x400
	v_add_u32_e32 v0, s11, v0
	v_lshl_add_u32 v15, v9, 5, v1
	s_waitcnt lgkmcnt(0)
	v_mad_i64_i32 v[0:1], s[22:23], s22, v0, 0
	s_mul_i32 s13, s13, s4
	s_mul_hi_u32 s22, s12, s4
	s_add_i32 s13, s22, s13
	s_mul_i32 s12, s12, s4
	s_lshl_b64 s[12:13], s[12:13], 2
	v_lshl_add_u64 v[4:5], v[0:1], 2, s[12:13]
	v_lshlrev_b32_e32 v0, 2, v11
	v_mov_b32_e32 v1, 0
	v_lshl_add_u64 v[4:5], v[4:5], 0, v[0:1]
	v_lshl_add_u64 v[4:5], s[18:19], 0, v[4:5]
	s_mul_i32 s12, s21, s4
	s_mul_hi_u32 s13, s20, s4
	v_mad_i64_i32 v[6:7], s[18:19], s6, v10, 0
	s_add_i32 s13, s13, s12
	s_mul_i32 s12, s20, s4
	v_lshlrev_b64 v[6:7], 2, v[6:7]
	v_ashrrev_i32_e32 v3, 31, v2
	v_lshl_add_u64 v[6:7], s[12:13], 2, v[6:7]
	s_ashr_i32 s7, s6, 31
	v_cmp_gt_i32_e64 s[2:3], s8, v2
	v_lshl_add_u64 v[2:3], v[2:3], 2, v[6:7]
	v_lshlrev_b32_e32 v14, 2, v8
	v_lshl_add_u64 v[6:7], s[14:15], 0, v[2:3]
	s_lshl_b64 s[12:13], s[6:7], 5
	v_mov_b32_e32 v0, v1
	v_mov_b32_e32 v2, v1
	;; [unrolled: 1-line block ×3, first 2 shown]
	s_branch .LBB23_6
.LBB23_5:                               ;   in Loop: Header=BB23_6 Depth=1
	s_or_b64 exec, exec, s[6:7]
	s_waitcnt vmcnt(0)
	ds_write_b32 v13, v16
	s_waitcnt lgkmcnt(0)
	s_barrier
	ds_read_b128 v[16:19], v15
	ds_read_b128 v[20:23], v15 offset:16
	ds_read2_b32 v[32:33], v14 offset1:16
	ds_read2_b32 v[34:35], v14 offset0:32 offset1:48
	ds_read2_b32 v[36:37], v14 offset0:64 offset1:80
	;; [unrolled: 1-line block ×4, first 2 shown]
	ds_read_b128 v[24:27], v15 offset:512
	ds_read_b128 v[28:31], v15 offset:528
	ds_read2_b32 v[42:43], v14 offset0:160 offset1:176
	ds_read2_b32 v[44:45], v14 offset0:192 offset1:208
	;; [unrolled: 1-line block ×3, first 2 shown]
	s_waitcnt lgkmcnt(9)
	v_pk_fma_f32 v[2:3], v[32:33], v[16:17], v[2:3] op_sel_hi:[1,0,1]
	s_waitcnt lgkmcnt(4)
	v_pk_fma_f32 v[0:1], v[32:33], v[24:25], v[0:1] op_sel_hi:[1,0,1]
	v_pk_fma_f32 v[2:3], v[34:35], v[16:17], v[2:3] op_sel:[0,1,0]
	v_mov_b32_e32 v16, v19
	v_pk_fma_f32 v[2:3], v[36:37], v[18:19], v[2:3] op_sel_hi:[1,0,1]
	v_pk_fma_f32 v[0:1], v[34:35], v[24:25], v[0:1] op_sel:[0,1,0]
	v_pk_fma_f32 v[2:3], v[38:39], v[16:17], v[2:3] op_sel_hi:[1,0,1]
	v_mov_b32_e32 v16, v23
	v_pk_fma_f32 v[2:3], v[40:41], v[20:21], v[2:3] op_sel_hi:[1,0,1]
	v_pk_fma_f32 v[0:1], v[36:37], v[26:27], v[0:1] op_sel_hi:[1,0,1]
	s_waitcnt lgkmcnt(2)
	v_pk_fma_f32 v[2:3], v[42:43], v[20:21], v[2:3] op_sel:[0,1,0]
	s_add_i32 s5, s5, 8
	s_waitcnt lgkmcnt(1)
	v_pk_fma_f32 v[2:3], v[44:45], v[22:23], v[2:3] op_sel_hi:[1,0,1]
	v_lshl_add_u64 v[4:5], v[4:5], 0, 32
	s_waitcnt lgkmcnt(0)
	v_pk_fma_f32 v[2:3], v[46:47], v[16:17], v[2:3] op_sel_hi:[1,0,1]
	v_mov_b32_e32 v16, v27
	v_pk_fma_f32 v[0:1], v[38:39], v[16:17], v[0:1] op_sel_hi:[1,0,1]
	v_mov_b32_e32 v16, v31
	v_pk_fma_f32 v[0:1], v[40:41], v[28:29], v[0:1] op_sel_hi:[1,0,1]
	s_cmp_lt_i32 s5, s9
	v_pk_fma_f32 v[0:1], v[42:43], v[28:29], v[0:1] op_sel:[0,1,0]
	v_lshl_add_u64 v[6:7], v[6:7], 0, s[12:13]
	v_pk_fma_f32 v[0:1], v[44:45], v[30:31], v[0:1] op_sel_hi:[1,0,1]
	s_nop 0
	v_pk_fma_f32 v[0:1], v[46:47], v[16:17], v[0:1] op_sel_hi:[1,0,1]
	s_barrier
	s_cbranch_scc0 .LBB23_10
.LBB23_6:                               ; =>This Inner Loop Header: Depth=1
	v_add_u32_e32 v16, s5, v11
	v_cmp_gt_i32_e64 s[6:7], s9, v16
	s_and_b64 s[14:15], vcc, s[6:7]
	v_mov_b32_e32 v16, 0
	s_and_saveexec_b64 s[6:7], s[14:15]
	s_cbranch_execz .LBB23_8
; %bb.7:                                ;   in Loop: Header=BB23_6 Depth=1
	global_load_dword v16, v[4:5], off
.LBB23_8:                               ;   in Loop: Header=BB23_6 Depth=1
	s_or_b64 exec, exec, s[6:7]
	s_waitcnt vmcnt(0)
	ds_write_b32 v12, v16
	v_add_u32_e32 v16, s5, v10
	v_cmp_gt_i32_e64 s[6:7], s9, v16
	s_and_b64 s[14:15], s[6:7], s[2:3]
	v_mov_b32_e32 v16, 0
	s_and_saveexec_b64 s[6:7], s[14:15]
	s_cbranch_execz .LBB23_5
; %bb.9:                                ;   in Loop: Header=BB23_6 Depth=1
	global_load_dword v16, v[6:7], off
	s_branch .LBB23_5
.LBB23_10:
	s_load_dwordx2 s[2:3], s[0:1], 0x58
	s_load_dwordx2 s[6:7], s[0:1], 0x48
	s_load_dword s9, s[0:1], 0x50
	v_add_u32_e32 v10, s17, v9
	v_add_u32_e32 v4, s11, v8
	s_waitcnt lgkmcnt(0)
	s_mul_i32 s1, s3, s4
	s_mul_hi_u32 s3, s2, s4
	s_mul_i32 s0, s2, s4
	s_add_i32 s1, s3, s1
	s_lshl_b64 s[0:1], s[0:1], 2
	s_add_u32 s4, s6, s0
	s_addc_u32 s5, s7, s1
	v_mad_i64_i32 v[6:7], s[0:1], v10, s9, 0
	v_cmp_neq_f32_e64 s[0:1], s16, 0
	v_cmp_gt_i32_e64 s[2:3], s8, v10
	v_lshl_add_u64 v[8:9], v[6:7], 2, s[4:5]
	v_cmp_le_i32_e32 vcc, v4, v10
	v_cndmask_b32_e64 v6, 0, 1, s[0:1]
	s_and_b64 s[12:13], s[2:3], vcc
	v_ashrrev_i32_e32 v5, 31, v4
	v_cmp_ne_u32_e64 s[0:1], 1, v6
	s_and_saveexec_b64 s[6:7], s[12:13]
	s_cbranch_execz .LBB23_14
; %bb.11:
	v_mul_f32_e32 v2, s10, v2
	s_and_b64 vcc, exec, s[0:1]
	v_lshl_add_u64 v[6:7], v[4:5], 2, v[8:9]
	s_cbranch_vccnz .LBB23_13
; %bb.12:
	global_load_dword v11, v[6:7], off
	s_waitcnt vmcnt(0)
	v_fmac_f32_e32 v2, s16, v11
.LBB23_13:
	global_store_dword v[6:7], v2, off
.LBB23_14:
	s_or_b64 exec, exec, s[6:7]
	v_add_u32_e32 v6, 16, v4
	v_cmp_le_i32_e32 vcc, v6, v10
	s_and_b64 s[6:7], s[2:3], vcc
	v_ashrrev_i32_e32 v7, 31, v6
	s_and_saveexec_b64 s[2:3], s[6:7]
	s_cbranch_execz .LBB23_18
; %bb.15:
	v_mul_f32_e32 v11, s10, v3
	s_and_b64 vcc, exec, s[0:1]
	v_lshl_add_u64 v[2:3], v[6:7], 2, v[8:9]
	s_cbranch_vccnz .LBB23_17
; %bb.16:
	global_load_dword v8, v[2:3], off
	s_waitcnt vmcnt(0)
	v_fmac_f32_e32 v11, s16, v8
.LBB23_17:
	global_store_dword v[2:3], v11, off
.LBB23_18:
	s_or_b64 exec, exec, s[2:3]
	v_add_u32_e32 v8, 16, v10
	v_cmp_gt_i32_e64 s[2:3], s8, v8
	v_mad_i64_i32 v[2:3], s[6:7], v8, s9, 0
	v_cmp_le_i32_e32 vcc, v4, v8
	v_lshl_add_u64 v[2:3], v[2:3], 2, s[4:5]
	s_and_b64 s[6:7], s[2:3], vcc
	s_and_saveexec_b64 s[4:5], s[6:7]
	s_cbranch_execz .LBB23_22
; %bb.19:
	v_mul_f32_e32 v0, s10, v0
	s_and_b64 vcc, exec, s[0:1]
	v_lshl_add_u64 v[4:5], v[4:5], 2, v[2:3]
	s_cbranch_vccnz .LBB23_21
; %bb.20:
	global_load_dword v9, v[4:5], off
	s_waitcnt vmcnt(0)
	v_fmac_f32_e32 v0, s16, v9
.LBB23_21:
	global_store_dword v[4:5], v0, off
.LBB23_22:
	s_or_b64 exec, exec, s[4:5]
	v_cmp_le_i32_e32 vcc, v6, v8
	s_and_b64 s[2:3], s[2:3], vcc
	s_and_saveexec_b64 s[4:5], s[2:3]
	s_cbranch_execz .LBB23_26
; %bb.23:
	v_mul_f32_e32 v4, s10, v1
	s_and_b64 vcc, exec, s[0:1]
	v_lshl_add_u64 v[0:1], v[6:7], 2, v[2:3]
	s_cbranch_vccnz .LBB23_25
; %bb.24:
	global_load_dword v2, v[0:1], off
	s_waitcnt vmcnt(0)
	v_fmac_f32_e32 v4, s16, v2
.LBB23_25:
	global_store_dword v[0:1], v4, off
.LBB23_26:
	s_endpgm
	.section	.rodata,"a",@progbits
	.p2align	6, 0x0
	.amdhsa_kernel _ZL29rocblas_internal_gemmt_kernelIiLi16ELi32ELi8ELc84ELc67ELc85ELb0ELb0EffPKfPfEviT_T9_T10_S3_lS5_S3_lS4_T11_S3_li
		.amdhsa_group_segment_fixed_size 2048
		.amdhsa_private_segment_fixed_size 0
		.amdhsa_kernarg_size 100
		.amdhsa_user_sgpr_count 2
		.amdhsa_user_sgpr_dispatch_ptr 0
		.amdhsa_user_sgpr_queue_ptr 0
		.amdhsa_user_sgpr_kernarg_segment_ptr 1
		.amdhsa_user_sgpr_dispatch_id 0
		.amdhsa_user_sgpr_kernarg_preload_length 0
		.amdhsa_user_sgpr_kernarg_preload_offset 0
		.amdhsa_user_sgpr_private_segment_size 0
		.amdhsa_uses_dynamic_stack 0
		.amdhsa_enable_private_segment 0
		.amdhsa_system_sgpr_workgroup_id_x 1
		.amdhsa_system_sgpr_workgroup_id_y 1
		.amdhsa_system_sgpr_workgroup_id_z 1
		.amdhsa_system_sgpr_workgroup_info 0
		.amdhsa_system_vgpr_workitem_id 1
		.amdhsa_next_free_vgpr 48
		.amdhsa_next_free_sgpr 24
		.amdhsa_accum_offset 48
		.amdhsa_reserve_vcc 1
		.amdhsa_float_round_mode_32 0
		.amdhsa_float_round_mode_16_64 0
		.amdhsa_float_denorm_mode_32 3
		.amdhsa_float_denorm_mode_16_64 3
		.amdhsa_dx10_clamp 1
		.amdhsa_ieee_mode 1
		.amdhsa_fp16_overflow 0
		.amdhsa_tg_split 0
		.amdhsa_exception_fp_ieee_invalid_op 0
		.amdhsa_exception_fp_denorm_src 0
		.amdhsa_exception_fp_ieee_div_zero 0
		.amdhsa_exception_fp_ieee_overflow 0
		.amdhsa_exception_fp_ieee_underflow 0
		.amdhsa_exception_fp_ieee_inexact 0
		.amdhsa_exception_int_div_zero 0
	.end_amdhsa_kernel
	.section	.text._ZL29rocblas_internal_gemmt_kernelIiLi16ELi32ELi8ELc84ELc67ELc85ELb0ELb0EffPKfPfEviT_T9_T10_S3_lS5_S3_lS4_T11_S3_li,"axG",@progbits,_ZL29rocblas_internal_gemmt_kernelIiLi16ELi32ELi8ELc84ELc67ELc85ELb0ELb0EffPKfPfEviT_T9_T10_S3_lS5_S3_lS4_T11_S3_li,comdat
.Lfunc_end23:
	.size	_ZL29rocblas_internal_gemmt_kernelIiLi16ELi32ELi8ELc84ELc67ELc85ELb0ELb0EffPKfPfEviT_T9_T10_S3_lS5_S3_lS4_T11_S3_li, .Lfunc_end23-_ZL29rocblas_internal_gemmt_kernelIiLi16ELi32ELi8ELc84ELc67ELc85ELb0ELb0EffPKfPfEviT_T9_T10_S3_lS5_S3_lS4_T11_S3_li
                                        ; -- End function
	.set _ZL29rocblas_internal_gemmt_kernelIiLi16ELi32ELi8ELc84ELc67ELc85ELb0ELb0EffPKfPfEviT_T9_T10_S3_lS5_S3_lS4_T11_S3_li.num_vgpr, 48
	.set _ZL29rocblas_internal_gemmt_kernelIiLi16ELi32ELi8ELc84ELc67ELc85ELb0ELb0EffPKfPfEviT_T9_T10_S3_lS5_S3_lS4_T11_S3_li.num_agpr, 0
	.set _ZL29rocblas_internal_gemmt_kernelIiLi16ELi32ELi8ELc84ELc67ELc85ELb0ELb0EffPKfPfEviT_T9_T10_S3_lS5_S3_lS4_T11_S3_li.numbered_sgpr, 24
	.set _ZL29rocblas_internal_gemmt_kernelIiLi16ELi32ELi8ELc84ELc67ELc85ELb0ELb0EffPKfPfEviT_T9_T10_S3_lS5_S3_lS4_T11_S3_li.num_named_barrier, 0
	.set _ZL29rocblas_internal_gemmt_kernelIiLi16ELi32ELi8ELc84ELc67ELc85ELb0ELb0EffPKfPfEviT_T9_T10_S3_lS5_S3_lS4_T11_S3_li.private_seg_size, 0
	.set _ZL29rocblas_internal_gemmt_kernelIiLi16ELi32ELi8ELc84ELc67ELc85ELb0ELb0EffPKfPfEviT_T9_T10_S3_lS5_S3_lS4_T11_S3_li.uses_vcc, 1
	.set _ZL29rocblas_internal_gemmt_kernelIiLi16ELi32ELi8ELc84ELc67ELc85ELb0ELb0EffPKfPfEviT_T9_T10_S3_lS5_S3_lS4_T11_S3_li.uses_flat_scratch, 0
	.set _ZL29rocblas_internal_gemmt_kernelIiLi16ELi32ELi8ELc84ELc67ELc85ELb0ELb0EffPKfPfEviT_T9_T10_S3_lS5_S3_lS4_T11_S3_li.has_dyn_sized_stack, 0
	.set _ZL29rocblas_internal_gemmt_kernelIiLi16ELi32ELi8ELc84ELc67ELc85ELb0ELb0EffPKfPfEviT_T9_T10_S3_lS5_S3_lS4_T11_S3_li.has_recursion, 0
	.set _ZL29rocblas_internal_gemmt_kernelIiLi16ELi32ELi8ELc84ELc67ELc85ELb0ELb0EffPKfPfEviT_T9_T10_S3_lS5_S3_lS4_T11_S3_li.has_indirect_call, 0
	.section	.AMDGPU.csdata,"",@progbits
; Kernel info:
; codeLenInByte = 1244
; TotalNumSgprs: 30
; NumVgprs: 48
; NumAgprs: 0
; TotalNumVgprs: 48
; ScratchSize: 0
; MemoryBound: 0
; FloatMode: 240
; IeeeMode: 1
; LDSByteSize: 2048 bytes/workgroup (compile time only)
; SGPRBlocks: 3
; VGPRBlocks: 5
; NumSGPRsForWavesPerEU: 30
; NumVGPRsForWavesPerEU: 48
; AccumOffset: 48
; Occupancy: 8
; WaveLimiterHint : 0
; COMPUTE_PGM_RSRC2:SCRATCH_EN: 0
; COMPUTE_PGM_RSRC2:USER_SGPR: 2
; COMPUTE_PGM_RSRC2:TRAP_HANDLER: 0
; COMPUTE_PGM_RSRC2:TGID_X_EN: 1
; COMPUTE_PGM_RSRC2:TGID_Y_EN: 1
; COMPUTE_PGM_RSRC2:TGID_Z_EN: 1
; COMPUTE_PGM_RSRC2:TIDIG_COMP_CNT: 1
; COMPUTE_PGM_RSRC3_GFX90A:ACCUM_OFFSET: 11
; COMPUTE_PGM_RSRC3_GFX90A:TG_SPLIT: 0
	.section	.text._ZL29rocblas_internal_gemmt_kernelIiLi16ELi32ELi8ELc67ELc78ELc85ELb0ELb0EffPKfPfEviT_T9_T10_S3_lS5_S3_lS4_T11_S3_li,"axG",@progbits,_ZL29rocblas_internal_gemmt_kernelIiLi16ELi32ELi8ELc67ELc78ELc85ELb0ELb0EffPKfPfEviT_T9_T10_S3_lS5_S3_lS4_T11_S3_li,comdat
	.globl	_ZL29rocblas_internal_gemmt_kernelIiLi16ELi32ELi8ELc67ELc78ELc85ELb0ELb0EffPKfPfEviT_T9_T10_S3_lS5_S3_lS4_T11_S3_li ; -- Begin function _ZL29rocblas_internal_gemmt_kernelIiLi16ELi32ELi8ELc67ELc78ELc85ELb0ELb0EffPKfPfEviT_T9_T10_S3_lS5_S3_lS4_T11_S3_li
	.p2align	8
	.type	_ZL29rocblas_internal_gemmt_kernelIiLi16ELi32ELi8ELc67ELc78ELc85ELb0ELb0EffPKfPfEviT_T9_T10_S3_lS5_S3_lS4_T11_S3_li,@function
_ZL29rocblas_internal_gemmt_kernelIiLi16ELi32ELi8ELc67ELc78ELc85ELb0ELb0EffPKfPfEviT_T9_T10_S3_lS5_S3_lS4_T11_S3_li: ; @_ZL29rocblas_internal_gemmt_kernelIiLi16ELi32ELi8ELc67ELc78ELc85ELb0ELb0EffPKfPfEviT_T9_T10_S3_lS5_S3_lS4_T11_S3_li
; %bb.0:
	s_load_dword s16, s[0:1], 0x40
	s_load_dwordx4 s[8:11], s[0:1], 0x0
	s_waitcnt lgkmcnt(0)
	v_cmp_neq_f32_e64 s[6:7], s16, 1.0
	s_and_b64 vcc, exec, s[6:7]
	s_cbranch_vccnz .LBB24_2
; %bb.1:
	s_cmp_lg_u32 s9, 0
	s_cselect_b64 s[6:7], -1, 0
	v_cmp_neq_f32_e64 s[12:13], s10, 0
	s_and_b64 s[6:7], s[6:7], s[12:13]
.LBB24_2:
	s_andn2_b64 vcc, exec, s[6:7]
	s_cbranch_vccnz .LBB24_26
; %bb.3:
	s_lshl_b32 s11, s2, 5
	s_lshl_b32 s17, s3, 5
	s_cmp_lt_i32 s9, 1
	v_cmp_eq_f32_e64 s[2:3], s10, 0
	s_cselect_b64 s[6:7], -1, 0
	v_mov_b32_e32 v3, 0
	s_or_b64 s[2:3], s[2:3], s[6:7]
	v_and_b32_e32 v8, 0x3ff, v0
	v_bfe_u32 v9, v0, 10, 10
	s_mov_b32 s5, 0
	s_and_b64 vcc, exec, s[2:3]
	v_mov_b32_e32 v2, v3
	v_mov_b32_e32 v1, v3
	;; [unrolled: 1-line block ×3, first 2 shown]
	s_cbranch_vccnz .LBB24_10
; %bb.4:
	v_lshl_add_u32 v0, v9, 4, v8
	v_lshrrev_b32_e32 v11, 5, v0
	v_lshrrev_b32_e32 v1, 3, v0
	v_and_b32_e32 v0, 31, v0
	v_or_b32_e32 v2, s11, v0
	v_and_b32_e32 v10, 7, v8
	v_cmp_gt_i32_e32 vcc, s8, v2
	v_lshlrev_b32_e32 v2, 2, v0
	v_lshl_or_b32 v12, v11, 7, v2
	v_lshlrev_b32_e32 v2, 2, v10
	s_load_dwordx2 s[6:7], s[0:1], 0x10
	s_load_dword s20, s[0:1], 0x18
	s_load_dwordx4 s[12:15], s[0:1], 0x20
	s_load_dword s22, s[0:1], 0x30
	s_load_dwordx2 s[18:19], s[0:1], 0x38
	v_add_u32_e32 v3, s17, v1
	v_lshl_or_b32 v1, v1, 5, v2
	v_add_u32_e32 v13, 0x400, v1
	v_mov_b32_e32 v1, 0x400
	v_add_u32_e32 v0, s11, v0
	v_lshl_add_u32 v15, v9, 5, v1
	s_waitcnt lgkmcnt(0)
	v_mad_i64_i32 v[0:1], s[20:21], s20, v0, 0
	s_mul_i32 s13, s13, s4
	s_mul_hi_u32 s20, s12, s4
	s_add_i32 s13, s20, s13
	s_mul_i32 s12, s12, s4
	s_lshl_b64 s[12:13], s[12:13], 2
	v_lshl_add_u64 v[4:5], v[0:1], 2, s[12:13]
	v_lshlrev_b32_e32 v0, 2, v11
	v_mov_b32_e32 v1, 0
	v_lshl_add_u64 v[4:5], v[4:5], 0, v[0:1]
	v_lshl_add_u64 v[4:5], s[6:7], 0, v[4:5]
	v_mad_i64_i32 v[6:7], s[6:7], s22, v3, 0
	s_mul_i32 s6, s19, s4
	s_mul_hi_u32 s7, s18, s4
	s_add_i32 s7, s7, s6
	s_mul_i32 s6, s18, s4
	s_lshl_b64 s[6:7], s[6:7], 2
	v_cmp_gt_i32_e64 s[2:3], s8, v3
	v_lshl_add_u64 v[6:7], v[6:7], 2, s[6:7]
	v_mov_b32_e32 v3, v1
	v_lshl_add_u64 v[2:3], v[6:7], 0, v[2:3]
	v_lshlrev_b32_e32 v14, 2, v8
	v_lshl_add_u64 v[6:7], s[14:15], 0, v[2:3]
	v_mov_b32_e32 v0, v1
	v_mov_b32_e32 v2, v1
	;; [unrolled: 1-line block ×3, first 2 shown]
	s_branch .LBB24_6
.LBB24_5:                               ;   in Loop: Header=BB24_6 Depth=1
	s_or_b64 exec, exec, s[6:7]
	s_waitcnt vmcnt(0)
	ds_write_b32 v13, v16
	s_waitcnt lgkmcnt(0)
	s_barrier
	ds_read_b128 v[16:19], v15
	ds_read_b128 v[20:23], v15 offset:16
	ds_read2_b32 v[32:33], v14 offset1:16
	ds_read2_b32 v[34:35], v14 offset0:32 offset1:48
	ds_read2_b32 v[36:37], v14 offset0:64 offset1:80
	;; [unrolled: 1-line block ×4, first 2 shown]
	ds_read_b128 v[24:27], v15 offset:512
	ds_read_b128 v[28:31], v15 offset:528
	ds_read2_b32 v[42:43], v14 offset0:160 offset1:176
	ds_read2_b32 v[44:45], v14 offset0:192 offset1:208
	;; [unrolled: 1-line block ×3, first 2 shown]
	s_waitcnt lgkmcnt(9)
	v_pk_fma_f32 v[2:3], v[32:33], v[16:17], v[2:3] op_sel_hi:[1,0,1]
	s_waitcnt lgkmcnt(4)
	v_pk_fma_f32 v[0:1], v[32:33], v[24:25], v[0:1] op_sel_hi:[1,0,1]
	v_pk_fma_f32 v[2:3], v[34:35], v[16:17], v[2:3] op_sel:[0,1,0]
	v_mov_b32_e32 v16, v19
	v_pk_fma_f32 v[2:3], v[36:37], v[18:19], v[2:3] op_sel_hi:[1,0,1]
	v_pk_fma_f32 v[0:1], v[34:35], v[24:25], v[0:1] op_sel:[0,1,0]
	v_pk_fma_f32 v[2:3], v[38:39], v[16:17], v[2:3] op_sel_hi:[1,0,1]
	v_mov_b32_e32 v16, v23
	v_pk_fma_f32 v[2:3], v[40:41], v[20:21], v[2:3] op_sel_hi:[1,0,1]
	v_pk_fma_f32 v[0:1], v[36:37], v[26:27], v[0:1] op_sel_hi:[1,0,1]
	s_waitcnt lgkmcnt(2)
	v_pk_fma_f32 v[2:3], v[42:43], v[20:21], v[2:3] op_sel:[0,1,0]
	s_add_i32 s5, s5, 8
	s_waitcnt lgkmcnt(1)
	v_pk_fma_f32 v[2:3], v[44:45], v[22:23], v[2:3] op_sel_hi:[1,0,1]
	v_lshl_add_u64 v[4:5], v[4:5], 0, 32
	s_waitcnt lgkmcnt(0)
	v_pk_fma_f32 v[2:3], v[46:47], v[16:17], v[2:3] op_sel_hi:[1,0,1]
	v_mov_b32_e32 v16, v27
	v_pk_fma_f32 v[0:1], v[38:39], v[16:17], v[0:1] op_sel_hi:[1,0,1]
	v_mov_b32_e32 v16, v31
	v_pk_fma_f32 v[0:1], v[40:41], v[28:29], v[0:1] op_sel_hi:[1,0,1]
	s_cmp_lt_i32 s5, s9
	v_pk_fma_f32 v[0:1], v[42:43], v[28:29], v[0:1] op_sel:[0,1,0]
	v_lshl_add_u64 v[6:7], v[6:7], 0, 32
	v_pk_fma_f32 v[0:1], v[44:45], v[30:31], v[0:1] op_sel_hi:[1,0,1]
	s_nop 0
	v_pk_fma_f32 v[0:1], v[46:47], v[16:17], v[0:1] op_sel_hi:[1,0,1]
	s_barrier
	s_cbranch_scc0 .LBB24_10
.LBB24_6:                               ; =>This Inner Loop Header: Depth=1
	v_add_u32_e32 v16, s5, v11
	v_cmp_gt_i32_e64 s[6:7], s9, v16
	s_and_b64 s[12:13], vcc, s[6:7]
	v_mov_b32_e32 v16, 0
	s_and_saveexec_b64 s[6:7], s[12:13]
	s_cbranch_execz .LBB24_8
; %bb.7:                                ;   in Loop: Header=BB24_6 Depth=1
	global_load_dword v16, v[4:5], off
.LBB24_8:                               ;   in Loop: Header=BB24_6 Depth=1
	s_or_b64 exec, exec, s[6:7]
	s_waitcnt vmcnt(0)
	ds_write_b32 v12, v16
	v_add_u32_e32 v16, s5, v10
	v_cmp_gt_i32_e64 s[6:7], s9, v16
	s_and_b64 s[12:13], s[6:7], s[2:3]
	v_mov_b32_e32 v16, 0
	s_and_saveexec_b64 s[6:7], s[12:13]
	s_cbranch_execz .LBB24_5
; %bb.9:                                ;   in Loop: Header=BB24_6 Depth=1
	global_load_dword v16, v[6:7], off
	s_branch .LBB24_5
.LBB24_10:
	s_load_dwordx2 s[2:3], s[0:1], 0x58
	s_load_dwordx2 s[6:7], s[0:1], 0x48
	s_load_dword s9, s[0:1], 0x50
	v_add_u32_e32 v10, s17, v9
	v_add_u32_e32 v4, s11, v8
	s_waitcnt lgkmcnt(0)
	s_mul_i32 s1, s3, s4
	s_mul_hi_u32 s3, s2, s4
	s_mul_i32 s0, s2, s4
	s_add_i32 s1, s3, s1
	s_lshl_b64 s[0:1], s[0:1], 2
	s_add_u32 s4, s6, s0
	s_addc_u32 s5, s7, s1
	v_mad_i64_i32 v[6:7], s[0:1], v10, s9, 0
	v_cmp_neq_f32_e64 s[0:1], s16, 0
	v_cmp_gt_i32_e64 s[2:3], s8, v10
	v_lshl_add_u64 v[8:9], v[6:7], 2, s[4:5]
	v_cmp_le_i32_e32 vcc, v4, v10
	v_cndmask_b32_e64 v6, 0, 1, s[0:1]
	s_and_b64 s[12:13], s[2:3], vcc
	v_ashrrev_i32_e32 v5, 31, v4
	v_cmp_ne_u32_e64 s[0:1], 1, v6
	s_and_saveexec_b64 s[6:7], s[12:13]
	s_cbranch_execz .LBB24_14
; %bb.11:
	v_mul_f32_e32 v2, s10, v2
	s_and_b64 vcc, exec, s[0:1]
	v_lshl_add_u64 v[6:7], v[4:5], 2, v[8:9]
	s_cbranch_vccnz .LBB24_13
; %bb.12:
	global_load_dword v11, v[6:7], off
	s_waitcnt vmcnt(0)
	v_fmac_f32_e32 v2, s16, v11
.LBB24_13:
	global_store_dword v[6:7], v2, off
.LBB24_14:
	s_or_b64 exec, exec, s[6:7]
	v_add_u32_e32 v6, 16, v4
	v_cmp_le_i32_e32 vcc, v6, v10
	s_and_b64 s[6:7], s[2:3], vcc
	v_ashrrev_i32_e32 v7, 31, v6
	s_and_saveexec_b64 s[2:3], s[6:7]
	s_cbranch_execz .LBB24_18
; %bb.15:
	v_mul_f32_e32 v11, s10, v3
	s_and_b64 vcc, exec, s[0:1]
	v_lshl_add_u64 v[2:3], v[6:7], 2, v[8:9]
	s_cbranch_vccnz .LBB24_17
; %bb.16:
	global_load_dword v8, v[2:3], off
	s_waitcnt vmcnt(0)
	v_fmac_f32_e32 v11, s16, v8
.LBB24_17:
	global_store_dword v[2:3], v11, off
.LBB24_18:
	s_or_b64 exec, exec, s[2:3]
	v_add_u32_e32 v8, 16, v10
	v_cmp_gt_i32_e64 s[2:3], s8, v8
	v_mad_i64_i32 v[2:3], s[6:7], v8, s9, 0
	v_cmp_le_i32_e32 vcc, v4, v8
	v_lshl_add_u64 v[2:3], v[2:3], 2, s[4:5]
	s_and_b64 s[6:7], s[2:3], vcc
	s_and_saveexec_b64 s[4:5], s[6:7]
	s_cbranch_execz .LBB24_22
; %bb.19:
	v_mul_f32_e32 v0, s10, v0
	s_and_b64 vcc, exec, s[0:1]
	v_lshl_add_u64 v[4:5], v[4:5], 2, v[2:3]
	s_cbranch_vccnz .LBB24_21
; %bb.20:
	global_load_dword v9, v[4:5], off
	s_waitcnt vmcnt(0)
	v_fmac_f32_e32 v0, s16, v9
.LBB24_21:
	global_store_dword v[4:5], v0, off
.LBB24_22:
	s_or_b64 exec, exec, s[4:5]
	v_cmp_le_i32_e32 vcc, v6, v8
	s_and_b64 s[2:3], s[2:3], vcc
	s_and_saveexec_b64 s[4:5], s[2:3]
	s_cbranch_execz .LBB24_26
; %bb.23:
	v_mul_f32_e32 v4, s10, v1
	s_and_b64 vcc, exec, s[0:1]
	v_lshl_add_u64 v[0:1], v[6:7], 2, v[2:3]
	s_cbranch_vccnz .LBB24_25
; %bb.24:
	global_load_dword v2, v[0:1], off
	s_waitcnt vmcnt(0)
	v_fmac_f32_e32 v4, s16, v2
.LBB24_25:
	global_store_dword v[0:1], v4, off
.LBB24_26:
	s_endpgm
	.section	.rodata,"a",@progbits
	.p2align	6, 0x0
	.amdhsa_kernel _ZL29rocblas_internal_gemmt_kernelIiLi16ELi32ELi8ELc67ELc78ELc85ELb0ELb0EffPKfPfEviT_T9_T10_S3_lS5_S3_lS4_T11_S3_li
		.amdhsa_group_segment_fixed_size 2048
		.amdhsa_private_segment_fixed_size 0
		.amdhsa_kernarg_size 100
		.amdhsa_user_sgpr_count 2
		.amdhsa_user_sgpr_dispatch_ptr 0
		.amdhsa_user_sgpr_queue_ptr 0
		.amdhsa_user_sgpr_kernarg_segment_ptr 1
		.amdhsa_user_sgpr_dispatch_id 0
		.amdhsa_user_sgpr_kernarg_preload_length 0
		.amdhsa_user_sgpr_kernarg_preload_offset 0
		.amdhsa_user_sgpr_private_segment_size 0
		.amdhsa_uses_dynamic_stack 0
		.amdhsa_enable_private_segment 0
		.amdhsa_system_sgpr_workgroup_id_x 1
		.amdhsa_system_sgpr_workgroup_id_y 1
		.amdhsa_system_sgpr_workgroup_id_z 1
		.amdhsa_system_sgpr_workgroup_info 0
		.amdhsa_system_vgpr_workitem_id 1
		.amdhsa_next_free_vgpr 48
		.amdhsa_next_free_sgpr 23
		.amdhsa_accum_offset 48
		.amdhsa_reserve_vcc 1
		.amdhsa_float_round_mode_32 0
		.amdhsa_float_round_mode_16_64 0
		.amdhsa_float_denorm_mode_32 3
		.amdhsa_float_denorm_mode_16_64 3
		.amdhsa_dx10_clamp 1
		.amdhsa_ieee_mode 1
		.amdhsa_fp16_overflow 0
		.amdhsa_tg_split 0
		.amdhsa_exception_fp_ieee_invalid_op 0
		.amdhsa_exception_fp_denorm_src 0
		.amdhsa_exception_fp_ieee_div_zero 0
		.amdhsa_exception_fp_ieee_overflow 0
		.amdhsa_exception_fp_ieee_underflow 0
		.amdhsa_exception_fp_ieee_inexact 0
		.amdhsa_exception_int_div_zero 0
	.end_amdhsa_kernel
	.section	.text._ZL29rocblas_internal_gemmt_kernelIiLi16ELi32ELi8ELc67ELc78ELc85ELb0ELb0EffPKfPfEviT_T9_T10_S3_lS5_S3_lS4_T11_S3_li,"axG",@progbits,_ZL29rocblas_internal_gemmt_kernelIiLi16ELi32ELi8ELc67ELc78ELc85ELb0ELb0EffPKfPfEviT_T9_T10_S3_lS5_S3_lS4_T11_S3_li,comdat
.Lfunc_end24:
	.size	_ZL29rocblas_internal_gemmt_kernelIiLi16ELi32ELi8ELc67ELc78ELc85ELb0ELb0EffPKfPfEviT_T9_T10_S3_lS5_S3_lS4_T11_S3_li, .Lfunc_end24-_ZL29rocblas_internal_gemmt_kernelIiLi16ELi32ELi8ELc67ELc78ELc85ELb0ELb0EffPKfPfEviT_T9_T10_S3_lS5_S3_lS4_T11_S3_li
                                        ; -- End function
	.set _ZL29rocblas_internal_gemmt_kernelIiLi16ELi32ELi8ELc67ELc78ELc85ELb0ELb0EffPKfPfEviT_T9_T10_S3_lS5_S3_lS4_T11_S3_li.num_vgpr, 48
	.set _ZL29rocblas_internal_gemmt_kernelIiLi16ELi32ELi8ELc67ELc78ELc85ELb0ELb0EffPKfPfEviT_T9_T10_S3_lS5_S3_lS4_T11_S3_li.num_agpr, 0
	.set _ZL29rocblas_internal_gemmt_kernelIiLi16ELi32ELi8ELc67ELc78ELc85ELb0ELb0EffPKfPfEviT_T9_T10_S3_lS5_S3_lS4_T11_S3_li.numbered_sgpr, 23
	.set _ZL29rocblas_internal_gemmt_kernelIiLi16ELi32ELi8ELc67ELc78ELc85ELb0ELb0EffPKfPfEviT_T9_T10_S3_lS5_S3_lS4_T11_S3_li.num_named_barrier, 0
	.set _ZL29rocblas_internal_gemmt_kernelIiLi16ELi32ELi8ELc67ELc78ELc85ELb0ELb0EffPKfPfEviT_T9_T10_S3_lS5_S3_lS4_T11_S3_li.private_seg_size, 0
	.set _ZL29rocblas_internal_gemmt_kernelIiLi16ELi32ELi8ELc67ELc78ELc85ELb0ELb0EffPKfPfEviT_T9_T10_S3_lS5_S3_lS4_T11_S3_li.uses_vcc, 1
	.set _ZL29rocblas_internal_gemmt_kernelIiLi16ELi32ELi8ELc67ELc78ELc85ELb0ELb0EffPKfPfEviT_T9_T10_S3_lS5_S3_lS4_T11_S3_li.uses_flat_scratch, 0
	.set _ZL29rocblas_internal_gemmt_kernelIiLi16ELi32ELi8ELc67ELc78ELc85ELb0ELb0EffPKfPfEviT_T9_T10_S3_lS5_S3_lS4_T11_S3_li.has_dyn_sized_stack, 0
	.set _ZL29rocblas_internal_gemmt_kernelIiLi16ELi32ELi8ELc67ELc78ELc85ELb0ELb0EffPKfPfEviT_T9_T10_S3_lS5_S3_lS4_T11_S3_li.has_recursion, 0
	.set _ZL29rocblas_internal_gemmt_kernelIiLi16ELi32ELi8ELc67ELc78ELc85ELb0ELb0EffPKfPfEviT_T9_T10_S3_lS5_S3_lS4_T11_S3_li.has_indirect_call, 0
	.section	.AMDGPU.csdata,"",@progbits
; Kernel info:
; codeLenInByte = 1232
; TotalNumSgprs: 29
; NumVgprs: 48
; NumAgprs: 0
; TotalNumVgprs: 48
; ScratchSize: 0
; MemoryBound: 0
; FloatMode: 240
; IeeeMode: 1
; LDSByteSize: 2048 bytes/workgroup (compile time only)
; SGPRBlocks: 3
; VGPRBlocks: 5
; NumSGPRsForWavesPerEU: 29
; NumVGPRsForWavesPerEU: 48
; AccumOffset: 48
; Occupancy: 8
; WaveLimiterHint : 0
; COMPUTE_PGM_RSRC2:SCRATCH_EN: 0
; COMPUTE_PGM_RSRC2:USER_SGPR: 2
; COMPUTE_PGM_RSRC2:TRAP_HANDLER: 0
; COMPUTE_PGM_RSRC2:TGID_X_EN: 1
; COMPUTE_PGM_RSRC2:TGID_Y_EN: 1
; COMPUTE_PGM_RSRC2:TGID_Z_EN: 1
; COMPUTE_PGM_RSRC2:TIDIG_COMP_CNT: 1
; COMPUTE_PGM_RSRC3_GFX90A:ACCUM_OFFSET: 11
; COMPUTE_PGM_RSRC3_GFX90A:TG_SPLIT: 0
	.section	.text._ZL29rocblas_internal_gemmt_kernelIiLi16ELi32ELi8ELc67ELc84ELc85ELb0ELb0EffPKfPfEviT_T9_T10_S3_lS5_S3_lS4_T11_S3_li,"axG",@progbits,_ZL29rocblas_internal_gemmt_kernelIiLi16ELi32ELi8ELc67ELc84ELc85ELb0ELb0EffPKfPfEviT_T9_T10_S3_lS5_S3_lS4_T11_S3_li,comdat
	.globl	_ZL29rocblas_internal_gemmt_kernelIiLi16ELi32ELi8ELc67ELc84ELc85ELb0ELb0EffPKfPfEviT_T9_T10_S3_lS5_S3_lS4_T11_S3_li ; -- Begin function _ZL29rocblas_internal_gemmt_kernelIiLi16ELi32ELi8ELc67ELc84ELc85ELb0ELb0EffPKfPfEviT_T9_T10_S3_lS5_S3_lS4_T11_S3_li
	.p2align	8
	.type	_ZL29rocblas_internal_gemmt_kernelIiLi16ELi32ELi8ELc67ELc84ELc85ELb0ELb0EffPKfPfEviT_T9_T10_S3_lS5_S3_lS4_T11_S3_li,@function
_ZL29rocblas_internal_gemmt_kernelIiLi16ELi32ELi8ELc67ELc84ELc85ELb0ELb0EffPKfPfEviT_T9_T10_S3_lS5_S3_lS4_T11_S3_li: ; @_ZL29rocblas_internal_gemmt_kernelIiLi16ELi32ELi8ELc67ELc84ELc85ELb0ELb0EffPKfPfEviT_T9_T10_S3_lS5_S3_lS4_T11_S3_li
; %bb.0:
	s_load_dword s16, s[0:1], 0x40
	s_load_dwordx4 s[8:11], s[0:1], 0x0
	s_waitcnt lgkmcnt(0)
	v_cmp_neq_f32_e64 s[6:7], s16, 1.0
	s_and_b64 vcc, exec, s[6:7]
	s_cbranch_vccnz .LBB25_2
; %bb.1:
	s_cmp_lg_u32 s9, 0
	s_cselect_b64 s[6:7], -1, 0
	v_cmp_neq_f32_e64 s[12:13], s10, 0
	s_and_b64 s[6:7], s[6:7], s[12:13]
.LBB25_2:
	s_andn2_b64 vcc, exec, s[6:7]
	s_cbranch_vccnz .LBB25_26
; %bb.3:
	s_lshl_b32 s11, s2, 5
	s_lshl_b32 s17, s3, 5
	s_cmp_lt_i32 s9, 1
	v_cmp_eq_f32_e64 s[2:3], s10, 0
	s_cselect_b64 s[6:7], -1, 0
	v_mov_b32_e32 v3, 0
	s_or_b64 s[2:3], s[2:3], s[6:7]
	v_and_b32_e32 v8, 0x3ff, v0
	v_bfe_u32 v9, v0, 10, 10
	s_mov_b32 s5, 0
	s_and_b64 vcc, exec, s[2:3]
	v_mov_b32_e32 v2, v3
	v_mov_b32_e32 v1, v3
	;; [unrolled: 1-line block ×3, first 2 shown]
	s_cbranch_vccnz .LBB25_10
; %bb.4:
	v_lshl_add_u32 v0, v9, 4, v8
	v_lshrrev_b32_e32 v11, 5, v0
	v_lshrrev_b32_e32 v1, 3, v0
	v_and_b32_e32 v0, 31, v0
	v_or_b32_e32 v3, s11, v0
	v_and_b32_e32 v10, 7, v8
	s_load_dwordx4 s[12:15], s[0:1], 0x20
	s_load_dword s6, s[0:1], 0x30
	s_load_dwordx2 s[18:19], s[0:1], 0x10
	s_load_dword s22, s[0:1], 0x18
	s_load_dwordx2 s[20:21], s[0:1], 0x38
	v_cmp_gt_i32_e32 vcc, s8, v3
	v_lshlrev_b32_e32 v3, 2, v0
	v_lshl_or_b32 v12, v11, 7, v3
	v_lshlrev_b32_e32 v3, 2, v10
	v_add_u32_e32 v2, s17, v1
	v_lshl_or_b32 v1, v1, 5, v3
	v_add_u32_e32 v13, 0x400, v1
	v_mov_b32_e32 v1, 0x400
	v_add_u32_e32 v0, s11, v0
	v_lshl_add_u32 v15, v9, 5, v1
	s_waitcnt lgkmcnt(0)
	v_mad_i64_i32 v[0:1], s[22:23], s22, v0, 0
	s_mul_i32 s13, s13, s4
	s_mul_hi_u32 s22, s12, s4
	s_add_i32 s13, s22, s13
	s_mul_i32 s12, s12, s4
	s_lshl_b64 s[12:13], s[12:13], 2
	v_lshl_add_u64 v[4:5], v[0:1], 2, s[12:13]
	v_lshlrev_b32_e32 v0, 2, v11
	v_mov_b32_e32 v1, 0
	v_lshl_add_u64 v[4:5], v[4:5], 0, v[0:1]
	v_lshl_add_u64 v[4:5], s[18:19], 0, v[4:5]
	s_mul_i32 s12, s21, s4
	s_mul_hi_u32 s13, s20, s4
	v_mad_i64_i32 v[6:7], s[18:19], s6, v10, 0
	s_add_i32 s13, s13, s12
	s_mul_i32 s12, s20, s4
	v_lshlrev_b64 v[6:7], 2, v[6:7]
	v_ashrrev_i32_e32 v3, 31, v2
	v_lshl_add_u64 v[6:7], s[12:13], 2, v[6:7]
	s_ashr_i32 s7, s6, 31
	v_cmp_gt_i32_e64 s[2:3], s8, v2
	v_lshl_add_u64 v[2:3], v[2:3], 2, v[6:7]
	v_lshlrev_b32_e32 v14, 2, v8
	v_lshl_add_u64 v[6:7], s[14:15], 0, v[2:3]
	s_lshl_b64 s[12:13], s[6:7], 5
	v_mov_b32_e32 v0, v1
	v_mov_b32_e32 v2, v1
	;; [unrolled: 1-line block ×3, first 2 shown]
	s_branch .LBB25_6
.LBB25_5:                               ;   in Loop: Header=BB25_6 Depth=1
	s_or_b64 exec, exec, s[6:7]
	s_waitcnt vmcnt(0)
	ds_write_b32 v13, v16
	s_waitcnt lgkmcnt(0)
	s_barrier
	ds_read_b128 v[16:19], v15
	ds_read_b128 v[20:23], v15 offset:16
	ds_read2_b32 v[32:33], v14 offset1:16
	ds_read2_b32 v[34:35], v14 offset0:32 offset1:48
	ds_read2_b32 v[36:37], v14 offset0:64 offset1:80
	;; [unrolled: 1-line block ×4, first 2 shown]
	ds_read_b128 v[24:27], v15 offset:512
	ds_read_b128 v[28:31], v15 offset:528
	ds_read2_b32 v[42:43], v14 offset0:160 offset1:176
	ds_read2_b32 v[44:45], v14 offset0:192 offset1:208
	;; [unrolled: 1-line block ×3, first 2 shown]
	s_waitcnt lgkmcnt(9)
	v_pk_fma_f32 v[2:3], v[32:33], v[16:17], v[2:3] op_sel_hi:[1,0,1]
	s_waitcnt lgkmcnt(4)
	v_pk_fma_f32 v[0:1], v[32:33], v[24:25], v[0:1] op_sel_hi:[1,0,1]
	v_pk_fma_f32 v[2:3], v[34:35], v[16:17], v[2:3] op_sel:[0,1,0]
	v_mov_b32_e32 v16, v19
	v_pk_fma_f32 v[2:3], v[36:37], v[18:19], v[2:3] op_sel_hi:[1,0,1]
	v_pk_fma_f32 v[0:1], v[34:35], v[24:25], v[0:1] op_sel:[0,1,0]
	v_pk_fma_f32 v[2:3], v[38:39], v[16:17], v[2:3] op_sel_hi:[1,0,1]
	v_mov_b32_e32 v16, v23
	v_pk_fma_f32 v[2:3], v[40:41], v[20:21], v[2:3] op_sel_hi:[1,0,1]
	v_pk_fma_f32 v[0:1], v[36:37], v[26:27], v[0:1] op_sel_hi:[1,0,1]
	s_waitcnt lgkmcnt(2)
	v_pk_fma_f32 v[2:3], v[42:43], v[20:21], v[2:3] op_sel:[0,1,0]
	s_add_i32 s5, s5, 8
	s_waitcnt lgkmcnt(1)
	v_pk_fma_f32 v[2:3], v[44:45], v[22:23], v[2:3] op_sel_hi:[1,0,1]
	v_lshl_add_u64 v[4:5], v[4:5], 0, 32
	s_waitcnt lgkmcnt(0)
	v_pk_fma_f32 v[2:3], v[46:47], v[16:17], v[2:3] op_sel_hi:[1,0,1]
	v_mov_b32_e32 v16, v27
	v_pk_fma_f32 v[0:1], v[38:39], v[16:17], v[0:1] op_sel_hi:[1,0,1]
	v_mov_b32_e32 v16, v31
	v_pk_fma_f32 v[0:1], v[40:41], v[28:29], v[0:1] op_sel_hi:[1,0,1]
	s_cmp_lt_i32 s5, s9
	v_pk_fma_f32 v[0:1], v[42:43], v[28:29], v[0:1] op_sel:[0,1,0]
	v_lshl_add_u64 v[6:7], v[6:7], 0, s[12:13]
	v_pk_fma_f32 v[0:1], v[44:45], v[30:31], v[0:1] op_sel_hi:[1,0,1]
	s_nop 0
	v_pk_fma_f32 v[0:1], v[46:47], v[16:17], v[0:1] op_sel_hi:[1,0,1]
	s_barrier
	s_cbranch_scc0 .LBB25_10
.LBB25_6:                               ; =>This Inner Loop Header: Depth=1
	v_add_u32_e32 v16, s5, v11
	v_cmp_gt_i32_e64 s[6:7], s9, v16
	s_and_b64 s[14:15], vcc, s[6:7]
	v_mov_b32_e32 v16, 0
	s_and_saveexec_b64 s[6:7], s[14:15]
	s_cbranch_execz .LBB25_8
; %bb.7:                                ;   in Loop: Header=BB25_6 Depth=1
	global_load_dword v16, v[4:5], off
.LBB25_8:                               ;   in Loop: Header=BB25_6 Depth=1
	s_or_b64 exec, exec, s[6:7]
	s_waitcnt vmcnt(0)
	ds_write_b32 v12, v16
	v_add_u32_e32 v16, s5, v10
	v_cmp_gt_i32_e64 s[6:7], s9, v16
	s_and_b64 s[14:15], s[6:7], s[2:3]
	v_mov_b32_e32 v16, 0
	s_and_saveexec_b64 s[6:7], s[14:15]
	s_cbranch_execz .LBB25_5
; %bb.9:                                ;   in Loop: Header=BB25_6 Depth=1
	global_load_dword v16, v[6:7], off
	s_branch .LBB25_5
.LBB25_10:
	s_load_dwordx2 s[2:3], s[0:1], 0x58
	s_load_dwordx2 s[6:7], s[0:1], 0x48
	s_load_dword s9, s[0:1], 0x50
	v_add_u32_e32 v10, s17, v9
	v_add_u32_e32 v4, s11, v8
	s_waitcnt lgkmcnt(0)
	s_mul_i32 s1, s3, s4
	s_mul_hi_u32 s3, s2, s4
	s_mul_i32 s0, s2, s4
	s_add_i32 s1, s3, s1
	s_lshl_b64 s[0:1], s[0:1], 2
	s_add_u32 s4, s6, s0
	s_addc_u32 s5, s7, s1
	v_mad_i64_i32 v[6:7], s[0:1], v10, s9, 0
	v_cmp_neq_f32_e64 s[0:1], s16, 0
	v_cmp_gt_i32_e64 s[2:3], s8, v10
	v_lshl_add_u64 v[8:9], v[6:7], 2, s[4:5]
	v_cmp_le_i32_e32 vcc, v4, v10
	v_cndmask_b32_e64 v6, 0, 1, s[0:1]
	s_and_b64 s[12:13], s[2:3], vcc
	v_ashrrev_i32_e32 v5, 31, v4
	v_cmp_ne_u32_e64 s[0:1], 1, v6
	s_and_saveexec_b64 s[6:7], s[12:13]
	s_cbranch_execz .LBB25_14
; %bb.11:
	v_mul_f32_e32 v2, s10, v2
	s_and_b64 vcc, exec, s[0:1]
	v_lshl_add_u64 v[6:7], v[4:5], 2, v[8:9]
	s_cbranch_vccnz .LBB25_13
; %bb.12:
	global_load_dword v11, v[6:7], off
	s_waitcnt vmcnt(0)
	v_fmac_f32_e32 v2, s16, v11
.LBB25_13:
	global_store_dword v[6:7], v2, off
.LBB25_14:
	s_or_b64 exec, exec, s[6:7]
	v_add_u32_e32 v6, 16, v4
	v_cmp_le_i32_e32 vcc, v6, v10
	s_and_b64 s[6:7], s[2:3], vcc
	v_ashrrev_i32_e32 v7, 31, v6
	s_and_saveexec_b64 s[2:3], s[6:7]
	s_cbranch_execz .LBB25_18
; %bb.15:
	v_mul_f32_e32 v11, s10, v3
	s_and_b64 vcc, exec, s[0:1]
	v_lshl_add_u64 v[2:3], v[6:7], 2, v[8:9]
	s_cbranch_vccnz .LBB25_17
; %bb.16:
	global_load_dword v8, v[2:3], off
	s_waitcnt vmcnt(0)
	v_fmac_f32_e32 v11, s16, v8
.LBB25_17:
	global_store_dword v[2:3], v11, off
.LBB25_18:
	s_or_b64 exec, exec, s[2:3]
	v_add_u32_e32 v8, 16, v10
	v_cmp_gt_i32_e64 s[2:3], s8, v8
	v_mad_i64_i32 v[2:3], s[6:7], v8, s9, 0
	v_cmp_le_i32_e32 vcc, v4, v8
	v_lshl_add_u64 v[2:3], v[2:3], 2, s[4:5]
	s_and_b64 s[6:7], s[2:3], vcc
	s_and_saveexec_b64 s[4:5], s[6:7]
	s_cbranch_execz .LBB25_22
; %bb.19:
	v_mul_f32_e32 v0, s10, v0
	s_and_b64 vcc, exec, s[0:1]
	v_lshl_add_u64 v[4:5], v[4:5], 2, v[2:3]
	s_cbranch_vccnz .LBB25_21
; %bb.20:
	global_load_dword v9, v[4:5], off
	s_waitcnt vmcnt(0)
	v_fmac_f32_e32 v0, s16, v9
.LBB25_21:
	global_store_dword v[4:5], v0, off
.LBB25_22:
	s_or_b64 exec, exec, s[4:5]
	v_cmp_le_i32_e32 vcc, v6, v8
	s_and_b64 s[2:3], s[2:3], vcc
	s_and_saveexec_b64 s[4:5], s[2:3]
	s_cbranch_execz .LBB25_26
; %bb.23:
	v_mul_f32_e32 v4, s10, v1
	s_and_b64 vcc, exec, s[0:1]
	v_lshl_add_u64 v[0:1], v[6:7], 2, v[2:3]
	s_cbranch_vccnz .LBB25_25
; %bb.24:
	global_load_dword v2, v[0:1], off
	s_waitcnt vmcnt(0)
	v_fmac_f32_e32 v4, s16, v2
.LBB25_25:
	global_store_dword v[0:1], v4, off
.LBB25_26:
	s_endpgm
	.section	.rodata,"a",@progbits
	.p2align	6, 0x0
	.amdhsa_kernel _ZL29rocblas_internal_gemmt_kernelIiLi16ELi32ELi8ELc67ELc84ELc85ELb0ELb0EffPKfPfEviT_T9_T10_S3_lS5_S3_lS4_T11_S3_li
		.amdhsa_group_segment_fixed_size 2048
		.amdhsa_private_segment_fixed_size 0
		.amdhsa_kernarg_size 100
		.amdhsa_user_sgpr_count 2
		.amdhsa_user_sgpr_dispatch_ptr 0
		.amdhsa_user_sgpr_queue_ptr 0
		.amdhsa_user_sgpr_kernarg_segment_ptr 1
		.amdhsa_user_sgpr_dispatch_id 0
		.amdhsa_user_sgpr_kernarg_preload_length 0
		.amdhsa_user_sgpr_kernarg_preload_offset 0
		.amdhsa_user_sgpr_private_segment_size 0
		.amdhsa_uses_dynamic_stack 0
		.amdhsa_enable_private_segment 0
		.amdhsa_system_sgpr_workgroup_id_x 1
		.amdhsa_system_sgpr_workgroup_id_y 1
		.amdhsa_system_sgpr_workgroup_id_z 1
		.amdhsa_system_sgpr_workgroup_info 0
		.amdhsa_system_vgpr_workitem_id 1
		.amdhsa_next_free_vgpr 48
		.amdhsa_next_free_sgpr 24
		.amdhsa_accum_offset 48
		.amdhsa_reserve_vcc 1
		.amdhsa_float_round_mode_32 0
		.amdhsa_float_round_mode_16_64 0
		.amdhsa_float_denorm_mode_32 3
		.amdhsa_float_denorm_mode_16_64 3
		.amdhsa_dx10_clamp 1
		.amdhsa_ieee_mode 1
		.amdhsa_fp16_overflow 0
		.amdhsa_tg_split 0
		.amdhsa_exception_fp_ieee_invalid_op 0
		.amdhsa_exception_fp_denorm_src 0
		.amdhsa_exception_fp_ieee_div_zero 0
		.amdhsa_exception_fp_ieee_overflow 0
		.amdhsa_exception_fp_ieee_underflow 0
		.amdhsa_exception_fp_ieee_inexact 0
		.amdhsa_exception_int_div_zero 0
	.end_amdhsa_kernel
	.section	.text._ZL29rocblas_internal_gemmt_kernelIiLi16ELi32ELi8ELc67ELc84ELc85ELb0ELb0EffPKfPfEviT_T9_T10_S3_lS5_S3_lS4_T11_S3_li,"axG",@progbits,_ZL29rocblas_internal_gemmt_kernelIiLi16ELi32ELi8ELc67ELc84ELc85ELb0ELb0EffPKfPfEviT_T9_T10_S3_lS5_S3_lS4_T11_S3_li,comdat
.Lfunc_end25:
	.size	_ZL29rocblas_internal_gemmt_kernelIiLi16ELi32ELi8ELc67ELc84ELc85ELb0ELb0EffPKfPfEviT_T9_T10_S3_lS5_S3_lS4_T11_S3_li, .Lfunc_end25-_ZL29rocblas_internal_gemmt_kernelIiLi16ELi32ELi8ELc67ELc84ELc85ELb0ELb0EffPKfPfEviT_T9_T10_S3_lS5_S3_lS4_T11_S3_li
                                        ; -- End function
	.set _ZL29rocblas_internal_gemmt_kernelIiLi16ELi32ELi8ELc67ELc84ELc85ELb0ELb0EffPKfPfEviT_T9_T10_S3_lS5_S3_lS4_T11_S3_li.num_vgpr, 48
	.set _ZL29rocblas_internal_gemmt_kernelIiLi16ELi32ELi8ELc67ELc84ELc85ELb0ELb0EffPKfPfEviT_T9_T10_S3_lS5_S3_lS4_T11_S3_li.num_agpr, 0
	.set _ZL29rocblas_internal_gemmt_kernelIiLi16ELi32ELi8ELc67ELc84ELc85ELb0ELb0EffPKfPfEviT_T9_T10_S3_lS5_S3_lS4_T11_S3_li.numbered_sgpr, 24
	.set _ZL29rocblas_internal_gemmt_kernelIiLi16ELi32ELi8ELc67ELc84ELc85ELb0ELb0EffPKfPfEviT_T9_T10_S3_lS5_S3_lS4_T11_S3_li.num_named_barrier, 0
	.set _ZL29rocblas_internal_gemmt_kernelIiLi16ELi32ELi8ELc67ELc84ELc85ELb0ELb0EffPKfPfEviT_T9_T10_S3_lS5_S3_lS4_T11_S3_li.private_seg_size, 0
	.set _ZL29rocblas_internal_gemmt_kernelIiLi16ELi32ELi8ELc67ELc84ELc85ELb0ELb0EffPKfPfEviT_T9_T10_S3_lS5_S3_lS4_T11_S3_li.uses_vcc, 1
	.set _ZL29rocblas_internal_gemmt_kernelIiLi16ELi32ELi8ELc67ELc84ELc85ELb0ELb0EffPKfPfEviT_T9_T10_S3_lS5_S3_lS4_T11_S3_li.uses_flat_scratch, 0
	.set _ZL29rocblas_internal_gemmt_kernelIiLi16ELi32ELi8ELc67ELc84ELc85ELb0ELb0EffPKfPfEviT_T9_T10_S3_lS5_S3_lS4_T11_S3_li.has_dyn_sized_stack, 0
	.set _ZL29rocblas_internal_gemmt_kernelIiLi16ELi32ELi8ELc67ELc84ELc85ELb0ELb0EffPKfPfEviT_T9_T10_S3_lS5_S3_lS4_T11_S3_li.has_recursion, 0
	.set _ZL29rocblas_internal_gemmt_kernelIiLi16ELi32ELi8ELc67ELc84ELc85ELb0ELb0EffPKfPfEviT_T9_T10_S3_lS5_S3_lS4_T11_S3_li.has_indirect_call, 0
	.section	.AMDGPU.csdata,"",@progbits
; Kernel info:
; codeLenInByte = 1244
; TotalNumSgprs: 30
; NumVgprs: 48
; NumAgprs: 0
; TotalNumVgprs: 48
; ScratchSize: 0
; MemoryBound: 0
; FloatMode: 240
; IeeeMode: 1
; LDSByteSize: 2048 bytes/workgroup (compile time only)
; SGPRBlocks: 3
; VGPRBlocks: 5
; NumSGPRsForWavesPerEU: 30
; NumVGPRsForWavesPerEU: 48
; AccumOffset: 48
; Occupancy: 8
; WaveLimiterHint : 0
; COMPUTE_PGM_RSRC2:SCRATCH_EN: 0
; COMPUTE_PGM_RSRC2:USER_SGPR: 2
; COMPUTE_PGM_RSRC2:TRAP_HANDLER: 0
; COMPUTE_PGM_RSRC2:TGID_X_EN: 1
; COMPUTE_PGM_RSRC2:TGID_Y_EN: 1
; COMPUTE_PGM_RSRC2:TGID_Z_EN: 1
; COMPUTE_PGM_RSRC2:TIDIG_COMP_CNT: 1
; COMPUTE_PGM_RSRC3_GFX90A:ACCUM_OFFSET: 11
; COMPUTE_PGM_RSRC3_GFX90A:TG_SPLIT: 0
	.section	.text._ZL29rocblas_internal_gemmt_kernelIiLi16ELi32ELi8ELc67ELc67ELc85ELb0ELb0EffPKfPfEviT_T9_T10_S3_lS5_S3_lS4_T11_S3_li,"axG",@progbits,_ZL29rocblas_internal_gemmt_kernelIiLi16ELi32ELi8ELc67ELc67ELc85ELb0ELb0EffPKfPfEviT_T9_T10_S3_lS5_S3_lS4_T11_S3_li,comdat
	.globl	_ZL29rocblas_internal_gemmt_kernelIiLi16ELi32ELi8ELc67ELc67ELc85ELb0ELb0EffPKfPfEviT_T9_T10_S3_lS5_S3_lS4_T11_S3_li ; -- Begin function _ZL29rocblas_internal_gemmt_kernelIiLi16ELi32ELi8ELc67ELc67ELc85ELb0ELb0EffPKfPfEviT_T9_T10_S3_lS5_S3_lS4_T11_S3_li
	.p2align	8
	.type	_ZL29rocblas_internal_gemmt_kernelIiLi16ELi32ELi8ELc67ELc67ELc85ELb0ELb0EffPKfPfEviT_T9_T10_S3_lS5_S3_lS4_T11_S3_li,@function
_ZL29rocblas_internal_gemmt_kernelIiLi16ELi32ELi8ELc67ELc67ELc85ELb0ELb0EffPKfPfEviT_T9_T10_S3_lS5_S3_lS4_T11_S3_li: ; @_ZL29rocblas_internal_gemmt_kernelIiLi16ELi32ELi8ELc67ELc67ELc85ELb0ELb0EffPKfPfEviT_T9_T10_S3_lS5_S3_lS4_T11_S3_li
; %bb.0:
	s_load_dword s16, s[0:1], 0x40
	s_load_dwordx4 s[8:11], s[0:1], 0x0
	s_waitcnt lgkmcnt(0)
	v_cmp_neq_f32_e64 s[6:7], s16, 1.0
	s_and_b64 vcc, exec, s[6:7]
	s_cbranch_vccnz .LBB26_2
; %bb.1:
	s_cmp_lg_u32 s9, 0
	s_cselect_b64 s[6:7], -1, 0
	v_cmp_neq_f32_e64 s[12:13], s10, 0
	s_and_b64 s[6:7], s[6:7], s[12:13]
.LBB26_2:
	s_andn2_b64 vcc, exec, s[6:7]
	s_cbranch_vccnz .LBB26_26
; %bb.3:
	s_lshl_b32 s11, s2, 5
	s_lshl_b32 s17, s3, 5
	s_cmp_lt_i32 s9, 1
	v_cmp_eq_f32_e64 s[2:3], s10, 0
	s_cselect_b64 s[6:7], -1, 0
	v_mov_b32_e32 v3, 0
	s_or_b64 s[2:3], s[2:3], s[6:7]
	v_and_b32_e32 v8, 0x3ff, v0
	v_bfe_u32 v9, v0, 10, 10
	s_mov_b32 s5, 0
	s_and_b64 vcc, exec, s[2:3]
	v_mov_b32_e32 v2, v3
	v_mov_b32_e32 v1, v3
	;; [unrolled: 1-line block ×3, first 2 shown]
	s_cbranch_vccnz .LBB26_10
; %bb.4:
	v_lshl_add_u32 v0, v9, 4, v8
	v_lshrrev_b32_e32 v11, 5, v0
	v_lshrrev_b32_e32 v1, 3, v0
	v_and_b32_e32 v0, 31, v0
	v_or_b32_e32 v3, s11, v0
	v_and_b32_e32 v10, 7, v8
	s_load_dwordx4 s[12:15], s[0:1], 0x20
	s_load_dword s6, s[0:1], 0x30
	s_load_dwordx2 s[18:19], s[0:1], 0x10
	s_load_dword s22, s[0:1], 0x18
	s_load_dwordx2 s[20:21], s[0:1], 0x38
	v_cmp_gt_i32_e32 vcc, s8, v3
	v_lshlrev_b32_e32 v3, 2, v0
	v_lshl_or_b32 v12, v11, 7, v3
	v_lshlrev_b32_e32 v3, 2, v10
	v_add_u32_e32 v2, s17, v1
	v_lshl_or_b32 v1, v1, 5, v3
	v_add_u32_e32 v13, 0x400, v1
	v_mov_b32_e32 v1, 0x400
	v_add_u32_e32 v0, s11, v0
	v_lshl_add_u32 v15, v9, 5, v1
	s_waitcnt lgkmcnt(0)
	v_mad_i64_i32 v[0:1], s[22:23], s22, v0, 0
	s_mul_i32 s13, s13, s4
	s_mul_hi_u32 s22, s12, s4
	s_add_i32 s13, s22, s13
	s_mul_i32 s12, s12, s4
	s_lshl_b64 s[12:13], s[12:13], 2
	v_lshl_add_u64 v[4:5], v[0:1], 2, s[12:13]
	v_lshlrev_b32_e32 v0, 2, v11
	v_mov_b32_e32 v1, 0
	v_lshl_add_u64 v[4:5], v[4:5], 0, v[0:1]
	v_lshl_add_u64 v[4:5], s[18:19], 0, v[4:5]
	s_mul_i32 s12, s21, s4
	s_mul_hi_u32 s13, s20, s4
	v_mad_i64_i32 v[6:7], s[18:19], s6, v10, 0
	s_add_i32 s13, s13, s12
	s_mul_i32 s12, s20, s4
	v_lshlrev_b64 v[6:7], 2, v[6:7]
	v_ashrrev_i32_e32 v3, 31, v2
	v_lshl_add_u64 v[6:7], s[12:13], 2, v[6:7]
	s_ashr_i32 s7, s6, 31
	v_cmp_gt_i32_e64 s[2:3], s8, v2
	v_lshl_add_u64 v[2:3], v[2:3], 2, v[6:7]
	v_lshlrev_b32_e32 v14, 2, v8
	v_lshl_add_u64 v[6:7], s[14:15], 0, v[2:3]
	s_lshl_b64 s[12:13], s[6:7], 5
	v_mov_b32_e32 v0, v1
	v_mov_b32_e32 v2, v1
	;; [unrolled: 1-line block ×3, first 2 shown]
	s_branch .LBB26_6
.LBB26_5:                               ;   in Loop: Header=BB26_6 Depth=1
	s_or_b64 exec, exec, s[6:7]
	s_waitcnt vmcnt(0)
	ds_write_b32 v13, v16
	s_waitcnt lgkmcnt(0)
	s_barrier
	ds_read_b128 v[16:19], v15
	ds_read_b128 v[20:23], v15 offset:16
	ds_read2_b32 v[32:33], v14 offset1:16
	ds_read2_b32 v[34:35], v14 offset0:32 offset1:48
	ds_read2_b32 v[36:37], v14 offset0:64 offset1:80
	;; [unrolled: 1-line block ×4, first 2 shown]
	ds_read_b128 v[24:27], v15 offset:512
	ds_read_b128 v[28:31], v15 offset:528
	ds_read2_b32 v[42:43], v14 offset0:160 offset1:176
	ds_read2_b32 v[44:45], v14 offset0:192 offset1:208
	;; [unrolled: 1-line block ×3, first 2 shown]
	s_waitcnt lgkmcnt(9)
	v_pk_fma_f32 v[2:3], v[32:33], v[16:17], v[2:3] op_sel_hi:[1,0,1]
	s_waitcnt lgkmcnt(4)
	v_pk_fma_f32 v[0:1], v[32:33], v[24:25], v[0:1] op_sel_hi:[1,0,1]
	v_pk_fma_f32 v[2:3], v[34:35], v[16:17], v[2:3] op_sel:[0,1,0]
	v_mov_b32_e32 v16, v19
	v_pk_fma_f32 v[2:3], v[36:37], v[18:19], v[2:3] op_sel_hi:[1,0,1]
	v_pk_fma_f32 v[0:1], v[34:35], v[24:25], v[0:1] op_sel:[0,1,0]
	v_pk_fma_f32 v[2:3], v[38:39], v[16:17], v[2:3] op_sel_hi:[1,0,1]
	v_mov_b32_e32 v16, v23
	v_pk_fma_f32 v[2:3], v[40:41], v[20:21], v[2:3] op_sel_hi:[1,0,1]
	v_pk_fma_f32 v[0:1], v[36:37], v[26:27], v[0:1] op_sel_hi:[1,0,1]
	s_waitcnt lgkmcnt(2)
	v_pk_fma_f32 v[2:3], v[42:43], v[20:21], v[2:3] op_sel:[0,1,0]
	s_add_i32 s5, s5, 8
	s_waitcnt lgkmcnt(1)
	v_pk_fma_f32 v[2:3], v[44:45], v[22:23], v[2:3] op_sel_hi:[1,0,1]
	v_lshl_add_u64 v[4:5], v[4:5], 0, 32
	s_waitcnt lgkmcnt(0)
	v_pk_fma_f32 v[2:3], v[46:47], v[16:17], v[2:3] op_sel_hi:[1,0,1]
	v_mov_b32_e32 v16, v27
	v_pk_fma_f32 v[0:1], v[38:39], v[16:17], v[0:1] op_sel_hi:[1,0,1]
	v_mov_b32_e32 v16, v31
	v_pk_fma_f32 v[0:1], v[40:41], v[28:29], v[0:1] op_sel_hi:[1,0,1]
	s_cmp_lt_i32 s5, s9
	v_pk_fma_f32 v[0:1], v[42:43], v[28:29], v[0:1] op_sel:[0,1,0]
	v_lshl_add_u64 v[6:7], v[6:7], 0, s[12:13]
	v_pk_fma_f32 v[0:1], v[44:45], v[30:31], v[0:1] op_sel_hi:[1,0,1]
	s_nop 0
	v_pk_fma_f32 v[0:1], v[46:47], v[16:17], v[0:1] op_sel_hi:[1,0,1]
	s_barrier
	s_cbranch_scc0 .LBB26_10
.LBB26_6:                               ; =>This Inner Loop Header: Depth=1
	v_add_u32_e32 v16, s5, v11
	v_cmp_gt_i32_e64 s[6:7], s9, v16
	s_and_b64 s[14:15], vcc, s[6:7]
	v_mov_b32_e32 v16, 0
	s_and_saveexec_b64 s[6:7], s[14:15]
	s_cbranch_execz .LBB26_8
; %bb.7:                                ;   in Loop: Header=BB26_6 Depth=1
	global_load_dword v16, v[4:5], off
.LBB26_8:                               ;   in Loop: Header=BB26_6 Depth=1
	s_or_b64 exec, exec, s[6:7]
	s_waitcnt vmcnt(0)
	ds_write_b32 v12, v16
	v_add_u32_e32 v16, s5, v10
	v_cmp_gt_i32_e64 s[6:7], s9, v16
	s_and_b64 s[14:15], s[6:7], s[2:3]
	v_mov_b32_e32 v16, 0
	s_and_saveexec_b64 s[6:7], s[14:15]
	s_cbranch_execz .LBB26_5
; %bb.9:                                ;   in Loop: Header=BB26_6 Depth=1
	global_load_dword v16, v[6:7], off
	s_branch .LBB26_5
.LBB26_10:
	s_load_dwordx2 s[2:3], s[0:1], 0x58
	s_load_dwordx2 s[6:7], s[0:1], 0x48
	s_load_dword s9, s[0:1], 0x50
	v_add_u32_e32 v10, s17, v9
	v_add_u32_e32 v4, s11, v8
	s_waitcnt lgkmcnt(0)
	s_mul_i32 s1, s3, s4
	s_mul_hi_u32 s3, s2, s4
	s_mul_i32 s0, s2, s4
	s_add_i32 s1, s3, s1
	s_lshl_b64 s[0:1], s[0:1], 2
	s_add_u32 s4, s6, s0
	s_addc_u32 s5, s7, s1
	v_mad_i64_i32 v[6:7], s[0:1], v10, s9, 0
	v_cmp_neq_f32_e64 s[0:1], s16, 0
	v_cmp_gt_i32_e64 s[2:3], s8, v10
	v_lshl_add_u64 v[8:9], v[6:7], 2, s[4:5]
	v_cmp_le_i32_e32 vcc, v4, v10
	v_cndmask_b32_e64 v6, 0, 1, s[0:1]
	s_and_b64 s[12:13], s[2:3], vcc
	v_ashrrev_i32_e32 v5, 31, v4
	v_cmp_ne_u32_e64 s[0:1], 1, v6
	s_and_saveexec_b64 s[6:7], s[12:13]
	s_cbranch_execz .LBB26_14
; %bb.11:
	v_mul_f32_e32 v2, s10, v2
	s_and_b64 vcc, exec, s[0:1]
	v_lshl_add_u64 v[6:7], v[4:5], 2, v[8:9]
	s_cbranch_vccnz .LBB26_13
; %bb.12:
	global_load_dword v11, v[6:7], off
	s_waitcnt vmcnt(0)
	v_fmac_f32_e32 v2, s16, v11
.LBB26_13:
	global_store_dword v[6:7], v2, off
.LBB26_14:
	s_or_b64 exec, exec, s[6:7]
	v_add_u32_e32 v6, 16, v4
	v_cmp_le_i32_e32 vcc, v6, v10
	s_and_b64 s[6:7], s[2:3], vcc
	v_ashrrev_i32_e32 v7, 31, v6
	s_and_saveexec_b64 s[2:3], s[6:7]
	s_cbranch_execz .LBB26_18
; %bb.15:
	v_mul_f32_e32 v11, s10, v3
	s_and_b64 vcc, exec, s[0:1]
	v_lshl_add_u64 v[2:3], v[6:7], 2, v[8:9]
	s_cbranch_vccnz .LBB26_17
; %bb.16:
	global_load_dword v8, v[2:3], off
	s_waitcnt vmcnt(0)
	v_fmac_f32_e32 v11, s16, v8
.LBB26_17:
	global_store_dword v[2:3], v11, off
.LBB26_18:
	s_or_b64 exec, exec, s[2:3]
	v_add_u32_e32 v8, 16, v10
	v_cmp_gt_i32_e64 s[2:3], s8, v8
	v_mad_i64_i32 v[2:3], s[6:7], v8, s9, 0
	v_cmp_le_i32_e32 vcc, v4, v8
	v_lshl_add_u64 v[2:3], v[2:3], 2, s[4:5]
	s_and_b64 s[6:7], s[2:3], vcc
	s_and_saveexec_b64 s[4:5], s[6:7]
	s_cbranch_execz .LBB26_22
; %bb.19:
	v_mul_f32_e32 v0, s10, v0
	s_and_b64 vcc, exec, s[0:1]
	v_lshl_add_u64 v[4:5], v[4:5], 2, v[2:3]
	s_cbranch_vccnz .LBB26_21
; %bb.20:
	global_load_dword v9, v[4:5], off
	s_waitcnt vmcnt(0)
	v_fmac_f32_e32 v0, s16, v9
.LBB26_21:
	global_store_dword v[4:5], v0, off
.LBB26_22:
	s_or_b64 exec, exec, s[4:5]
	v_cmp_le_i32_e32 vcc, v6, v8
	s_and_b64 s[2:3], s[2:3], vcc
	s_and_saveexec_b64 s[4:5], s[2:3]
	s_cbranch_execz .LBB26_26
; %bb.23:
	v_mul_f32_e32 v4, s10, v1
	s_and_b64 vcc, exec, s[0:1]
	v_lshl_add_u64 v[0:1], v[6:7], 2, v[2:3]
	s_cbranch_vccnz .LBB26_25
; %bb.24:
	global_load_dword v2, v[0:1], off
	s_waitcnt vmcnt(0)
	v_fmac_f32_e32 v4, s16, v2
.LBB26_25:
	global_store_dword v[0:1], v4, off
.LBB26_26:
	s_endpgm
	.section	.rodata,"a",@progbits
	.p2align	6, 0x0
	.amdhsa_kernel _ZL29rocblas_internal_gemmt_kernelIiLi16ELi32ELi8ELc67ELc67ELc85ELb0ELb0EffPKfPfEviT_T9_T10_S3_lS5_S3_lS4_T11_S3_li
		.amdhsa_group_segment_fixed_size 2048
		.amdhsa_private_segment_fixed_size 0
		.amdhsa_kernarg_size 100
		.amdhsa_user_sgpr_count 2
		.amdhsa_user_sgpr_dispatch_ptr 0
		.amdhsa_user_sgpr_queue_ptr 0
		.amdhsa_user_sgpr_kernarg_segment_ptr 1
		.amdhsa_user_sgpr_dispatch_id 0
		.amdhsa_user_sgpr_kernarg_preload_length 0
		.amdhsa_user_sgpr_kernarg_preload_offset 0
		.amdhsa_user_sgpr_private_segment_size 0
		.amdhsa_uses_dynamic_stack 0
		.amdhsa_enable_private_segment 0
		.amdhsa_system_sgpr_workgroup_id_x 1
		.amdhsa_system_sgpr_workgroup_id_y 1
		.amdhsa_system_sgpr_workgroup_id_z 1
		.amdhsa_system_sgpr_workgroup_info 0
		.amdhsa_system_vgpr_workitem_id 1
		.amdhsa_next_free_vgpr 48
		.amdhsa_next_free_sgpr 24
		.amdhsa_accum_offset 48
		.amdhsa_reserve_vcc 1
		.amdhsa_float_round_mode_32 0
		.amdhsa_float_round_mode_16_64 0
		.amdhsa_float_denorm_mode_32 3
		.amdhsa_float_denorm_mode_16_64 3
		.amdhsa_dx10_clamp 1
		.amdhsa_ieee_mode 1
		.amdhsa_fp16_overflow 0
		.amdhsa_tg_split 0
		.amdhsa_exception_fp_ieee_invalid_op 0
		.amdhsa_exception_fp_denorm_src 0
		.amdhsa_exception_fp_ieee_div_zero 0
		.amdhsa_exception_fp_ieee_overflow 0
		.amdhsa_exception_fp_ieee_underflow 0
		.amdhsa_exception_fp_ieee_inexact 0
		.amdhsa_exception_int_div_zero 0
	.end_amdhsa_kernel
	.section	.text._ZL29rocblas_internal_gemmt_kernelIiLi16ELi32ELi8ELc67ELc67ELc85ELb0ELb0EffPKfPfEviT_T9_T10_S3_lS5_S3_lS4_T11_S3_li,"axG",@progbits,_ZL29rocblas_internal_gemmt_kernelIiLi16ELi32ELi8ELc67ELc67ELc85ELb0ELb0EffPKfPfEviT_T9_T10_S3_lS5_S3_lS4_T11_S3_li,comdat
.Lfunc_end26:
	.size	_ZL29rocblas_internal_gemmt_kernelIiLi16ELi32ELi8ELc67ELc67ELc85ELb0ELb0EffPKfPfEviT_T9_T10_S3_lS5_S3_lS4_T11_S3_li, .Lfunc_end26-_ZL29rocblas_internal_gemmt_kernelIiLi16ELi32ELi8ELc67ELc67ELc85ELb0ELb0EffPKfPfEviT_T9_T10_S3_lS5_S3_lS4_T11_S3_li
                                        ; -- End function
	.set _ZL29rocblas_internal_gemmt_kernelIiLi16ELi32ELi8ELc67ELc67ELc85ELb0ELb0EffPKfPfEviT_T9_T10_S3_lS5_S3_lS4_T11_S3_li.num_vgpr, 48
	.set _ZL29rocblas_internal_gemmt_kernelIiLi16ELi32ELi8ELc67ELc67ELc85ELb0ELb0EffPKfPfEviT_T9_T10_S3_lS5_S3_lS4_T11_S3_li.num_agpr, 0
	.set _ZL29rocblas_internal_gemmt_kernelIiLi16ELi32ELi8ELc67ELc67ELc85ELb0ELb0EffPKfPfEviT_T9_T10_S3_lS5_S3_lS4_T11_S3_li.numbered_sgpr, 24
	.set _ZL29rocblas_internal_gemmt_kernelIiLi16ELi32ELi8ELc67ELc67ELc85ELb0ELb0EffPKfPfEviT_T9_T10_S3_lS5_S3_lS4_T11_S3_li.num_named_barrier, 0
	.set _ZL29rocblas_internal_gemmt_kernelIiLi16ELi32ELi8ELc67ELc67ELc85ELb0ELb0EffPKfPfEviT_T9_T10_S3_lS5_S3_lS4_T11_S3_li.private_seg_size, 0
	.set _ZL29rocblas_internal_gemmt_kernelIiLi16ELi32ELi8ELc67ELc67ELc85ELb0ELb0EffPKfPfEviT_T9_T10_S3_lS5_S3_lS4_T11_S3_li.uses_vcc, 1
	.set _ZL29rocblas_internal_gemmt_kernelIiLi16ELi32ELi8ELc67ELc67ELc85ELb0ELb0EffPKfPfEviT_T9_T10_S3_lS5_S3_lS4_T11_S3_li.uses_flat_scratch, 0
	.set _ZL29rocblas_internal_gemmt_kernelIiLi16ELi32ELi8ELc67ELc67ELc85ELb0ELb0EffPKfPfEviT_T9_T10_S3_lS5_S3_lS4_T11_S3_li.has_dyn_sized_stack, 0
	.set _ZL29rocblas_internal_gemmt_kernelIiLi16ELi32ELi8ELc67ELc67ELc85ELb0ELb0EffPKfPfEviT_T9_T10_S3_lS5_S3_lS4_T11_S3_li.has_recursion, 0
	.set _ZL29rocblas_internal_gemmt_kernelIiLi16ELi32ELi8ELc67ELc67ELc85ELb0ELb0EffPKfPfEviT_T9_T10_S3_lS5_S3_lS4_T11_S3_li.has_indirect_call, 0
	.section	.AMDGPU.csdata,"",@progbits
; Kernel info:
; codeLenInByte = 1244
; TotalNumSgprs: 30
; NumVgprs: 48
; NumAgprs: 0
; TotalNumVgprs: 48
; ScratchSize: 0
; MemoryBound: 0
; FloatMode: 240
; IeeeMode: 1
; LDSByteSize: 2048 bytes/workgroup (compile time only)
; SGPRBlocks: 3
; VGPRBlocks: 5
; NumSGPRsForWavesPerEU: 30
; NumVGPRsForWavesPerEU: 48
; AccumOffset: 48
; Occupancy: 8
; WaveLimiterHint : 0
; COMPUTE_PGM_RSRC2:SCRATCH_EN: 0
; COMPUTE_PGM_RSRC2:USER_SGPR: 2
; COMPUTE_PGM_RSRC2:TRAP_HANDLER: 0
; COMPUTE_PGM_RSRC2:TGID_X_EN: 1
; COMPUTE_PGM_RSRC2:TGID_Y_EN: 1
; COMPUTE_PGM_RSRC2:TGID_Z_EN: 1
; COMPUTE_PGM_RSRC2:TIDIG_COMP_CNT: 1
; COMPUTE_PGM_RSRC3_GFX90A:ACCUM_OFFSET: 11
; COMPUTE_PGM_RSRC3_GFX90A:TG_SPLIT: 0
	.section	.text._ZL29rocblas_internal_gemmt_kernelIiLi16ELi32ELi8ELc78ELc78ELc76ELb0ELb0EffPKfPfEviT_T9_T10_S3_lS5_S3_lS4_T11_S3_li,"axG",@progbits,_ZL29rocblas_internal_gemmt_kernelIiLi16ELi32ELi8ELc78ELc78ELc76ELb0ELb0EffPKfPfEviT_T9_T10_S3_lS5_S3_lS4_T11_S3_li,comdat
	.globl	_ZL29rocblas_internal_gemmt_kernelIiLi16ELi32ELi8ELc78ELc78ELc76ELb0ELb0EffPKfPfEviT_T9_T10_S3_lS5_S3_lS4_T11_S3_li ; -- Begin function _ZL29rocblas_internal_gemmt_kernelIiLi16ELi32ELi8ELc78ELc78ELc76ELb0ELb0EffPKfPfEviT_T9_T10_S3_lS5_S3_lS4_T11_S3_li
	.p2align	8
	.type	_ZL29rocblas_internal_gemmt_kernelIiLi16ELi32ELi8ELc78ELc78ELc76ELb0ELb0EffPKfPfEviT_T9_T10_S3_lS5_S3_lS4_T11_S3_li,@function
_ZL29rocblas_internal_gemmt_kernelIiLi16ELi32ELi8ELc78ELc78ELc76ELb0ELb0EffPKfPfEviT_T9_T10_S3_lS5_S3_lS4_T11_S3_li: ; @_ZL29rocblas_internal_gemmt_kernelIiLi16ELi32ELi8ELc78ELc78ELc76ELb0ELb0EffPKfPfEviT_T9_T10_S3_lS5_S3_lS4_T11_S3_li
; %bb.0:
	s_load_dword s16, s[0:1], 0x40
	s_load_dwordx4 s[8:11], s[0:1], 0x0
	s_waitcnt lgkmcnt(0)
	v_cmp_neq_f32_e64 s[6:7], s16, 1.0
	s_and_b64 vcc, exec, s[6:7]
	s_cbranch_vccnz .LBB27_2
; %bb.1:
	s_cmp_lg_u32 s9, 0
	s_cselect_b64 s[6:7], -1, 0
	v_cmp_neq_f32_e64 s[12:13], s10, 0
	s_and_b64 s[6:7], s[6:7], s[12:13]
.LBB27_2:
	s_andn2_b64 vcc, exec, s[6:7]
	s_cbranch_vccnz .LBB27_26
; %bb.3:
	s_lshl_b32 s5, s2, 5
	s_lshl_b32 s11, s3, 5
	s_cmp_lt_i32 s9, 1
	v_cmp_eq_f32_e64 s[2:3], s10, 0
	s_cselect_b64 s[6:7], -1, 0
	v_mov_b32_e32 v3, 0
	s_or_b64 s[2:3], s[2:3], s[6:7]
	v_and_b32_e32 v8, 0x3ff, v0
	v_bfe_u32 v9, v0, 10, 10
	s_mov_b32 s17, 0
	s_and_b64 vcc, exec, s[2:3]
	v_mov_b32_e32 v2, v3
	v_mov_b32_e32 v1, v3
	v_mov_b32_e32 v0, v3
	s_cbranch_vccnz .LBB27_10
; %bb.4:
	s_load_dwordx2 s[6:7], s[0:1], 0x10
	s_load_dword s18, s[0:1], 0x18
	v_lshl_add_u32 v0, v9, 4, v8
	s_load_dwordx4 s[12:15], s[0:1], 0x20
	s_load_dword s24, s[0:1], 0x30
	s_load_dwordx2 s[20:21], s[0:1], 0x38
	v_lshrrev_b32_e32 v11, 5, v0
	v_and_b32_e32 v4, 31, v0
	s_waitcnt lgkmcnt(0)
	v_mad_i64_i32 v[2:3], s[22:23], v11, s18, 0
	s_mul_i32 s13, s13, s4
	s_mul_hi_u32 s22, s12, s4
	v_lshrrev_b32_e32 v1, 3, v0
	v_or_b32_e32 v0, s5, v4
	s_add_i32 s13, s22, s13
	s_mul_i32 s12, s12, s4
	v_cmp_gt_i32_e32 vcc, s8, v0
	v_lshlrev_b32_e32 v0, 2, v4
	s_lshl_b64 s[12:13], s[12:13], 2
	v_add_u32_e32 v4, s5, v4
	v_lshl_add_u64 v[2:3], v[2:3], 2, s[12:13]
	v_ashrrev_i32_e32 v5, 31, v4
	v_add_u32_e32 v6, s11, v1
	v_lshl_add_u64 v[2:3], v[4:5], 2, v[2:3]
	v_and_b32_e32 v10, 7, v8
	v_lshl_add_u64 v[4:5], s[6:7], 0, v[2:3]
	v_mad_i64_i32 v[2:3], s[6:7], s24, v6, 0
	v_lshl_or_b32 v12, v11, 7, v0
	v_lshlrev_b32_e32 v0, 2, v10
	s_mul_i32 s6, s21, s4
	s_mul_hi_u32 s7, s20, s4
	v_lshl_or_b32 v1, v1, 5, v0
	s_add_i32 s7, s7, s6
	s_mul_i32 s6, s20, s4
	v_add_u32_e32 v13, 0x400, v1
	v_mov_b32_e32 v1, 0x400
	s_lshl_b64 s[6:7], s[6:7], 2
	v_lshl_add_u32 v15, v9, 5, v1
	v_lshl_add_u64 v[2:3], v[2:3], 2, s[6:7]
	v_mov_b32_e32 v1, 0
	s_ashr_i32 s19, s18, 31
	v_lshl_add_u64 v[2:3], v[2:3], 0, v[0:1]
	v_cmp_gt_i32_e64 s[2:3], s8, v6
	v_lshlrev_b32_e32 v14, 2, v8
	s_lshl_b64 s[12:13], s[18:19], 5
	v_lshl_add_u64 v[6:7], s[14:15], 0, v[2:3]
	v_mov_b32_e32 v0, v1
	v_mov_b32_e32 v2, v1
	;; [unrolled: 1-line block ×3, first 2 shown]
	s_branch .LBB27_6
.LBB27_5:                               ;   in Loop: Header=BB27_6 Depth=1
	s_or_b64 exec, exec, s[6:7]
	s_waitcnt vmcnt(0)
	ds_write_b32 v13, v16
	s_waitcnt lgkmcnt(0)
	s_barrier
	ds_read_b128 v[16:19], v15
	ds_read_b128 v[20:23], v15 offset:16
	ds_read2_b32 v[32:33], v14 offset1:16
	ds_read2_b32 v[34:35], v14 offset0:32 offset1:48
	ds_read2_b32 v[36:37], v14 offset0:64 offset1:80
	;; [unrolled: 1-line block ×4, first 2 shown]
	ds_read_b128 v[24:27], v15 offset:512
	ds_read_b128 v[28:31], v15 offset:528
	ds_read2_b32 v[42:43], v14 offset0:160 offset1:176
	ds_read2_b32 v[44:45], v14 offset0:192 offset1:208
	;; [unrolled: 1-line block ×3, first 2 shown]
	s_waitcnt lgkmcnt(9)
	v_pk_fma_f32 v[2:3], v[32:33], v[16:17], v[2:3] op_sel_hi:[1,0,1]
	s_waitcnt lgkmcnt(4)
	v_pk_fma_f32 v[0:1], v[32:33], v[24:25], v[0:1] op_sel_hi:[1,0,1]
	v_pk_fma_f32 v[2:3], v[34:35], v[16:17], v[2:3] op_sel:[0,1,0]
	v_mov_b32_e32 v16, v19
	v_pk_fma_f32 v[2:3], v[36:37], v[18:19], v[2:3] op_sel_hi:[1,0,1]
	v_pk_fma_f32 v[0:1], v[34:35], v[24:25], v[0:1] op_sel:[0,1,0]
	v_pk_fma_f32 v[2:3], v[38:39], v[16:17], v[2:3] op_sel_hi:[1,0,1]
	v_mov_b32_e32 v16, v23
	v_pk_fma_f32 v[2:3], v[40:41], v[20:21], v[2:3] op_sel_hi:[1,0,1]
	v_pk_fma_f32 v[0:1], v[36:37], v[26:27], v[0:1] op_sel_hi:[1,0,1]
	s_waitcnt lgkmcnt(2)
	v_pk_fma_f32 v[2:3], v[42:43], v[20:21], v[2:3] op_sel:[0,1,0]
	s_add_i32 s17, s17, 8
	s_waitcnt lgkmcnt(1)
	v_pk_fma_f32 v[2:3], v[44:45], v[22:23], v[2:3] op_sel_hi:[1,0,1]
	v_lshl_add_u64 v[4:5], v[4:5], 0, s[12:13]
	s_waitcnt lgkmcnt(0)
	v_pk_fma_f32 v[2:3], v[46:47], v[16:17], v[2:3] op_sel_hi:[1,0,1]
	v_mov_b32_e32 v16, v27
	v_pk_fma_f32 v[0:1], v[38:39], v[16:17], v[0:1] op_sel_hi:[1,0,1]
	v_mov_b32_e32 v16, v31
	v_pk_fma_f32 v[0:1], v[40:41], v[28:29], v[0:1] op_sel_hi:[1,0,1]
	s_cmp_lt_i32 s17, s9
	v_pk_fma_f32 v[0:1], v[42:43], v[28:29], v[0:1] op_sel:[0,1,0]
	v_lshl_add_u64 v[6:7], v[6:7], 0, 32
	v_pk_fma_f32 v[0:1], v[44:45], v[30:31], v[0:1] op_sel_hi:[1,0,1]
	s_nop 0
	v_pk_fma_f32 v[0:1], v[46:47], v[16:17], v[0:1] op_sel_hi:[1,0,1]
	s_barrier
	s_cbranch_scc0 .LBB27_10
.LBB27_6:                               ; =>This Inner Loop Header: Depth=1
	v_add_u32_e32 v16, s17, v11
	v_cmp_gt_i32_e64 s[6:7], s9, v16
	s_and_b64 s[14:15], vcc, s[6:7]
	v_mov_b32_e32 v16, 0
	s_and_saveexec_b64 s[6:7], s[14:15]
	s_cbranch_execz .LBB27_8
; %bb.7:                                ;   in Loop: Header=BB27_6 Depth=1
	global_load_dword v16, v[4:5], off
.LBB27_8:                               ;   in Loop: Header=BB27_6 Depth=1
	s_or_b64 exec, exec, s[6:7]
	s_waitcnt vmcnt(0)
	ds_write_b32 v12, v16
	v_add_u32_e32 v16, s17, v10
	v_cmp_gt_i32_e64 s[6:7], s9, v16
	s_and_b64 s[14:15], s[6:7], s[2:3]
	v_mov_b32_e32 v16, 0
	s_and_saveexec_b64 s[6:7], s[14:15]
	s_cbranch_execz .LBB27_5
; %bb.9:                                ;   in Loop: Header=BB27_6 Depth=1
	global_load_dword v16, v[6:7], off
	s_branch .LBB27_5
.LBB27_10:
	s_load_dwordx2 s[2:3], s[0:1], 0x58
	s_load_dwordx2 s[6:7], s[0:1], 0x48
	s_load_dword s12, s[0:1], 0x50
	v_add_u32_e32 v10, s11, v9
	v_add_u32_e32 v4, s5, v8
	s_waitcnt lgkmcnt(0)
	s_mul_i32 s1, s3, s4
	s_mul_hi_u32 s3, s2, s4
	s_mul_i32 s0, s2, s4
	s_add_i32 s1, s3, s1
	s_lshl_b64 s[0:1], s[0:1], 2
	s_add_u32 s6, s6, s0
	s_addc_u32 s7, s7, s1
	v_mad_i64_i32 v[6:7], s[0:1], v10, s12, 0
	v_cmp_neq_f32_e64 s[0:1], s16, 0
	v_lshl_add_u64 v[8:9], v[6:7], 2, s[6:7]
	v_cmp_le_i32_e32 vcc, v10, v4
	v_cmp_gt_i32_e64 s[2:3], s8, v4
	v_cndmask_b32_e64 v6, 0, 1, s[0:1]
	s_and_b64 s[14:15], vcc, s[2:3]
	v_ashrrev_i32_e32 v5, 31, v4
	v_cmp_ne_u32_e64 s[0:1], 1, v6
	s_and_saveexec_b64 s[4:5], s[14:15]
	s_cbranch_execz .LBB27_14
; %bb.11:
	v_mul_f32_e32 v2, s10, v2
	s_and_b64 vcc, exec, s[0:1]
	v_lshl_add_u64 v[6:7], v[4:5], 2, v[8:9]
	s_cbranch_vccnz .LBB27_13
; %bb.12:
	global_load_dword v11, v[6:7], off
	s_waitcnt vmcnt(0)
	v_fmac_f32_e32 v2, s16, v11
.LBB27_13:
	global_store_dword v[6:7], v2, off
.LBB27_14:
	s_or_b64 exec, exec, s[4:5]
	v_add_u32_e32 v6, 16, v4
	v_cmp_le_i32_e32 vcc, v10, v6
	v_cmp_gt_i32_e64 s[4:5], s8, v6
	s_and_b64 s[14:15], vcc, s[4:5]
	v_ashrrev_i32_e32 v7, 31, v6
	s_and_saveexec_b64 s[8:9], s[14:15]
	s_cbranch_execz .LBB27_18
; %bb.15:
	v_mul_f32_e32 v11, s10, v3
	s_and_b64 vcc, exec, s[0:1]
	v_lshl_add_u64 v[2:3], v[6:7], 2, v[8:9]
	s_cbranch_vccnz .LBB27_17
; %bb.16:
	global_load_dword v8, v[2:3], off
	s_waitcnt vmcnt(0)
	v_fmac_f32_e32 v11, s16, v8
.LBB27_17:
	global_store_dword v[2:3], v11, off
.LBB27_18:
	s_or_b64 exec, exec, s[8:9]
	v_add_u32_e32 v8, 16, v10
	v_mad_i64_i32 v[2:3], s[8:9], v8, s12, 0
	v_cmp_le_i32_e32 vcc, v8, v4
	v_lshl_add_u64 v[2:3], v[2:3], 2, s[6:7]
	s_and_b64 s[6:7], vcc, s[2:3]
	s_and_saveexec_b64 s[2:3], s[6:7]
	s_cbranch_execz .LBB27_22
; %bb.19:
	v_mul_f32_e32 v0, s10, v0
	s_and_b64 vcc, exec, s[0:1]
	v_lshl_add_u64 v[4:5], v[4:5], 2, v[2:3]
	s_cbranch_vccnz .LBB27_21
; %bb.20:
	global_load_dword v9, v[4:5], off
	s_waitcnt vmcnt(0)
	v_fmac_f32_e32 v0, s16, v9
.LBB27_21:
	global_store_dword v[4:5], v0, off
.LBB27_22:
	s_or_b64 exec, exec, s[2:3]
	v_cmp_le_i32_e32 vcc, v8, v6
	s_and_b64 s[2:3], vcc, s[4:5]
	s_and_saveexec_b64 s[4:5], s[2:3]
	s_cbranch_execz .LBB27_26
; %bb.23:
	v_mul_f32_e32 v4, s10, v1
	s_and_b64 vcc, exec, s[0:1]
	v_lshl_add_u64 v[0:1], v[6:7], 2, v[2:3]
	s_cbranch_vccnz .LBB27_25
; %bb.24:
	global_load_dword v2, v[0:1], off
	s_waitcnt vmcnt(0)
	v_fmac_f32_e32 v4, s16, v2
.LBB27_25:
	global_store_dword v[0:1], v4, off
.LBB27_26:
	s_endpgm
	.section	.rodata,"a",@progbits
	.p2align	6, 0x0
	.amdhsa_kernel _ZL29rocblas_internal_gemmt_kernelIiLi16ELi32ELi8ELc78ELc78ELc76ELb0ELb0EffPKfPfEviT_T9_T10_S3_lS5_S3_lS4_T11_S3_li
		.amdhsa_group_segment_fixed_size 2048
		.amdhsa_private_segment_fixed_size 0
		.amdhsa_kernarg_size 100
		.amdhsa_user_sgpr_count 2
		.amdhsa_user_sgpr_dispatch_ptr 0
		.amdhsa_user_sgpr_queue_ptr 0
		.amdhsa_user_sgpr_kernarg_segment_ptr 1
		.amdhsa_user_sgpr_dispatch_id 0
		.amdhsa_user_sgpr_kernarg_preload_length 0
		.amdhsa_user_sgpr_kernarg_preload_offset 0
		.amdhsa_user_sgpr_private_segment_size 0
		.amdhsa_uses_dynamic_stack 0
		.amdhsa_enable_private_segment 0
		.amdhsa_system_sgpr_workgroup_id_x 1
		.amdhsa_system_sgpr_workgroup_id_y 1
		.amdhsa_system_sgpr_workgroup_id_z 1
		.amdhsa_system_sgpr_workgroup_info 0
		.amdhsa_system_vgpr_workitem_id 1
		.amdhsa_next_free_vgpr 48
		.amdhsa_next_free_sgpr 25
		.amdhsa_accum_offset 48
		.amdhsa_reserve_vcc 1
		.amdhsa_float_round_mode_32 0
		.amdhsa_float_round_mode_16_64 0
		.amdhsa_float_denorm_mode_32 3
		.amdhsa_float_denorm_mode_16_64 3
		.amdhsa_dx10_clamp 1
		.amdhsa_ieee_mode 1
		.amdhsa_fp16_overflow 0
		.amdhsa_tg_split 0
		.amdhsa_exception_fp_ieee_invalid_op 0
		.amdhsa_exception_fp_denorm_src 0
		.amdhsa_exception_fp_ieee_div_zero 0
		.amdhsa_exception_fp_ieee_overflow 0
		.amdhsa_exception_fp_ieee_underflow 0
		.amdhsa_exception_fp_ieee_inexact 0
		.amdhsa_exception_int_div_zero 0
	.end_amdhsa_kernel
	.section	.text._ZL29rocblas_internal_gemmt_kernelIiLi16ELi32ELi8ELc78ELc78ELc76ELb0ELb0EffPKfPfEviT_T9_T10_S3_lS5_S3_lS4_T11_S3_li,"axG",@progbits,_ZL29rocblas_internal_gemmt_kernelIiLi16ELi32ELi8ELc78ELc78ELc76ELb0ELb0EffPKfPfEviT_T9_T10_S3_lS5_S3_lS4_T11_S3_li,comdat
.Lfunc_end27:
	.size	_ZL29rocblas_internal_gemmt_kernelIiLi16ELi32ELi8ELc78ELc78ELc76ELb0ELb0EffPKfPfEviT_T9_T10_S3_lS5_S3_lS4_T11_S3_li, .Lfunc_end27-_ZL29rocblas_internal_gemmt_kernelIiLi16ELi32ELi8ELc78ELc78ELc76ELb0ELb0EffPKfPfEviT_T9_T10_S3_lS5_S3_lS4_T11_S3_li
                                        ; -- End function
	.set _ZL29rocblas_internal_gemmt_kernelIiLi16ELi32ELi8ELc78ELc78ELc76ELb0ELb0EffPKfPfEviT_T9_T10_S3_lS5_S3_lS4_T11_S3_li.num_vgpr, 48
	.set _ZL29rocblas_internal_gemmt_kernelIiLi16ELi32ELi8ELc78ELc78ELc76ELb0ELb0EffPKfPfEviT_T9_T10_S3_lS5_S3_lS4_T11_S3_li.num_agpr, 0
	.set _ZL29rocblas_internal_gemmt_kernelIiLi16ELi32ELi8ELc78ELc78ELc76ELb0ELb0EffPKfPfEviT_T9_T10_S3_lS5_S3_lS4_T11_S3_li.numbered_sgpr, 25
	.set _ZL29rocblas_internal_gemmt_kernelIiLi16ELi32ELi8ELc78ELc78ELc76ELb0ELb0EffPKfPfEviT_T9_T10_S3_lS5_S3_lS4_T11_S3_li.num_named_barrier, 0
	.set _ZL29rocblas_internal_gemmt_kernelIiLi16ELi32ELi8ELc78ELc78ELc76ELb0ELb0EffPKfPfEviT_T9_T10_S3_lS5_S3_lS4_T11_S3_li.private_seg_size, 0
	.set _ZL29rocblas_internal_gemmt_kernelIiLi16ELi32ELi8ELc78ELc78ELc76ELb0ELb0EffPKfPfEviT_T9_T10_S3_lS5_S3_lS4_T11_S3_li.uses_vcc, 1
	.set _ZL29rocblas_internal_gemmt_kernelIiLi16ELi32ELi8ELc78ELc78ELc76ELb0ELb0EffPKfPfEviT_T9_T10_S3_lS5_S3_lS4_T11_S3_li.uses_flat_scratch, 0
	.set _ZL29rocblas_internal_gemmt_kernelIiLi16ELi32ELi8ELc78ELc78ELc76ELb0ELb0EffPKfPfEviT_T9_T10_S3_lS5_S3_lS4_T11_S3_li.has_dyn_sized_stack, 0
	.set _ZL29rocblas_internal_gemmt_kernelIiLi16ELi32ELi8ELc78ELc78ELc76ELb0ELb0EffPKfPfEviT_T9_T10_S3_lS5_S3_lS4_T11_S3_li.has_recursion, 0
	.set _ZL29rocblas_internal_gemmt_kernelIiLi16ELi32ELi8ELc78ELc78ELc76ELb0ELb0EffPKfPfEviT_T9_T10_S3_lS5_S3_lS4_T11_S3_li.has_indirect_call, 0
	.section	.AMDGPU.csdata,"",@progbits
; Kernel info:
; codeLenInByte = 1236
; TotalNumSgprs: 31
; NumVgprs: 48
; NumAgprs: 0
; TotalNumVgprs: 48
; ScratchSize: 0
; MemoryBound: 0
; FloatMode: 240
; IeeeMode: 1
; LDSByteSize: 2048 bytes/workgroup (compile time only)
; SGPRBlocks: 3
; VGPRBlocks: 5
; NumSGPRsForWavesPerEU: 31
; NumVGPRsForWavesPerEU: 48
; AccumOffset: 48
; Occupancy: 8
; WaveLimiterHint : 0
; COMPUTE_PGM_RSRC2:SCRATCH_EN: 0
; COMPUTE_PGM_RSRC2:USER_SGPR: 2
; COMPUTE_PGM_RSRC2:TRAP_HANDLER: 0
; COMPUTE_PGM_RSRC2:TGID_X_EN: 1
; COMPUTE_PGM_RSRC2:TGID_Y_EN: 1
; COMPUTE_PGM_RSRC2:TGID_Z_EN: 1
; COMPUTE_PGM_RSRC2:TIDIG_COMP_CNT: 1
; COMPUTE_PGM_RSRC3_GFX90A:ACCUM_OFFSET: 11
; COMPUTE_PGM_RSRC3_GFX90A:TG_SPLIT: 0
	.section	.text._ZL29rocblas_internal_gemmt_kernelIiLi16ELi32ELi8ELc78ELc84ELc76ELb0ELb0EffPKfPfEviT_T9_T10_S3_lS5_S3_lS4_T11_S3_li,"axG",@progbits,_ZL29rocblas_internal_gemmt_kernelIiLi16ELi32ELi8ELc78ELc84ELc76ELb0ELb0EffPKfPfEviT_T9_T10_S3_lS5_S3_lS4_T11_S3_li,comdat
	.globl	_ZL29rocblas_internal_gemmt_kernelIiLi16ELi32ELi8ELc78ELc84ELc76ELb0ELb0EffPKfPfEviT_T9_T10_S3_lS5_S3_lS4_T11_S3_li ; -- Begin function _ZL29rocblas_internal_gemmt_kernelIiLi16ELi32ELi8ELc78ELc84ELc76ELb0ELb0EffPKfPfEviT_T9_T10_S3_lS5_S3_lS4_T11_S3_li
	.p2align	8
	.type	_ZL29rocblas_internal_gemmt_kernelIiLi16ELi32ELi8ELc78ELc84ELc76ELb0ELb0EffPKfPfEviT_T9_T10_S3_lS5_S3_lS4_T11_S3_li,@function
_ZL29rocblas_internal_gemmt_kernelIiLi16ELi32ELi8ELc78ELc84ELc76ELb0ELb0EffPKfPfEviT_T9_T10_S3_lS5_S3_lS4_T11_S3_li: ; @_ZL29rocblas_internal_gemmt_kernelIiLi16ELi32ELi8ELc78ELc84ELc76ELb0ELb0EffPKfPfEviT_T9_T10_S3_lS5_S3_lS4_T11_S3_li
; %bb.0:
	s_load_dword s16, s[0:1], 0x40
	s_load_dwordx4 s[8:11], s[0:1], 0x0
	s_waitcnt lgkmcnt(0)
	v_cmp_neq_f32_e64 s[6:7], s16, 1.0
	s_and_b64 vcc, exec, s[6:7]
	s_cbranch_vccnz .LBB28_2
; %bb.1:
	s_cmp_lg_u32 s9, 0
	s_cselect_b64 s[6:7], -1, 0
	v_cmp_neq_f32_e64 s[12:13], s10, 0
	s_and_b64 s[6:7], s[6:7], s[12:13]
.LBB28_2:
	s_andn2_b64 vcc, exec, s[6:7]
	s_cbranch_vccnz .LBB28_26
; %bb.3:
	s_lshl_b32 s5, s2, 5
	s_lshl_b32 s11, s3, 5
	s_cmp_lt_i32 s9, 1
	v_cmp_eq_f32_e64 s[2:3], s10, 0
	s_cselect_b64 s[6:7], -1, 0
	v_mov_b32_e32 v3, 0
	s_or_b64 s[2:3], s[2:3], s[6:7]
	v_and_b32_e32 v8, 0x3ff, v0
	v_bfe_u32 v9, v0, 10, 10
	s_mov_b32 s17, 0
	s_and_b64 vcc, exec, s[2:3]
	v_mov_b32_e32 v2, v3
	v_mov_b32_e32 v1, v3
	;; [unrolled: 1-line block ×3, first 2 shown]
	s_cbranch_vccnz .LBB28_10
; %bb.4:
	v_lshl_add_u32 v1, v9, 4, v8
	v_and_b32_e32 v4, 31, v1
	v_lshrrev_b32_e32 v11, 5, v1
	v_lshrrev_b32_e32 v2, 3, v1
	v_or_b32_e32 v1, s5, v4
	s_load_dwordx2 s[6:7], s[0:1], 0x10
	s_load_dword s18, s[0:1], 0x18
	s_load_dwordx4 s[12:15], s[0:1], 0x20
	s_load_dword s20, s[0:1], 0x30
	v_and_b32_e32 v10, 7, v8
	v_cmp_gt_i32_e32 vcc, s8, v1
	v_lshlrev_b32_e32 v1, 2, v4
	v_lshl_or_b32 v12, v11, 7, v1
	v_lshlrev_b32_e32 v1, 2, v10
	v_add_u32_e32 v0, s11, v2
	v_lshl_or_b32 v1, v2, 5, v1
	v_mov_b32_e32 v2, 0x400
	v_lshl_add_u32 v15, v9, 5, v2
	s_waitcnt lgkmcnt(0)
	v_mad_i64_i32 v[2:3], s[24:25], v11, s18, 0
	s_load_dwordx2 s[22:23], s[0:1], 0x38
	s_mul_i32 s13, s13, s4
	s_mul_hi_u32 s24, s12, s4
	s_add_i32 s13, s24, s13
	s_mul_i32 s12, s12, s4
	s_lshl_b64 s[12:13], s[12:13], 2
	v_add_u32_e32 v4, s5, v4
	v_lshl_add_u64 v[2:3], v[2:3], 2, s[12:13]
	v_ashrrev_i32_e32 v5, 31, v4
	s_ashr_i32 s19, s18, 31
	v_lshl_add_u64 v[2:3], v[4:5], 2, v[2:3]
	v_lshl_add_u64 v[4:5], s[6:7], 0, v[2:3]
	s_lshl_b64 s[12:13], s[18:19], 5
	s_waitcnt lgkmcnt(0)
	s_mul_i32 s6, s23, s4
	s_mul_hi_u32 s7, s22, s4
	v_mad_i64_i32 v[2:3], s[18:19], s20, v10, 0
	s_add_i32 s7, s7, s6
	s_mul_i32 s6, s22, s4
	v_lshlrev_b64 v[2:3], 2, v[2:3]
	v_add_u32_e32 v13, 0x400, v1
	v_ashrrev_i32_e32 v1, 31, v0
	v_lshl_add_u64 v[2:3], s[6:7], 2, v[2:3]
	v_cmp_gt_i32_e64 s[2:3], s8, v0
	v_lshl_add_u64 v[0:1], v[0:1], 2, v[2:3]
	s_ashr_i32 s21, s20, 31
	v_lshl_add_u64 v[6:7], s[14:15], 0, v[0:1]
	v_mov_b32_e32 v0, 0
	v_lshlrev_b32_e32 v14, 2, v8
	s_lshl_b64 s[14:15], s[20:21], 5
	v_mov_b32_e32 v1, v0
	v_mov_b32_e32 v2, v0
	v_mov_b32_e32 v3, v0
	s_branch .LBB28_6
.LBB28_5:                               ;   in Loop: Header=BB28_6 Depth=1
	s_or_b64 exec, exec, s[6:7]
	s_waitcnt vmcnt(0)
	ds_write_b32 v13, v16
	s_waitcnt lgkmcnt(0)
	s_barrier
	ds_read_b128 v[16:19], v15
	ds_read_b128 v[20:23], v15 offset:16
	ds_read2_b32 v[32:33], v14 offset1:16
	ds_read2_b32 v[34:35], v14 offset0:32 offset1:48
	ds_read2_b32 v[36:37], v14 offset0:64 offset1:80
	;; [unrolled: 1-line block ×4, first 2 shown]
	ds_read_b128 v[24:27], v15 offset:512
	ds_read_b128 v[28:31], v15 offset:528
	ds_read2_b32 v[42:43], v14 offset0:160 offset1:176
	ds_read2_b32 v[44:45], v14 offset0:192 offset1:208
	;; [unrolled: 1-line block ×3, first 2 shown]
	s_waitcnt lgkmcnt(9)
	v_pk_fma_f32 v[2:3], v[32:33], v[16:17], v[2:3] op_sel_hi:[1,0,1]
	s_waitcnt lgkmcnt(4)
	v_pk_fma_f32 v[0:1], v[32:33], v[24:25], v[0:1] op_sel_hi:[1,0,1]
	v_pk_fma_f32 v[2:3], v[34:35], v[16:17], v[2:3] op_sel:[0,1,0]
	v_mov_b32_e32 v16, v19
	v_pk_fma_f32 v[2:3], v[36:37], v[18:19], v[2:3] op_sel_hi:[1,0,1]
	v_pk_fma_f32 v[0:1], v[34:35], v[24:25], v[0:1] op_sel:[0,1,0]
	v_pk_fma_f32 v[2:3], v[38:39], v[16:17], v[2:3] op_sel_hi:[1,0,1]
	v_mov_b32_e32 v16, v23
	v_pk_fma_f32 v[2:3], v[40:41], v[20:21], v[2:3] op_sel_hi:[1,0,1]
	v_pk_fma_f32 v[0:1], v[36:37], v[26:27], v[0:1] op_sel_hi:[1,0,1]
	s_waitcnt lgkmcnt(2)
	v_pk_fma_f32 v[2:3], v[42:43], v[20:21], v[2:3] op_sel:[0,1,0]
	s_add_i32 s17, s17, 8
	s_waitcnt lgkmcnt(1)
	v_pk_fma_f32 v[2:3], v[44:45], v[22:23], v[2:3] op_sel_hi:[1,0,1]
	v_lshl_add_u64 v[4:5], v[4:5], 0, s[12:13]
	s_waitcnt lgkmcnt(0)
	v_pk_fma_f32 v[2:3], v[46:47], v[16:17], v[2:3] op_sel_hi:[1,0,1]
	v_mov_b32_e32 v16, v27
	v_pk_fma_f32 v[0:1], v[38:39], v[16:17], v[0:1] op_sel_hi:[1,0,1]
	v_mov_b32_e32 v16, v31
	v_pk_fma_f32 v[0:1], v[40:41], v[28:29], v[0:1] op_sel_hi:[1,0,1]
	s_cmp_lt_i32 s17, s9
	v_pk_fma_f32 v[0:1], v[42:43], v[28:29], v[0:1] op_sel:[0,1,0]
	v_lshl_add_u64 v[6:7], v[6:7], 0, s[14:15]
	v_pk_fma_f32 v[0:1], v[44:45], v[30:31], v[0:1] op_sel_hi:[1,0,1]
	s_nop 0
	v_pk_fma_f32 v[0:1], v[46:47], v[16:17], v[0:1] op_sel_hi:[1,0,1]
	s_barrier
	s_cbranch_scc0 .LBB28_10
.LBB28_6:                               ; =>This Inner Loop Header: Depth=1
	v_add_u32_e32 v16, s17, v11
	v_cmp_gt_i32_e64 s[6:7], s9, v16
	s_and_b64 s[18:19], vcc, s[6:7]
	v_mov_b32_e32 v16, 0
	s_and_saveexec_b64 s[6:7], s[18:19]
	s_cbranch_execz .LBB28_8
; %bb.7:                                ;   in Loop: Header=BB28_6 Depth=1
	global_load_dword v16, v[4:5], off
.LBB28_8:                               ;   in Loop: Header=BB28_6 Depth=1
	s_or_b64 exec, exec, s[6:7]
	s_waitcnt vmcnt(0)
	ds_write_b32 v12, v16
	v_add_u32_e32 v16, s17, v10
	v_cmp_gt_i32_e64 s[6:7], s9, v16
	s_and_b64 s[18:19], s[6:7], s[2:3]
	v_mov_b32_e32 v16, 0
	s_and_saveexec_b64 s[6:7], s[18:19]
	s_cbranch_execz .LBB28_5
; %bb.9:                                ;   in Loop: Header=BB28_6 Depth=1
	global_load_dword v16, v[6:7], off
	s_branch .LBB28_5
.LBB28_10:
	s_load_dwordx2 s[2:3], s[0:1], 0x58
	s_load_dwordx2 s[6:7], s[0:1], 0x48
	s_load_dword s12, s[0:1], 0x50
	v_add_u32_e32 v10, s11, v9
	v_add_u32_e32 v4, s5, v8
	s_waitcnt lgkmcnt(0)
	s_mul_i32 s1, s3, s4
	s_mul_hi_u32 s3, s2, s4
	s_mul_i32 s0, s2, s4
	s_add_i32 s1, s3, s1
	s_lshl_b64 s[0:1], s[0:1], 2
	s_add_u32 s6, s6, s0
	s_addc_u32 s7, s7, s1
	v_mad_i64_i32 v[6:7], s[0:1], v10, s12, 0
	v_cmp_neq_f32_e64 s[0:1], s16, 0
	v_lshl_add_u64 v[8:9], v[6:7], 2, s[6:7]
	v_cmp_le_i32_e32 vcc, v10, v4
	v_cmp_gt_i32_e64 s[2:3], s8, v4
	v_cndmask_b32_e64 v6, 0, 1, s[0:1]
	s_and_b64 s[14:15], vcc, s[2:3]
	v_ashrrev_i32_e32 v5, 31, v4
	v_cmp_ne_u32_e64 s[0:1], 1, v6
	s_and_saveexec_b64 s[4:5], s[14:15]
	s_cbranch_execz .LBB28_14
; %bb.11:
	v_mul_f32_e32 v2, s10, v2
	s_and_b64 vcc, exec, s[0:1]
	v_lshl_add_u64 v[6:7], v[4:5], 2, v[8:9]
	s_cbranch_vccnz .LBB28_13
; %bb.12:
	global_load_dword v11, v[6:7], off
	s_waitcnt vmcnt(0)
	v_fmac_f32_e32 v2, s16, v11
.LBB28_13:
	global_store_dword v[6:7], v2, off
.LBB28_14:
	s_or_b64 exec, exec, s[4:5]
	v_add_u32_e32 v6, 16, v4
	v_cmp_le_i32_e32 vcc, v10, v6
	v_cmp_gt_i32_e64 s[4:5], s8, v6
	s_and_b64 s[14:15], vcc, s[4:5]
	v_ashrrev_i32_e32 v7, 31, v6
	s_and_saveexec_b64 s[8:9], s[14:15]
	s_cbranch_execz .LBB28_18
; %bb.15:
	v_mul_f32_e32 v11, s10, v3
	s_and_b64 vcc, exec, s[0:1]
	v_lshl_add_u64 v[2:3], v[6:7], 2, v[8:9]
	s_cbranch_vccnz .LBB28_17
; %bb.16:
	global_load_dword v8, v[2:3], off
	s_waitcnt vmcnt(0)
	v_fmac_f32_e32 v11, s16, v8
.LBB28_17:
	global_store_dword v[2:3], v11, off
.LBB28_18:
	s_or_b64 exec, exec, s[8:9]
	v_add_u32_e32 v8, 16, v10
	v_mad_i64_i32 v[2:3], s[8:9], v8, s12, 0
	v_cmp_le_i32_e32 vcc, v8, v4
	v_lshl_add_u64 v[2:3], v[2:3], 2, s[6:7]
	s_and_b64 s[6:7], vcc, s[2:3]
	s_and_saveexec_b64 s[2:3], s[6:7]
	s_cbranch_execz .LBB28_22
; %bb.19:
	v_mul_f32_e32 v0, s10, v0
	s_and_b64 vcc, exec, s[0:1]
	v_lshl_add_u64 v[4:5], v[4:5], 2, v[2:3]
	s_cbranch_vccnz .LBB28_21
; %bb.20:
	global_load_dword v9, v[4:5], off
	s_waitcnt vmcnt(0)
	v_fmac_f32_e32 v0, s16, v9
.LBB28_21:
	global_store_dword v[4:5], v0, off
.LBB28_22:
	s_or_b64 exec, exec, s[2:3]
	v_cmp_le_i32_e32 vcc, v8, v6
	s_and_b64 s[2:3], vcc, s[4:5]
	s_and_saveexec_b64 s[4:5], s[2:3]
	s_cbranch_execz .LBB28_26
; %bb.23:
	v_mul_f32_e32 v4, s10, v1
	s_and_b64 vcc, exec, s[0:1]
	v_lshl_add_u64 v[0:1], v[6:7], 2, v[2:3]
	s_cbranch_vccnz .LBB28_25
; %bb.24:
	global_load_dword v2, v[0:1], off
	s_waitcnt vmcnt(0)
	v_fmac_f32_e32 v4, s16, v2
.LBB28_25:
	global_store_dword v[0:1], v4, off
.LBB28_26:
	s_endpgm
	.section	.rodata,"a",@progbits
	.p2align	6, 0x0
	.amdhsa_kernel _ZL29rocblas_internal_gemmt_kernelIiLi16ELi32ELi8ELc78ELc84ELc76ELb0ELb0EffPKfPfEviT_T9_T10_S3_lS5_S3_lS4_T11_S3_li
		.amdhsa_group_segment_fixed_size 2048
		.amdhsa_private_segment_fixed_size 0
		.amdhsa_kernarg_size 100
		.amdhsa_user_sgpr_count 2
		.amdhsa_user_sgpr_dispatch_ptr 0
		.amdhsa_user_sgpr_queue_ptr 0
		.amdhsa_user_sgpr_kernarg_segment_ptr 1
		.amdhsa_user_sgpr_dispatch_id 0
		.amdhsa_user_sgpr_kernarg_preload_length 0
		.amdhsa_user_sgpr_kernarg_preload_offset 0
		.amdhsa_user_sgpr_private_segment_size 0
		.amdhsa_uses_dynamic_stack 0
		.amdhsa_enable_private_segment 0
		.amdhsa_system_sgpr_workgroup_id_x 1
		.amdhsa_system_sgpr_workgroup_id_y 1
		.amdhsa_system_sgpr_workgroup_id_z 1
		.amdhsa_system_sgpr_workgroup_info 0
		.amdhsa_system_vgpr_workitem_id 1
		.amdhsa_next_free_vgpr 48
		.amdhsa_next_free_sgpr 26
		.amdhsa_accum_offset 48
		.amdhsa_reserve_vcc 1
		.amdhsa_float_round_mode_32 0
		.amdhsa_float_round_mode_16_64 0
		.amdhsa_float_denorm_mode_32 3
		.amdhsa_float_denorm_mode_16_64 3
		.amdhsa_dx10_clamp 1
		.amdhsa_ieee_mode 1
		.amdhsa_fp16_overflow 0
		.amdhsa_tg_split 0
		.amdhsa_exception_fp_ieee_invalid_op 0
		.amdhsa_exception_fp_denorm_src 0
		.amdhsa_exception_fp_ieee_div_zero 0
		.amdhsa_exception_fp_ieee_overflow 0
		.amdhsa_exception_fp_ieee_underflow 0
		.amdhsa_exception_fp_ieee_inexact 0
		.amdhsa_exception_int_div_zero 0
	.end_amdhsa_kernel
	.section	.text._ZL29rocblas_internal_gemmt_kernelIiLi16ELi32ELi8ELc78ELc84ELc76ELb0ELb0EffPKfPfEviT_T9_T10_S3_lS5_S3_lS4_T11_S3_li,"axG",@progbits,_ZL29rocblas_internal_gemmt_kernelIiLi16ELi32ELi8ELc78ELc84ELc76ELb0ELb0EffPKfPfEviT_T9_T10_S3_lS5_S3_lS4_T11_S3_li,comdat
.Lfunc_end28:
	.size	_ZL29rocblas_internal_gemmt_kernelIiLi16ELi32ELi8ELc78ELc84ELc76ELb0ELb0EffPKfPfEviT_T9_T10_S3_lS5_S3_lS4_T11_S3_li, .Lfunc_end28-_ZL29rocblas_internal_gemmt_kernelIiLi16ELi32ELi8ELc78ELc84ELc76ELb0ELb0EffPKfPfEviT_T9_T10_S3_lS5_S3_lS4_T11_S3_li
                                        ; -- End function
	.set _ZL29rocblas_internal_gemmt_kernelIiLi16ELi32ELi8ELc78ELc84ELc76ELb0ELb0EffPKfPfEviT_T9_T10_S3_lS5_S3_lS4_T11_S3_li.num_vgpr, 48
	.set _ZL29rocblas_internal_gemmt_kernelIiLi16ELi32ELi8ELc78ELc84ELc76ELb0ELb0EffPKfPfEviT_T9_T10_S3_lS5_S3_lS4_T11_S3_li.num_agpr, 0
	.set _ZL29rocblas_internal_gemmt_kernelIiLi16ELi32ELi8ELc78ELc84ELc76ELb0ELb0EffPKfPfEviT_T9_T10_S3_lS5_S3_lS4_T11_S3_li.numbered_sgpr, 26
	.set _ZL29rocblas_internal_gemmt_kernelIiLi16ELi32ELi8ELc78ELc84ELc76ELb0ELb0EffPKfPfEviT_T9_T10_S3_lS5_S3_lS4_T11_S3_li.num_named_barrier, 0
	.set _ZL29rocblas_internal_gemmt_kernelIiLi16ELi32ELi8ELc78ELc84ELc76ELb0ELb0EffPKfPfEviT_T9_T10_S3_lS5_S3_lS4_T11_S3_li.private_seg_size, 0
	.set _ZL29rocblas_internal_gemmt_kernelIiLi16ELi32ELi8ELc78ELc84ELc76ELb0ELb0EffPKfPfEviT_T9_T10_S3_lS5_S3_lS4_T11_S3_li.uses_vcc, 1
	.set _ZL29rocblas_internal_gemmt_kernelIiLi16ELi32ELi8ELc78ELc84ELc76ELb0ELb0EffPKfPfEviT_T9_T10_S3_lS5_S3_lS4_T11_S3_li.uses_flat_scratch, 0
	.set _ZL29rocblas_internal_gemmt_kernelIiLi16ELi32ELi8ELc78ELc84ELc76ELb0ELb0EffPKfPfEviT_T9_T10_S3_lS5_S3_lS4_T11_S3_li.has_dyn_sized_stack, 0
	.set _ZL29rocblas_internal_gemmt_kernelIiLi16ELi32ELi8ELc78ELc84ELc76ELb0ELb0EffPKfPfEviT_T9_T10_S3_lS5_S3_lS4_T11_S3_li.has_recursion, 0
	.set _ZL29rocblas_internal_gemmt_kernelIiLi16ELi32ELi8ELc78ELc84ELc76ELb0ELb0EffPKfPfEviT_T9_T10_S3_lS5_S3_lS4_T11_S3_li.has_indirect_call, 0
	.section	.AMDGPU.csdata,"",@progbits
; Kernel info:
; codeLenInByte = 1256
; TotalNumSgprs: 32
; NumVgprs: 48
; NumAgprs: 0
; TotalNumVgprs: 48
; ScratchSize: 0
; MemoryBound: 0
; FloatMode: 240
; IeeeMode: 1
; LDSByteSize: 2048 bytes/workgroup (compile time only)
; SGPRBlocks: 3
; VGPRBlocks: 5
; NumSGPRsForWavesPerEU: 32
; NumVGPRsForWavesPerEU: 48
; AccumOffset: 48
; Occupancy: 8
; WaveLimiterHint : 0
; COMPUTE_PGM_RSRC2:SCRATCH_EN: 0
; COMPUTE_PGM_RSRC2:USER_SGPR: 2
; COMPUTE_PGM_RSRC2:TRAP_HANDLER: 0
; COMPUTE_PGM_RSRC2:TGID_X_EN: 1
; COMPUTE_PGM_RSRC2:TGID_Y_EN: 1
; COMPUTE_PGM_RSRC2:TGID_Z_EN: 1
; COMPUTE_PGM_RSRC2:TIDIG_COMP_CNT: 1
; COMPUTE_PGM_RSRC3_GFX90A:ACCUM_OFFSET: 11
; COMPUTE_PGM_RSRC3_GFX90A:TG_SPLIT: 0
	.section	.text._ZL29rocblas_internal_gemmt_kernelIiLi16ELi32ELi8ELc78ELc67ELc76ELb0ELb0EffPKfPfEviT_T9_T10_S3_lS5_S3_lS4_T11_S3_li,"axG",@progbits,_ZL29rocblas_internal_gemmt_kernelIiLi16ELi32ELi8ELc78ELc67ELc76ELb0ELb0EffPKfPfEviT_T9_T10_S3_lS5_S3_lS4_T11_S3_li,comdat
	.globl	_ZL29rocblas_internal_gemmt_kernelIiLi16ELi32ELi8ELc78ELc67ELc76ELb0ELb0EffPKfPfEviT_T9_T10_S3_lS5_S3_lS4_T11_S3_li ; -- Begin function _ZL29rocblas_internal_gemmt_kernelIiLi16ELi32ELi8ELc78ELc67ELc76ELb0ELb0EffPKfPfEviT_T9_T10_S3_lS5_S3_lS4_T11_S3_li
	.p2align	8
	.type	_ZL29rocblas_internal_gemmt_kernelIiLi16ELi32ELi8ELc78ELc67ELc76ELb0ELb0EffPKfPfEviT_T9_T10_S3_lS5_S3_lS4_T11_S3_li,@function
_ZL29rocblas_internal_gemmt_kernelIiLi16ELi32ELi8ELc78ELc67ELc76ELb0ELb0EffPKfPfEviT_T9_T10_S3_lS5_S3_lS4_T11_S3_li: ; @_ZL29rocblas_internal_gemmt_kernelIiLi16ELi32ELi8ELc78ELc67ELc76ELb0ELb0EffPKfPfEviT_T9_T10_S3_lS5_S3_lS4_T11_S3_li
; %bb.0:
	s_load_dword s16, s[0:1], 0x40
	s_load_dwordx4 s[8:11], s[0:1], 0x0
	s_waitcnt lgkmcnt(0)
	v_cmp_neq_f32_e64 s[6:7], s16, 1.0
	s_and_b64 vcc, exec, s[6:7]
	s_cbranch_vccnz .LBB29_2
; %bb.1:
	s_cmp_lg_u32 s9, 0
	s_cselect_b64 s[6:7], -1, 0
	v_cmp_neq_f32_e64 s[12:13], s10, 0
	s_and_b64 s[6:7], s[6:7], s[12:13]
.LBB29_2:
	s_andn2_b64 vcc, exec, s[6:7]
	s_cbranch_vccnz .LBB29_26
; %bb.3:
	s_lshl_b32 s5, s2, 5
	s_lshl_b32 s11, s3, 5
	s_cmp_lt_i32 s9, 1
	v_cmp_eq_f32_e64 s[2:3], s10, 0
	s_cselect_b64 s[6:7], -1, 0
	v_mov_b32_e32 v3, 0
	s_or_b64 s[2:3], s[2:3], s[6:7]
	v_and_b32_e32 v8, 0x3ff, v0
	v_bfe_u32 v9, v0, 10, 10
	s_mov_b32 s17, 0
	s_and_b64 vcc, exec, s[2:3]
	v_mov_b32_e32 v2, v3
	v_mov_b32_e32 v1, v3
	;; [unrolled: 1-line block ×3, first 2 shown]
	s_cbranch_vccnz .LBB29_10
; %bb.4:
	v_lshl_add_u32 v1, v9, 4, v8
	v_and_b32_e32 v4, 31, v1
	v_lshrrev_b32_e32 v11, 5, v1
	v_lshrrev_b32_e32 v2, 3, v1
	v_or_b32_e32 v1, s5, v4
	s_load_dwordx2 s[6:7], s[0:1], 0x10
	s_load_dword s18, s[0:1], 0x18
	s_load_dwordx4 s[12:15], s[0:1], 0x20
	s_load_dword s20, s[0:1], 0x30
	v_and_b32_e32 v10, 7, v8
	v_cmp_gt_i32_e32 vcc, s8, v1
	v_lshlrev_b32_e32 v1, 2, v4
	v_lshl_or_b32 v12, v11, 7, v1
	v_lshlrev_b32_e32 v1, 2, v10
	v_add_u32_e32 v0, s11, v2
	v_lshl_or_b32 v1, v2, 5, v1
	v_mov_b32_e32 v2, 0x400
	v_lshl_add_u32 v15, v9, 5, v2
	s_waitcnt lgkmcnt(0)
	v_mad_i64_i32 v[2:3], s[24:25], v11, s18, 0
	s_load_dwordx2 s[22:23], s[0:1], 0x38
	s_mul_i32 s13, s13, s4
	s_mul_hi_u32 s24, s12, s4
	s_add_i32 s13, s24, s13
	s_mul_i32 s12, s12, s4
	s_lshl_b64 s[12:13], s[12:13], 2
	v_add_u32_e32 v4, s5, v4
	v_lshl_add_u64 v[2:3], v[2:3], 2, s[12:13]
	v_ashrrev_i32_e32 v5, 31, v4
	s_ashr_i32 s19, s18, 31
	v_lshl_add_u64 v[2:3], v[4:5], 2, v[2:3]
	v_lshl_add_u64 v[4:5], s[6:7], 0, v[2:3]
	s_lshl_b64 s[12:13], s[18:19], 5
	s_waitcnt lgkmcnt(0)
	s_mul_i32 s6, s23, s4
	s_mul_hi_u32 s7, s22, s4
	v_mad_i64_i32 v[2:3], s[18:19], s20, v10, 0
	s_add_i32 s7, s7, s6
	s_mul_i32 s6, s22, s4
	v_lshlrev_b64 v[2:3], 2, v[2:3]
	v_add_u32_e32 v13, 0x400, v1
	v_ashrrev_i32_e32 v1, 31, v0
	v_lshl_add_u64 v[2:3], s[6:7], 2, v[2:3]
	v_cmp_gt_i32_e64 s[2:3], s8, v0
	v_lshl_add_u64 v[0:1], v[0:1], 2, v[2:3]
	s_ashr_i32 s21, s20, 31
	v_lshl_add_u64 v[6:7], s[14:15], 0, v[0:1]
	v_mov_b32_e32 v0, 0
	v_lshlrev_b32_e32 v14, 2, v8
	s_lshl_b64 s[14:15], s[20:21], 5
	v_mov_b32_e32 v1, v0
	v_mov_b32_e32 v2, v0
	;; [unrolled: 1-line block ×3, first 2 shown]
	s_branch .LBB29_6
.LBB29_5:                               ;   in Loop: Header=BB29_6 Depth=1
	s_or_b64 exec, exec, s[6:7]
	s_waitcnt vmcnt(0)
	ds_write_b32 v13, v16
	s_waitcnt lgkmcnt(0)
	s_barrier
	ds_read_b128 v[16:19], v15
	ds_read_b128 v[20:23], v15 offset:16
	ds_read2_b32 v[32:33], v14 offset1:16
	ds_read2_b32 v[34:35], v14 offset0:32 offset1:48
	ds_read2_b32 v[36:37], v14 offset0:64 offset1:80
	ds_read2_b32 v[38:39], v14 offset0:96 offset1:112
	ds_read2_b32 v[40:41], v14 offset0:128 offset1:144
	ds_read_b128 v[24:27], v15 offset:512
	ds_read_b128 v[28:31], v15 offset:528
	ds_read2_b32 v[42:43], v14 offset0:160 offset1:176
	ds_read2_b32 v[44:45], v14 offset0:192 offset1:208
	;; [unrolled: 1-line block ×3, first 2 shown]
	s_waitcnt lgkmcnt(9)
	v_pk_fma_f32 v[2:3], v[32:33], v[16:17], v[2:3] op_sel_hi:[1,0,1]
	s_waitcnt lgkmcnt(4)
	v_pk_fma_f32 v[0:1], v[32:33], v[24:25], v[0:1] op_sel_hi:[1,0,1]
	v_pk_fma_f32 v[2:3], v[34:35], v[16:17], v[2:3] op_sel:[0,1,0]
	v_mov_b32_e32 v16, v19
	v_pk_fma_f32 v[2:3], v[36:37], v[18:19], v[2:3] op_sel_hi:[1,0,1]
	v_pk_fma_f32 v[0:1], v[34:35], v[24:25], v[0:1] op_sel:[0,1,0]
	v_pk_fma_f32 v[2:3], v[38:39], v[16:17], v[2:3] op_sel_hi:[1,0,1]
	v_mov_b32_e32 v16, v23
	v_pk_fma_f32 v[2:3], v[40:41], v[20:21], v[2:3] op_sel_hi:[1,0,1]
	v_pk_fma_f32 v[0:1], v[36:37], v[26:27], v[0:1] op_sel_hi:[1,0,1]
	s_waitcnt lgkmcnt(2)
	v_pk_fma_f32 v[2:3], v[42:43], v[20:21], v[2:3] op_sel:[0,1,0]
	s_add_i32 s17, s17, 8
	s_waitcnt lgkmcnt(1)
	v_pk_fma_f32 v[2:3], v[44:45], v[22:23], v[2:3] op_sel_hi:[1,0,1]
	v_lshl_add_u64 v[4:5], v[4:5], 0, s[12:13]
	s_waitcnt lgkmcnt(0)
	v_pk_fma_f32 v[2:3], v[46:47], v[16:17], v[2:3] op_sel_hi:[1,0,1]
	v_mov_b32_e32 v16, v27
	v_pk_fma_f32 v[0:1], v[38:39], v[16:17], v[0:1] op_sel_hi:[1,0,1]
	v_mov_b32_e32 v16, v31
	v_pk_fma_f32 v[0:1], v[40:41], v[28:29], v[0:1] op_sel_hi:[1,0,1]
	s_cmp_lt_i32 s17, s9
	v_pk_fma_f32 v[0:1], v[42:43], v[28:29], v[0:1] op_sel:[0,1,0]
	v_lshl_add_u64 v[6:7], v[6:7], 0, s[14:15]
	v_pk_fma_f32 v[0:1], v[44:45], v[30:31], v[0:1] op_sel_hi:[1,0,1]
	s_nop 0
	v_pk_fma_f32 v[0:1], v[46:47], v[16:17], v[0:1] op_sel_hi:[1,0,1]
	s_barrier
	s_cbranch_scc0 .LBB29_10
.LBB29_6:                               ; =>This Inner Loop Header: Depth=1
	v_add_u32_e32 v16, s17, v11
	v_cmp_gt_i32_e64 s[6:7], s9, v16
	s_and_b64 s[18:19], vcc, s[6:7]
	v_mov_b32_e32 v16, 0
	s_and_saveexec_b64 s[6:7], s[18:19]
	s_cbranch_execz .LBB29_8
; %bb.7:                                ;   in Loop: Header=BB29_6 Depth=1
	global_load_dword v16, v[4:5], off
.LBB29_8:                               ;   in Loop: Header=BB29_6 Depth=1
	s_or_b64 exec, exec, s[6:7]
	s_waitcnt vmcnt(0)
	ds_write_b32 v12, v16
	v_add_u32_e32 v16, s17, v10
	v_cmp_gt_i32_e64 s[6:7], s9, v16
	s_and_b64 s[18:19], s[6:7], s[2:3]
	v_mov_b32_e32 v16, 0
	s_and_saveexec_b64 s[6:7], s[18:19]
	s_cbranch_execz .LBB29_5
; %bb.9:                                ;   in Loop: Header=BB29_6 Depth=1
	global_load_dword v16, v[6:7], off
	s_branch .LBB29_5
.LBB29_10:
	s_load_dwordx2 s[2:3], s[0:1], 0x58
	s_load_dwordx2 s[6:7], s[0:1], 0x48
	s_load_dword s12, s[0:1], 0x50
	v_add_u32_e32 v10, s11, v9
	v_add_u32_e32 v4, s5, v8
	s_waitcnt lgkmcnt(0)
	s_mul_i32 s1, s3, s4
	s_mul_hi_u32 s3, s2, s4
	s_mul_i32 s0, s2, s4
	s_add_i32 s1, s3, s1
	s_lshl_b64 s[0:1], s[0:1], 2
	s_add_u32 s6, s6, s0
	s_addc_u32 s7, s7, s1
	v_mad_i64_i32 v[6:7], s[0:1], v10, s12, 0
	v_cmp_neq_f32_e64 s[0:1], s16, 0
	v_lshl_add_u64 v[8:9], v[6:7], 2, s[6:7]
	v_cmp_le_i32_e32 vcc, v10, v4
	v_cmp_gt_i32_e64 s[2:3], s8, v4
	v_cndmask_b32_e64 v6, 0, 1, s[0:1]
	s_and_b64 s[14:15], vcc, s[2:3]
	v_ashrrev_i32_e32 v5, 31, v4
	v_cmp_ne_u32_e64 s[0:1], 1, v6
	s_and_saveexec_b64 s[4:5], s[14:15]
	s_cbranch_execz .LBB29_14
; %bb.11:
	v_mul_f32_e32 v2, s10, v2
	s_and_b64 vcc, exec, s[0:1]
	v_lshl_add_u64 v[6:7], v[4:5], 2, v[8:9]
	s_cbranch_vccnz .LBB29_13
; %bb.12:
	global_load_dword v11, v[6:7], off
	s_waitcnt vmcnt(0)
	v_fmac_f32_e32 v2, s16, v11
.LBB29_13:
	global_store_dword v[6:7], v2, off
.LBB29_14:
	s_or_b64 exec, exec, s[4:5]
	v_add_u32_e32 v6, 16, v4
	v_cmp_le_i32_e32 vcc, v10, v6
	v_cmp_gt_i32_e64 s[4:5], s8, v6
	s_and_b64 s[14:15], vcc, s[4:5]
	v_ashrrev_i32_e32 v7, 31, v6
	s_and_saveexec_b64 s[8:9], s[14:15]
	s_cbranch_execz .LBB29_18
; %bb.15:
	v_mul_f32_e32 v11, s10, v3
	s_and_b64 vcc, exec, s[0:1]
	v_lshl_add_u64 v[2:3], v[6:7], 2, v[8:9]
	s_cbranch_vccnz .LBB29_17
; %bb.16:
	global_load_dword v8, v[2:3], off
	s_waitcnt vmcnt(0)
	v_fmac_f32_e32 v11, s16, v8
.LBB29_17:
	global_store_dword v[2:3], v11, off
.LBB29_18:
	s_or_b64 exec, exec, s[8:9]
	v_add_u32_e32 v8, 16, v10
	v_mad_i64_i32 v[2:3], s[8:9], v8, s12, 0
	v_cmp_le_i32_e32 vcc, v8, v4
	v_lshl_add_u64 v[2:3], v[2:3], 2, s[6:7]
	s_and_b64 s[6:7], vcc, s[2:3]
	s_and_saveexec_b64 s[2:3], s[6:7]
	s_cbranch_execz .LBB29_22
; %bb.19:
	v_mul_f32_e32 v0, s10, v0
	s_and_b64 vcc, exec, s[0:1]
	v_lshl_add_u64 v[4:5], v[4:5], 2, v[2:3]
	s_cbranch_vccnz .LBB29_21
; %bb.20:
	global_load_dword v9, v[4:5], off
	s_waitcnt vmcnt(0)
	v_fmac_f32_e32 v0, s16, v9
.LBB29_21:
	global_store_dword v[4:5], v0, off
.LBB29_22:
	s_or_b64 exec, exec, s[2:3]
	v_cmp_le_i32_e32 vcc, v8, v6
	s_and_b64 s[2:3], vcc, s[4:5]
	s_and_saveexec_b64 s[4:5], s[2:3]
	s_cbranch_execz .LBB29_26
; %bb.23:
	v_mul_f32_e32 v4, s10, v1
	s_and_b64 vcc, exec, s[0:1]
	v_lshl_add_u64 v[0:1], v[6:7], 2, v[2:3]
	s_cbranch_vccnz .LBB29_25
; %bb.24:
	global_load_dword v2, v[0:1], off
	s_waitcnt vmcnt(0)
	v_fmac_f32_e32 v4, s16, v2
.LBB29_25:
	global_store_dword v[0:1], v4, off
.LBB29_26:
	s_endpgm
	.section	.rodata,"a",@progbits
	.p2align	6, 0x0
	.amdhsa_kernel _ZL29rocblas_internal_gemmt_kernelIiLi16ELi32ELi8ELc78ELc67ELc76ELb0ELb0EffPKfPfEviT_T9_T10_S3_lS5_S3_lS4_T11_S3_li
		.amdhsa_group_segment_fixed_size 2048
		.amdhsa_private_segment_fixed_size 0
		.amdhsa_kernarg_size 100
		.amdhsa_user_sgpr_count 2
		.amdhsa_user_sgpr_dispatch_ptr 0
		.amdhsa_user_sgpr_queue_ptr 0
		.amdhsa_user_sgpr_kernarg_segment_ptr 1
		.amdhsa_user_sgpr_dispatch_id 0
		.amdhsa_user_sgpr_kernarg_preload_length 0
		.amdhsa_user_sgpr_kernarg_preload_offset 0
		.amdhsa_user_sgpr_private_segment_size 0
		.amdhsa_uses_dynamic_stack 0
		.amdhsa_enable_private_segment 0
		.amdhsa_system_sgpr_workgroup_id_x 1
		.amdhsa_system_sgpr_workgroup_id_y 1
		.amdhsa_system_sgpr_workgroup_id_z 1
		.amdhsa_system_sgpr_workgroup_info 0
		.amdhsa_system_vgpr_workitem_id 1
		.amdhsa_next_free_vgpr 48
		.amdhsa_next_free_sgpr 26
		.amdhsa_accum_offset 48
		.amdhsa_reserve_vcc 1
		.amdhsa_float_round_mode_32 0
		.amdhsa_float_round_mode_16_64 0
		.amdhsa_float_denorm_mode_32 3
		.amdhsa_float_denorm_mode_16_64 3
		.amdhsa_dx10_clamp 1
		.amdhsa_ieee_mode 1
		.amdhsa_fp16_overflow 0
		.amdhsa_tg_split 0
		.amdhsa_exception_fp_ieee_invalid_op 0
		.amdhsa_exception_fp_denorm_src 0
		.amdhsa_exception_fp_ieee_div_zero 0
		.amdhsa_exception_fp_ieee_overflow 0
		.amdhsa_exception_fp_ieee_underflow 0
		.amdhsa_exception_fp_ieee_inexact 0
		.amdhsa_exception_int_div_zero 0
	.end_amdhsa_kernel
	.section	.text._ZL29rocblas_internal_gemmt_kernelIiLi16ELi32ELi8ELc78ELc67ELc76ELb0ELb0EffPKfPfEviT_T9_T10_S3_lS5_S3_lS4_T11_S3_li,"axG",@progbits,_ZL29rocblas_internal_gemmt_kernelIiLi16ELi32ELi8ELc78ELc67ELc76ELb0ELb0EffPKfPfEviT_T9_T10_S3_lS5_S3_lS4_T11_S3_li,comdat
.Lfunc_end29:
	.size	_ZL29rocblas_internal_gemmt_kernelIiLi16ELi32ELi8ELc78ELc67ELc76ELb0ELb0EffPKfPfEviT_T9_T10_S3_lS5_S3_lS4_T11_S3_li, .Lfunc_end29-_ZL29rocblas_internal_gemmt_kernelIiLi16ELi32ELi8ELc78ELc67ELc76ELb0ELb0EffPKfPfEviT_T9_T10_S3_lS5_S3_lS4_T11_S3_li
                                        ; -- End function
	.set _ZL29rocblas_internal_gemmt_kernelIiLi16ELi32ELi8ELc78ELc67ELc76ELb0ELb0EffPKfPfEviT_T9_T10_S3_lS5_S3_lS4_T11_S3_li.num_vgpr, 48
	.set _ZL29rocblas_internal_gemmt_kernelIiLi16ELi32ELi8ELc78ELc67ELc76ELb0ELb0EffPKfPfEviT_T9_T10_S3_lS5_S3_lS4_T11_S3_li.num_agpr, 0
	.set _ZL29rocblas_internal_gemmt_kernelIiLi16ELi32ELi8ELc78ELc67ELc76ELb0ELb0EffPKfPfEviT_T9_T10_S3_lS5_S3_lS4_T11_S3_li.numbered_sgpr, 26
	.set _ZL29rocblas_internal_gemmt_kernelIiLi16ELi32ELi8ELc78ELc67ELc76ELb0ELb0EffPKfPfEviT_T9_T10_S3_lS5_S3_lS4_T11_S3_li.num_named_barrier, 0
	.set _ZL29rocblas_internal_gemmt_kernelIiLi16ELi32ELi8ELc78ELc67ELc76ELb0ELb0EffPKfPfEviT_T9_T10_S3_lS5_S3_lS4_T11_S3_li.private_seg_size, 0
	.set _ZL29rocblas_internal_gemmt_kernelIiLi16ELi32ELi8ELc78ELc67ELc76ELb0ELb0EffPKfPfEviT_T9_T10_S3_lS5_S3_lS4_T11_S3_li.uses_vcc, 1
	.set _ZL29rocblas_internal_gemmt_kernelIiLi16ELi32ELi8ELc78ELc67ELc76ELb0ELb0EffPKfPfEviT_T9_T10_S3_lS5_S3_lS4_T11_S3_li.uses_flat_scratch, 0
	.set _ZL29rocblas_internal_gemmt_kernelIiLi16ELi32ELi8ELc78ELc67ELc76ELb0ELb0EffPKfPfEviT_T9_T10_S3_lS5_S3_lS4_T11_S3_li.has_dyn_sized_stack, 0
	.set _ZL29rocblas_internal_gemmt_kernelIiLi16ELi32ELi8ELc78ELc67ELc76ELb0ELb0EffPKfPfEviT_T9_T10_S3_lS5_S3_lS4_T11_S3_li.has_recursion, 0
	.set _ZL29rocblas_internal_gemmt_kernelIiLi16ELi32ELi8ELc78ELc67ELc76ELb0ELb0EffPKfPfEviT_T9_T10_S3_lS5_S3_lS4_T11_S3_li.has_indirect_call, 0
	.section	.AMDGPU.csdata,"",@progbits
; Kernel info:
; codeLenInByte = 1256
; TotalNumSgprs: 32
; NumVgprs: 48
; NumAgprs: 0
; TotalNumVgprs: 48
; ScratchSize: 0
; MemoryBound: 0
; FloatMode: 240
; IeeeMode: 1
; LDSByteSize: 2048 bytes/workgroup (compile time only)
; SGPRBlocks: 3
; VGPRBlocks: 5
; NumSGPRsForWavesPerEU: 32
; NumVGPRsForWavesPerEU: 48
; AccumOffset: 48
; Occupancy: 8
; WaveLimiterHint : 0
; COMPUTE_PGM_RSRC2:SCRATCH_EN: 0
; COMPUTE_PGM_RSRC2:USER_SGPR: 2
; COMPUTE_PGM_RSRC2:TRAP_HANDLER: 0
; COMPUTE_PGM_RSRC2:TGID_X_EN: 1
; COMPUTE_PGM_RSRC2:TGID_Y_EN: 1
; COMPUTE_PGM_RSRC2:TGID_Z_EN: 1
; COMPUTE_PGM_RSRC2:TIDIG_COMP_CNT: 1
; COMPUTE_PGM_RSRC3_GFX90A:ACCUM_OFFSET: 11
; COMPUTE_PGM_RSRC3_GFX90A:TG_SPLIT: 0
	.section	.text._ZL29rocblas_internal_gemmt_kernelIiLi16ELi32ELi8ELc84ELc78ELc76ELb0ELb0EffPKfPfEviT_T9_T10_S3_lS5_S3_lS4_T11_S3_li,"axG",@progbits,_ZL29rocblas_internal_gemmt_kernelIiLi16ELi32ELi8ELc84ELc78ELc76ELb0ELb0EffPKfPfEviT_T9_T10_S3_lS5_S3_lS4_T11_S3_li,comdat
	.globl	_ZL29rocblas_internal_gemmt_kernelIiLi16ELi32ELi8ELc84ELc78ELc76ELb0ELb0EffPKfPfEviT_T9_T10_S3_lS5_S3_lS4_T11_S3_li ; -- Begin function _ZL29rocblas_internal_gemmt_kernelIiLi16ELi32ELi8ELc84ELc78ELc76ELb0ELb0EffPKfPfEviT_T9_T10_S3_lS5_S3_lS4_T11_S3_li
	.p2align	8
	.type	_ZL29rocblas_internal_gemmt_kernelIiLi16ELi32ELi8ELc84ELc78ELc76ELb0ELb0EffPKfPfEviT_T9_T10_S3_lS5_S3_lS4_T11_S3_li,@function
_ZL29rocblas_internal_gemmt_kernelIiLi16ELi32ELi8ELc84ELc78ELc76ELb0ELb0EffPKfPfEviT_T9_T10_S3_lS5_S3_lS4_T11_S3_li: ; @_ZL29rocblas_internal_gemmt_kernelIiLi16ELi32ELi8ELc84ELc78ELc76ELb0ELb0EffPKfPfEviT_T9_T10_S3_lS5_S3_lS4_T11_S3_li
; %bb.0:
	s_load_dword s16, s[0:1], 0x40
	s_load_dwordx4 s[8:11], s[0:1], 0x0
	s_waitcnt lgkmcnt(0)
	v_cmp_neq_f32_e64 s[6:7], s16, 1.0
	s_and_b64 vcc, exec, s[6:7]
	s_cbranch_vccnz .LBB30_2
; %bb.1:
	s_cmp_lg_u32 s9, 0
	s_cselect_b64 s[6:7], -1, 0
	v_cmp_neq_f32_e64 s[12:13], s10, 0
	s_and_b64 s[6:7], s[6:7], s[12:13]
.LBB30_2:
	s_andn2_b64 vcc, exec, s[6:7]
	s_cbranch_vccnz .LBB30_26
; %bb.3:
	s_lshl_b32 s5, s2, 5
	s_lshl_b32 s11, s3, 5
	s_cmp_lt_i32 s9, 1
	v_cmp_eq_f32_e64 s[2:3], s10, 0
	s_cselect_b64 s[6:7], -1, 0
	v_mov_b32_e32 v3, 0
	s_or_b64 s[2:3], s[2:3], s[6:7]
	v_and_b32_e32 v8, 0x3ff, v0
	v_bfe_u32 v9, v0, 10, 10
	s_mov_b32 s17, 0
	s_and_b64 vcc, exec, s[2:3]
	v_mov_b32_e32 v2, v3
	v_mov_b32_e32 v1, v3
	v_mov_b32_e32 v0, v3
	s_cbranch_vccnz .LBB30_10
; %bb.4:
	v_lshl_add_u32 v0, v9, 4, v8
	v_lshrrev_b32_e32 v11, 5, v0
	v_lshrrev_b32_e32 v1, 3, v0
	v_and_b32_e32 v0, 31, v0
	v_or_b32_e32 v2, s5, v0
	v_and_b32_e32 v10, 7, v8
	v_cmp_gt_i32_e32 vcc, s8, v2
	v_lshlrev_b32_e32 v2, 2, v0
	v_lshl_or_b32 v12, v11, 7, v2
	v_lshlrev_b32_e32 v2, 2, v10
	s_load_dwordx2 s[6:7], s[0:1], 0x10
	s_load_dword s20, s[0:1], 0x18
	s_load_dwordx4 s[12:15], s[0:1], 0x20
	s_load_dword s22, s[0:1], 0x30
	s_load_dwordx2 s[18:19], s[0:1], 0x38
	v_add_u32_e32 v3, s11, v1
	v_lshl_or_b32 v1, v1, 5, v2
	v_add_u32_e32 v13, 0x400, v1
	v_mov_b32_e32 v1, 0x400
	v_add_u32_e32 v0, s5, v0
	v_lshl_add_u32 v15, v9, 5, v1
	s_waitcnt lgkmcnt(0)
	v_mad_i64_i32 v[0:1], s[20:21], s20, v0, 0
	s_mul_i32 s13, s13, s4
	s_mul_hi_u32 s20, s12, s4
	s_add_i32 s13, s20, s13
	s_mul_i32 s12, s12, s4
	s_lshl_b64 s[12:13], s[12:13], 2
	v_lshl_add_u64 v[4:5], v[0:1], 2, s[12:13]
	v_lshlrev_b32_e32 v0, 2, v11
	v_mov_b32_e32 v1, 0
	v_lshl_add_u64 v[4:5], v[4:5], 0, v[0:1]
	v_lshl_add_u64 v[4:5], s[6:7], 0, v[4:5]
	v_mad_i64_i32 v[6:7], s[6:7], s22, v3, 0
	s_mul_i32 s6, s19, s4
	s_mul_hi_u32 s7, s18, s4
	s_add_i32 s7, s7, s6
	s_mul_i32 s6, s18, s4
	s_lshl_b64 s[6:7], s[6:7], 2
	v_cmp_gt_i32_e64 s[2:3], s8, v3
	v_lshl_add_u64 v[6:7], v[6:7], 2, s[6:7]
	v_mov_b32_e32 v3, v1
	v_lshl_add_u64 v[2:3], v[6:7], 0, v[2:3]
	v_lshlrev_b32_e32 v14, 2, v8
	v_lshl_add_u64 v[6:7], s[14:15], 0, v[2:3]
	v_mov_b32_e32 v0, v1
	v_mov_b32_e32 v2, v1
	;; [unrolled: 1-line block ×3, first 2 shown]
	s_branch .LBB30_6
.LBB30_5:                               ;   in Loop: Header=BB30_6 Depth=1
	s_or_b64 exec, exec, s[6:7]
	s_waitcnt vmcnt(0)
	ds_write_b32 v13, v16
	s_waitcnt lgkmcnt(0)
	s_barrier
	ds_read_b128 v[16:19], v15
	ds_read_b128 v[20:23], v15 offset:16
	ds_read2_b32 v[32:33], v14 offset1:16
	ds_read2_b32 v[34:35], v14 offset0:32 offset1:48
	ds_read2_b32 v[36:37], v14 offset0:64 offset1:80
	;; [unrolled: 1-line block ×4, first 2 shown]
	ds_read_b128 v[24:27], v15 offset:512
	ds_read_b128 v[28:31], v15 offset:528
	ds_read2_b32 v[42:43], v14 offset0:160 offset1:176
	ds_read2_b32 v[44:45], v14 offset0:192 offset1:208
	;; [unrolled: 1-line block ×3, first 2 shown]
	s_waitcnt lgkmcnt(9)
	v_pk_fma_f32 v[2:3], v[32:33], v[16:17], v[2:3] op_sel_hi:[1,0,1]
	s_waitcnt lgkmcnt(4)
	v_pk_fma_f32 v[0:1], v[32:33], v[24:25], v[0:1] op_sel_hi:[1,0,1]
	v_pk_fma_f32 v[2:3], v[34:35], v[16:17], v[2:3] op_sel:[0,1,0]
	v_mov_b32_e32 v16, v19
	v_pk_fma_f32 v[2:3], v[36:37], v[18:19], v[2:3] op_sel_hi:[1,0,1]
	v_pk_fma_f32 v[0:1], v[34:35], v[24:25], v[0:1] op_sel:[0,1,0]
	v_pk_fma_f32 v[2:3], v[38:39], v[16:17], v[2:3] op_sel_hi:[1,0,1]
	v_mov_b32_e32 v16, v23
	v_pk_fma_f32 v[2:3], v[40:41], v[20:21], v[2:3] op_sel_hi:[1,0,1]
	v_pk_fma_f32 v[0:1], v[36:37], v[26:27], v[0:1] op_sel_hi:[1,0,1]
	s_waitcnt lgkmcnt(2)
	v_pk_fma_f32 v[2:3], v[42:43], v[20:21], v[2:3] op_sel:[0,1,0]
	s_add_i32 s17, s17, 8
	s_waitcnt lgkmcnt(1)
	v_pk_fma_f32 v[2:3], v[44:45], v[22:23], v[2:3] op_sel_hi:[1,0,1]
	v_lshl_add_u64 v[4:5], v[4:5], 0, 32
	s_waitcnt lgkmcnt(0)
	v_pk_fma_f32 v[2:3], v[46:47], v[16:17], v[2:3] op_sel_hi:[1,0,1]
	v_mov_b32_e32 v16, v27
	v_pk_fma_f32 v[0:1], v[38:39], v[16:17], v[0:1] op_sel_hi:[1,0,1]
	v_mov_b32_e32 v16, v31
	v_pk_fma_f32 v[0:1], v[40:41], v[28:29], v[0:1] op_sel_hi:[1,0,1]
	s_cmp_lt_i32 s17, s9
	v_pk_fma_f32 v[0:1], v[42:43], v[28:29], v[0:1] op_sel:[0,1,0]
	v_lshl_add_u64 v[6:7], v[6:7], 0, 32
	v_pk_fma_f32 v[0:1], v[44:45], v[30:31], v[0:1] op_sel_hi:[1,0,1]
	s_nop 0
	v_pk_fma_f32 v[0:1], v[46:47], v[16:17], v[0:1] op_sel_hi:[1,0,1]
	s_barrier
	s_cbranch_scc0 .LBB30_10
.LBB30_6:                               ; =>This Inner Loop Header: Depth=1
	v_add_u32_e32 v16, s17, v11
	v_cmp_gt_i32_e64 s[6:7], s9, v16
	s_and_b64 s[12:13], vcc, s[6:7]
	v_mov_b32_e32 v16, 0
	s_and_saveexec_b64 s[6:7], s[12:13]
	s_cbranch_execz .LBB30_8
; %bb.7:                                ;   in Loop: Header=BB30_6 Depth=1
	global_load_dword v16, v[4:5], off
.LBB30_8:                               ;   in Loop: Header=BB30_6 Depth=1
	s_or_b64 exec, exec, s[6:7]
	s_waitcnt vmcnt(0)
	ds_write_b32 v12, v16
	v_add_u32_e32 v16, s17, v10
	v_cmp_gt_i32_e64 s[6:7], s9, v16
	s_and_b64 s[12:13], s[6:7], s[2:3]
	v_mov_b32_e32 v16, 0
	s_and_saveexec_b64 s[6:7], s[12:13]
	s_cbranch_execz .LBB30_5
; %bb.9:                                ;   in Loop: Header=BB30_6 Depth=1
	global_load_dword v16, v[6:7], off
	s_branch .LBB30_5
.LBB30_10:
	s_load_dwordx2 s[2:3], s[0:1], 0x58
	s_load_dwordx2 s[6:7], s[0:1], 0x48
	s_load_dword s12, s[0:1], 0x50
	v_add_u32_e32 v10, s11, v9
	v_add_u32_e32 v4, s5, v8
	s_waitcnt lgkmcnt(0)
	s_mul_i32 s1, s3, s4
	s_mul_hi_u32 s3, s2, s4
	s_mul_i32 s0, s2, s4
	s_add_i32 s1, s3, s1
	s_lshl_b64 s[0:1], s[0:1], 2
	s_add_u32 s6, s6, s0
	s_addc_u32 s7, s7, s1
	v_mad_i64_i32 v[6:7], s[0:1], v10, s12, 0
	v_cmp_neq_f32_e64 s[0:1], s16, 0
	v_lshl_add_u64 v[8:9], v[6:7], 2, s[6:7]
	v_cmp_le_i32_e32 vcc, v10, v4
	v_cmp_gt_i32_e64 s[2:3], s8, v4
	v_cndmask_b32_e64 v6, 0, 1, s[0:1]
	s_and_b64 s[14:15], vcc, s[2:3]
	v_ashrrev_i32_e32 v5, 31, v4
	v_cmp_ne_u32_e64 s[0:1], 1, v6
	s_and_saveexec_b64 s[4:5], s[14:15]
	s_cbranch_execz .LBB30_14
; %bb.11:
	v_mul_f32_e32 v2, s10, v2
	s_and_b64 vcc, exec, s[0:1]
	v_lshl_add_u64 v[6:7], v[4:5], 2, v[8:9]
	s_cbranch_vccnz .LBB30_13
; %bb.12:
	global_load_dword v11, v[6:7], off
	s_waitcnt vmcnt(0)
	v_fmac_f32_e32 v2, s16, v11
.LBB30_13:
	global_store_dword v[6:7], v2, off
.LBB30_14:
	s_or_b64 exec, exec, s[4:5]
	v_add_u32_e32 v6, 16, v4
	v_cmp_le_i32_e32 vcc, v10, v6
	v_cmp_gt_i32_e64 s[4:5], s8, v6
	s_and_b64 s[14:15], vcc, s[4:5]
	v_ashrrev_i32_e32 v7, 31, v6
	s_and_saveexec_b64 s[8:9], s[14:15]
	s_cbranch_execz .LBB30_18
; %bb.15:
	v_mul_f32_e32 v11, s10, v3
	s_and_b64 vcc, exec, s[0:1]
	v_lshl_add_u64 v[2:3], v[6:7], 2, v[8:9]
	s_cbranch_vccnz .LBB30_17
; %bb.16:
	global_load_dword v8, v[2:3], off
	s_waitcnt vmcnt(0)
	v_fmac_f32_e32 v11, s16, v8
.LBB30_17:
	global_store_dword v[2:3], v11, off
.LBB30_18:
	s_or_b64 exec, exec, s[8:9]
	v_add_u32_e32 v8, 16, v10
	v_mad_i64_i32 v[2:3], s[8:9], v8, s12, 0
	v_cmp_le_i32_e32 vcc, v8, v4
	v_lshl_add_u64 v[2:3], v[2:3], 2, s[6:7]
	s_and_b64 s[6:7], vcc, s[2:3]
	s_and_saveexec_b64 s[2:3], s[6:7]
	s_cbranch_execz .LBB30_22
; %bb.19:
	v_mul_f32_e32 v0, s10, v0
	s_and_b64 vcc, exec, s[0:1]
	v_lshl_add_u64 v[4:5], v[4:5], 2, v[2:3]
	s_cbranch_vccnz .LBB30_21
; %bb.20:
	global_load_dword v9, v[4:5], off
	s_waitcnt vmcnt(0)
	v_fmac_f32_e32 v0, s16, v9
.LBB30_21:
	global_store_dword v[4:5], v0, off
.LBB30_22:
	s_or_b64 exec, exec, s[2:3]
	v_cmp_le_i32_e32 vcc, v8, v6
	s_and_b64 s[2:3], vcc, s[4:5]
	s_and_saveexec_b64 s[4:5], s[2:3]
	s_cbranch_execz .LBB30_26
; %bb.23:
	v_mul_f32_e32 v4, s10, v1
	s_and_b64 vcc, exec, s[0:1]
	v_lshl_add_u64 v[0:1], v[6:7], 2, v[2:3]
	s_cbranch_vccnz .LBB30_25
; %bb.24:
	global_load_dword v2, v[0:1], off
	s_waitcnt vmcnt(0)
	v_fmac_f32_e32 v4, s16, v2
.LBB30_25:
	global_store_dword v[0:1], v4, off
.LBB30_26:
	s_endpgm
	.section	.rodata,"a",@progbits
	.p2align	6, 0x0
	.amdhsa_kernel _ZL29rocblas_internal_gemmt_kernelIiLi16ELi32ELi8ELc84ELc78ELc76ELb0ELb0EffPKfPfEviT_T9_T10_S3_lS5_S3_lS4_T11_S3_li
		.amdhsa_group_segment_fixed_size 2048
		.amdhsa_private_segment_fixed_size 0
		.amdhsa_kernarg_size 100
		.amdhsa_user_sgpr_count 2
		.amdhsa_user_sgpr_dispatch_ptr 0
		.amdhsa_user_sgpr_queue_ptr 0
		.amdhsa_user_sgpr_kernarg_segment_ptr 1
		.amdhsa_user_sgpr_dispatch_id 0
		.amdhsa_user_sgpr_kernarg_preload_length 0
		.amdhsa_user_sgpr_kernarg_preload_offset 0
		.amdhsa_user_sgpr_private_segment_size 0
		.amdhsa_uses_dynamic_stack 0
		.amdhsa_enable_private_segment 0
		.amdhsa_system_sgpr_workgroup_id_x 1
		.amdhsa_system_sgpr_workgroup_id_y 1
		.amdhsa_system_sgpr_workgroup_id_z 1
		.amdhsa_system_sgpr_workgroup_info 0
		.amdhsa_system_vgpr_workitem_id 1
		.amdhsa_next_free_vgpr 48
		.amdhsa_next_free_sgpr 23
		.amdhsa_accum_offset 48
		.amdhsa_reserve_vcc 1
		.amdhsa_float_round_mode_32 0
		.amdhsa_float_round_mode_16_64 0
		.amdhsa_float_denorm_mode_32 3
		.amdhsa_float_denorm_mode_16_64 3
		.amdhsa_dx10_clamp 1
		.amdhsa_ieee_mode 1
		.amdhsa_fp16_overflow 0
		.amdhsa_tg_split 0
		.amdhsa_exception_fp_ieee_invalid_op 0
		.amdhsa_exception_fp_denorm_src 0
		.amdhsa_exception_fp_ieee_div_zero 0
		.amdhsa_exception_fp_ieee_overflow 0
		.amdhsa_exception_fp_ieee_underflow 0
		.amdhsa_exception_fp_ieee_inexact 0
		.amdhsa_exception_int_div_zero 0
	.end_amdhsa_kernel
	.section	.text._ZL29rocblas_internal_gemmt_kernelIiLi16ELi32ELi8ELc84ELc78ELc76ELb0ELb0EffPKfPfEviT_T9_T10_S3_lS5_S3_lS4_T11_S3_li,"axG",@progbits,_ZL29rocblas_internal_gemmt_kernelIiLi16ELi32ELi8ELc84ELc78ELc76ELb0ELb0EffPKfPfEviT_T9_T10_S3_lS5_S3_lS4_T11_S3_li,comdat
.Lfunc_end30:
	.size	_ZL29rocblas_internal_gemmt_kernelIiLi16ELi32ELi8ELc84ELc78ELc76ELb0ELb0EffPKfPfEviT_T9_T10_S3_lS5_S3_lS4_T11_S3_li, .Lfunc_end30-_ZL29rocblas_internal_gemmt_kernelIiLi16ELi32ELi8ELc84ELc78ELc76ELb0ELb0EffPKfPfEviT_T9_T10_S3_lS5_S3_lS4_T11_S3_li
                                        ; -- End function
	.set _ZL29rocblas_internal_gemmt_kernelIiLi16ELi32ELi8ELc84ELc78ELc76ELb0ELb0EffPKfPfEviT_T9_T10_S3_lS5_S3_lS4_T11_S3_li.num_vgpr, 48
	.set _ZL29rocblas_internal_gemmt_kernelIiLi16ELi32ELi8ELc84ELc78ELc76ELb0ELb0EffPKfPfEviT_T9_T10_S3_lS5_S3_lS4_T11_S3_li.num_agpr, 0
	.set _ZL29rocblas_internal_gemmt_kernelIiLi16ELi32ELi8ELc84ELc78ELc76ELb0ELb0EffPKfPfEviT_T9_T10_S3_lS5_S3_lS4_T11_S3_li.numbered_sgpr, 23
	.set _ZL29rocblas_internal_gemmt_kernelIiLi16ELi32ELi8ELc84ELc78ELc76ELb0ELb0EffPKfPfEviT_T9_T10_S3_lS5_S3_lS4_T11_S3_li.num_named_barrier, 0
	.set _ZL29rocblas_internal_gemmt_kernelIiLi16ELi32ELi8ELc84ELc78ELc76ELb0ELb0EffPKfPfEviT_T9_T10_S3_lS5_S3_lS4_T11_S3_li.private_seg_size, 0
	.set _ZL29rocblas_internal_gemmt_kernelIiLi16ELi32ELi8ELc84ELc78ELc76ELb0ELb0EffPKfPfEviT_T9_T10_S3_lS5_S3_lS4_T11_S3_li.uses_vcc, 1
	.set _ZL29rocblas_internal_gemmt_kernelIiLi16ELi32ELi8ELc84ELc78ELc76ELb0ELb0EffPKfPfEviT_T9_T10_S3_lS5_S3_lS4_T11_S3_li.uses_flat_scratch, 0
	.set _ZL29rocblas_internal_gemmt_kernelIiLi16ELi32ELi8ELc84ELc78ELc76ELb0ELb0EffPKfPfEviT_T9_T10_S3_lS5_S3_lS4_T11_S3_li.has_dyn_sized_stack, 0
	.set _ZL29rocblas_internal_gemmt_kernelIiLi16ELi32ELi8ELc84ELc78ELc76ELb0ELb0EffPKfPfEviT_T9_T10_S3_lS5_S3_lS4_T11_S3_li.has_recursion, 0
	.set _ZL29rocblas_internal_gemmt_kernelIiLi16ELi32ELi8ELc84ELc78ELc76ELb0ELb0EffPKfPfEviT_T9_T10_S3_lS5_S3_lS4_T11_S3_li.has_indirect_call, 0
	.section	.AMDGPU.csdata,"",@progbits
; Kernel info:
; codeLenInByte = 1232
; TotalNumSgprs: 29
; NumVgprs: 48
; NumAgprs: 0
; TotalNumVgprs: 48
; ScratchSize: 0
; MemoryBound: 0
; FloatMode: 240
; IeeeMode: 1
; LDSByteSize: 2048 bytes/workgroup (compile time only)
; SGPRBlocks: 3
; VGPRBlocks: 5
; NumSGPRsForWavesPerEU: 29
; NumVGPRsForWavesPerEU: 48
; AccumOffset: 48
; Occupancy: 8
; WaveLimiterHint : 0
; COMPUTE_PGM_RSRC2:SCRATCH_EN: 0
; COMPUTE_PGM_RSRC2:USER_SGPR: 2
; COMPUTE_PGM_RSRC2:TRAP_HANDLER: 0
; COMPUTE_PGM_RSRC2:TGID_X_EN: 1
; COMPUTE_PGM_RSRC2:TGID_Y_EN: 1
; COMPUTE_PGM_RSRC2:TGID_Z_EN: 1
; COMPUTE_PGM_RSRC2:TIDIG_COMP_CNT: 1
; COMPUTE_PGM_RSRC3_GFX90A:ACCUM_OFFSET: 11
; COMPUTE_PGM_RSRC3_GFX90A:TG_SPLIT: 0
	.section	.text._ZL29rocblas_internal_gemmt_kernelIiLi16ELi32ELi8ELc84ELc84ELc76ELb0ELb0EffPKfPfEviT_T9_T10_S3_lS5_S3_lS4_T11_S3_li,"axG",@progbits,_ZL29rocblas_internal_gemmt_kernelIiLi16ELi32ELi8ELc84ELc84ELc76ELb0ELb0EffPKfPfEviT_T9_T10_S3_lS5_S3_lS4_T11_S3_li,comdat
	.globl	_ZL29rocblas_internal_gemmt_kernelIiLi16ELi32ELi8ELc84ELc84ELc76ELb0ELb0EffPKfPfEviT_T9_T10_S3_lS5_S3_lS4_T11_S3_li ; -- Begin function _ZL29rocblas_internal_gemmt_kernelIiLi16ELi32ELi8ELc84ELc84ELc76ELb0ELb0EffPKfPfEviT_T9_T10_S3_lS5_S3_lS4_T11_S3_li
	.p2align	8
	.type	_ZL29rocblas_internal_gemmt_kernelIiLi16ELi32ELi8ELc84ELc84ELc76ELb0ELb0EffPKfPfEviT_T9_T10_S3_lS5_S3_lS4_T11_S3_li,@function
_ZL29rocblas_internal_gemmt_kernelIiLi16ELi32ELi8ELc84ELc84ELc76ELb0ELb0EffPKfPfEviT_T9_T10_S3_lS5_S3_lS4_T11_S3_li: ; @_ZL29rocblas_internal_gemmt_kernelIiLi16ELi32ELi8ELc84ELc84ELc76ELb0ELb0EffPKfPfEviT_T9_T10_S3_lS5_S3_lS4_T11_S3_li
; %bb.0:
	s_load_dword s16, s[0:1], 0x40
	s_load_dwordx4 s[8:11], s[0:1], 0x0
	s_waitcnt lgkmcnt(0)
	v_cmp_neq_f32_e64 s[6:7], s16, 1.0
	s_and_b64 vcc, exec, s[6:7]
	s_cbranch_vccnz .LBB31_2
; %bb.1:
	s_cmp_lg_u32 s9, 0
	s_cselect_b64 s[6:7], -1, 0
	v_cmp_neq_f32_e64 s[12:13], s10, 0
	s_and_b64 s[6:7], s[6:7], s[12:13]
.LBB31_2:
	s_andn2_b64 vcc, exec, s[6:7]
	s_cbranch_vccnz .LBB31_26
; %bb.3:
	s_lshl_b32 s5, s2, 5
	s_lshl_b32 s11, s3, 5
	s_cmp_lt_i32 s9, 1
	v_cmp_eq_f32_e64 s[2:3], s10, 0
	s_cselect_b64 s[6:7], -1, 0
	v_mov_b32_e32 v3, 0
	s_or_b64 s[2:3], s[2:3], s[6:7]
	v_and_b32_e32 v8, 0x3ff, v0
	v_bfe_u32 v9, v0, 10, 10
	s_mov_b32 s17, 0
	s_and_b64 vcc, exec, s[2:3]
	v_mov_b32_e32 v2, v3
	v_mov_b32_e32 v1, v3
	;; [unrolled: 1-line block ×3, first 2 shown]
	s_cbranch_vccnz .LBB31_10
; %bb.4:
	v_lshl_add_u32 v0, v9, 4, v8
	v_lshrrev_b32_e32 v11, 5, v0
	v_lshrrev_b32_e32 v1, 3, v0
	v_and_b32_e32 v0, 31, v0
	v_or_b32_e32 v3, s5, v0
	v_and_b32_e32 v10, 7, v8
	s_load_dwordx4 s[12:15], s[0:1], 0x20
	s_load_dword s6, s[0:1], 0x30
	s_load_dwordx2 s[18:19], s[0:1], 0x10
	s_load_dword s22, s[0:1], 0x18
	s_load_dwordx2 s[20:21], s[0:1], 0x38
	v_cmp_gt_i32_e32 vcc, s8, v3
	v_lshlrev_b32_e32 v3, 2, v0
	v_lshl_or_b32 v12, v11, 7, v3
	v_lshlrev_b32_e32 v3, 2, v10
	v_add_u32_e32 v2, s11, v1
	v_lshl_or_b32 v1, v1, 5, v3
	v_add_u32_e32 v13, 0x400, v1
	v_mov_b32_e32 v1, 0x400
	v_add_u32_e32 v0, s5, v0
	v_lshl_add_u32 v15, v9, 5, v1
	s_waitcnt lgkmcnt(0)
	v_mad_i64_i32 v[0:1], s[22:23], s22, v0, 0
	s_mul_i32 s13, s13, s4
	s_mul_hi_u32 s22, s12, s4
	s_add_i32 s13, s22, s13
	s_mul_i32 s12, s12, s4
	s_lshl_b64 s[12:13], s[12:13], 2
	v_lshl_add_u64 v[4:5], v[0:1], 2, s[12:13]
	v_lshlrev_b32_e32 v0, 2, v11
	v_mov_b32_e32 v1, 0
	v_lshl_add_u64 v[4:5], v[4:5], 0, v[0:1]
	v_lshl_add_u64 v[4:5], s[18:19], 0, v[4:5]
	s_mul_i32 s12, s21, s4
	s_mul_hi_u32 s13, s20, s4
	v_mad_i64_i32 v[6:7], s[18:19], s6, v10, 0
	s_add_i32 s13, s13, s12
	s_mul_i32 s12, s20, s4
	v_lshlrev_b64 v[6:7], 2, v[6:7]
	v_ashrrev_i32_e32 v3, 31, v2
	v_lshl_add_u64 v[6:7], s[12:13], 2, v[6:7]
	s_ashr_i32 s7, s6, 31
	v_cmp_gt_i32_e64 s[2:3], s8, v2
	v_lshl_add_u64 v[2:3], v[2:3], 2, v[6:7]
	v_lshlrev_b32_e32 v14, 2, v8
	v_lshl_add_u64 v[6:7], s[14:15], 0, v[2:3]
	s_lshl_b64 s[12:13], s[6:7], 5
	v_mov_b32_e32 v0, v1
	v_mov_b32_e32 v2, v1
	;; [unrolled: 1-line block ×3, first 2 shown]
	s_branch .LBB31_6
.LBB31_5:                               ;   in Loop: Header=BB31_6 Depth=1
	s_or_b64 exec, exec, s[6:7]
	s_waitcnt vmcnt(0)
	ds_write_b32 v13, v16
	s_waitcnt lgkmcnt(0)
	s_barrier
	ds_read_b128 v[16:19], v15
	ds_read_b128 v[20:23], v15 offset:16
	ds_read2_b32 v[32:33], v14 offset1:16
	ds_read2_b32 v[34:35], v14 offset0:32 offset1:48
	ds_read2_b32 v[36:37], v14 offset0:64 offset1:80
	;; [unrolled: 1-line block ×4, first 2 shown]
	ds_read_b128 v[24:27], v15 offset:512
	ds_read_b128 v[28:31], v15 offset:528
	ds_read2_b32 v[42:43], v14 offset0:160 offset1:176
	ds_read2_b32 v[44:45], v14 offset0:192 offset1:208
	;; [unrolled: 1-line block ×3, first 2 shown]
	s_waitcnt lgkmcnt(9)
	v_pk_fma_f32 v[2:3], v[32:33], v[16:17], v[2:3] op_sel_hi:[1,0,1]
	s_waitcnt lgkmcnt(4)
	v_pk_fma_f32 v[0:1], v[32:33], v[24:25], v[0:1] op_sel_hi:[1,0,1]
	v_pk_fma_f32 v[2:3], v[34:35], v[16:17], v[2:3] op_sel:[0,1,0]
	v_mov_b32_e32 v16, v19
	v_pk_fma_f32 v[2:3], v[36:37], v[18:19], v[2:3] op_sel_hi:[1,0,1]
	v_pk_fma_f32 v[0:1], v[34:35], v[24:25], v[0:1] op_sel:[0,1,0]
	v_pk_fma_f32 v[2:3], v[38:39], v[16:17], v[2:3] op_sel_hi:[1,0,1]
	v_mov_b32_e32 v16, v23
	v_pk_fma_f32 v[2:3], v[40:41], v[20:21], v[2:3] op_sel_hi:[1,0,1]
	v_pk_fma_f32 v[0:1], v[36:37], v[26:27], v[0:1] op_sel_hi:[1,0,1]
	s_waitcnt lgkmcnt(2)
	v_pk_fma_f32 v[2:3], v[42:43], v[20:21], v[2:3] op_sel:[0,1,0]
	s_add_i32 s17, s17, 8
	s_waitcnt lgkmcnt(1)
	v_pk_fma_f32 v[2:3], v[44:45], v[22:23], v[2:3] op_sel_hi:[1,0,1]
	v_lshl_add_u64 v[4:5], v[4:5], 0, 32
	s_waitcnt lgkmcnt(0)
	v_pk_fma_f32 v[2:3], v[46:47], v[16:17], v[2:3] op_sel_hi:[1,0,1]
	v_mov_b32_e32 v16, v27
	v_pk_fma_f32 v[0:1], v[38:39], v[16:17], v[0:1] op_sel_hi:[1,0,1]
	v_mov_b32_e32 v16, v31
	v_pk_fma_f32 v[0:1], v[40:41], v[28:29], v[0:1] op_sel_hi:[1,0,1]
	s_cmp_lt_i32 s17, s9
	v_pk_fma_f32 v[0:1], v[42:43], v[28:29], v[0:1] op_sel:[0,1,0]
	v_lshl_add_u64 v[6:7], v[6:7], 0, s[12:13]
	v_pk_fma_f32 v[0:1], v[44:45], v[30:31], v[0:1] op_sel_hi:[1,0,1]
	s_nop 0
	v_pk_fma_f32 v[0:1], v[46:47], v[16:17], v[0:1] op_sel_hi:[1,0,1]
	s_barrier
	s_cbranch_scc0 .LBB31_10
.LBB31_6:                               ; =>This Inner Loop Header: Depth=1
	v_add_u32_e32 v16, s17, v11
	v_cmp_gt_i32_e64 s[6:7], s9, v16
	s_and_b64 s[14:15], vcc, s[6:7]
	v_mov_b32_e32 v16, 0
	s_and_saveexec_b64 s[6:7], s[14:15]
	s_cbranch_execz .LBB31_8
; %bb.7:                                ;   in Loop: Header=BB31_6 Depth=1
	global_load_dword v16, v[4:5], off
.LBB31_8:                               ;   in Loop: Header=BB31_6 Depth=1
	s_or_b64 exec, exec, s[6:7]
	s_waitcnt vmcnt(0)
	ds_write_b32 v12, v16
	v_add_u32_e32 v16, s17, v10
	v_cmp_gt_i32_e64 s[6:7], s9, v16
	s_and_b64 s[14:15], s[6:7], s[2:3]
	v_mov_b32_e32 v16, 0
	s_and_saveexec_b64 s[6:7], s[14:15]
	s_cbranch_execz .LBB31_5
; %bb.9:                                ;   in Loop: Header=BB31_6 Depth=1
	global_load_dword v16, v[6:7], off
	s_branch .LBB31_5
.LBB31_10:
	s_load_dwordx2 s[2:3], s[0:1], 0x58
	s_load_dwordx2 s[6:7], s[0:1], 0x48
	s_load_dword s12, s[0:1], 0x50
	v_add_u32_e32 v10, s11, v9
	v_add_u32_e32 v4, s5, v8
	s_waitcnt lgkmcnt(0)
	s_mul_i32 s1, s3, s4
	s_mul_hi_u32 s3, s2, s4
	s_mul_i32 s0, s2, s4
	s_add_i32 s1, s3, s1
	s_lshl_b64 s[0:1], s[0:1], 2
	s_add_u32 s6, s6, s0
	s_addc_u32 s7, s7, s1
	v_mad_i64_i32 v[6:7], s[0:1], v10, s12, 0
	v_cmp_neq_f32_e64 s[0:1], s16, 0
	v_lshl_add_u64 v[8:9], v[6:7], 2, s[6:7]
	v_cmp_le_i32_e32 vcc, v10, v4
	v_cmp_gt_i32_e64 s[2:3], s8, v4
	v_cndmask_b32_e64 v6, 0, 1, s[0:1]
	s_and_b64 s[14:15], vcc, s[2:3]
	v_ashrrev_i32_e32 v5, 31, v4
	v_cmp_ne_u32_e64 s[0:1], 1, v6
	s_and_saveexec_b64 s[4:5], s[14:15]
	s_cbranch_execz .LBB31_14
; %bb.11:
	v_mul_f32_e32 v2, s10, v2
	s_and_b64 vcc, exec, s[0:1]
	v_lshl_add_u64 v[6:7], v[4:5], 2, v[8:9]
	s_cbranch_vccnz .LBB31_13
; %bb.12:
	global_load_dword v11, v[6:7], off
	s_waitcnt vmcnt(0)
	v_fmac_f32_e32 v2, s16, v11
.LBB31_13:
	global_store_dword v[6:7], v2, off
.LBB31_14:
	s_or_b64 exec, exec, s[4:5]
	v_add_u32_e32 v6, 16, v4
	v_cmp_le_i32_e32 vcc, v10, v6
	v_cmp_gt_i32_e64 s[4:5], s8, v6
	s_and_b64 s[14:15], vcc, s[4:5]
	v_ashrrev_i32_e32 v7, 31, v6
	s_and_saveexec_b64 s[8:9], s[14:15]
	s_cbranch_execz .LBB31_18
; %bb.15:
	v_mul_f32_e32 v11, s10, v3
	s_and_b64 vcc, exec, s[0:1]
	v_lshl_add_u64 v[2:3], v[6:7], 2, v[8:9]
	s_cbranch_vccnz .LBB31_17
; %bb.16:
	global_load_dword v8, v[2:3], off
	s_waitcnt vmcnt(0)
	v_fmac_f32_e32 v11, s16, v8
.LBB31_17:
	global_store_dword v[2:3], v11, off
.LBB31_18:
	s_or_b64 exec, exec, s[8:9]
	v_add_u32_e32 v8, 16, v10
	v_mad_i64_i32 v[2:3], s[8:9], v8, s12, 0
	v_cmp_le_i32_e32 vcc, v8, v4
	v_lshl_add_u64 v[2:3], v[2:3], 2, s[6:7]
	s_and_b64 s[6:7], vcc, s[2:3]
	s_and_saveexec_b64 s[2:3], s[6:7]
	s_cbranch_execz .LBB31_22
; %bb.19:
	v_mul_f32_e32 v0, s10, v0
	s_and_b64 vcc, exec, s[0:1]
	v_lshl_add_u64 v[4:5], v[4:5], 2, v[2:3]
	s_cbranch_vccnz .LBB31_21
; %bb.20:
	global_load_dword v9, v[4:5], off
	s_waitcnt vmcnt(0)
	v_fmac_f32_e32 v0, s16, v9
.LBB31_21:
	global_store_dword v[4:5], v0, off
.LBB31_22:
	s_or_b64 exec, exec, s[2:3]
	v_cmp_le_i32_e32 vcc, v8, v6
	s_and_b64 s[2:3], vcc, s[4:5]
	s_and_saveexec_b64 s[4:5], s[2:3]
	s_cbranch_execz .LBB31_26
; %bb.23:
	v_mul_f32_e32 v4, s10, v1
	s_and_b64 vcc, exec, s[0:1]
	v_lshl_add_u64 v[0:1], v[6:7], 2, v[2:3]
	s_cbranch_vccnz .LBB31_25
; %bb.24:
	global_load_dword v2, v[0:1], off
	s_waitcnt vmcnt(0)
	v_fmac_f32_e32 v4, s16, v2
.LBB31_25:
	global_store_dword v[0:1], v4, off
.LBB31_26:
	s_endpgm
	.section	.rodata,"a",@progbits
	.p2align	6, 0x0
	.amdhsa_kernel _ZL29rocblas_internal_gemmt_kernelIiLi16ELi32ELi8ELc84ELc84ELc76ELb0ELb0EffPKfPfEviT_T9_T10_S3_lS5_S3_lS4_T11_S3_li
		.amdhsa_group_segment_fixed_size 2048
		.amdhsa_private_segment_fixed_size 0
		.amdhsa_kernarg_size 100
		.amdhsa_user_sgpr_count 2
		.amdhsa_user_sgpr_dispatch_ptr 0
		.amdhsa_user_sgpr_queue_ptr 0
		.amdhsa_user_sgpr_kernarg_segment_ptr 1
		.amdhsa_user_sgpr_dispatch_id 0
		.amdhsa_user_sgpr_kernarg_preload_length 0
		.amdhsa_user_sgpr_kernarg_preload_offset 0
		.amdhsa_user_sgpr_private_segment_size 0
		.amdhsa_uses_dynamic_stack 0
		.amdhsa_enable_private_segment 0
		.amdhsa_system_sgpr_workgroup_id_x 1
		.amdhsa_system_sgpr_workgroup_id_y 1
		.amdhsa_system_sgpr_workgroup_id_z 1
		.amdhsa_system_sgpr_workgroup_info 0
		.amdhsa_system_vgpr_workitem_id 1
		.amdhsa_next_free_vgpr 48
		.amdhsa_next_free_sgpr 24
		.amdhsa_accum_offset 48
		.amdhsa_reserve_vcc 1
		.amdhsa_float_round_mode_32 0
		.amdhsa_float_round_mode_16_64 0
		.amdhsa_float_denorm_mode_32 3
		.amdhsa_float_denorm_mode_16_64 3
		.amdhsa_dx10_clamp 1
		.amdhsa_ieee_mode 1
		.amdhsa_fp16_overflow 0
		.amdhsa_tg_split 0
		.amdhsa_exception_fp_ieee_invalid_op 0
		.amdhsa_exception_fp_denorm_src 0
		.amdhsa_exception_fp_ieee_div_zero 0
		.amdhsa_exception_fp_ieee_overflow 0
		.amdhsa_exception_fp_ieee_underflow 0
		.amdhsa_exception_fp_ieee_inexact 0
		.amdhsa_exception_int_div_zero 0
	.end_amdhsa_kernel
	.section	.text._ZL29rocblas_internal_gemmt_kernelIiLi16ELi32ELi8ELc84ELc84ELc76ELb0ELb0EffPKfPfEviT_T9_T10_S3_lS5_S3_lS4_T11_S3_li,"axG",@progbits,_ZL29rocblas_internal_gemmt_kernelIiLi16ELi32ELi8ELc84ELc84ELc76ELb0ELb0EffPKfPfEviT_T9_T10_S3_lS5_S3_lS4_T11_S3_li,comdat
.Lfunc_end31:
	.size	_ZL29rocblas_internal_gemmt_kernelIiLi16ELi32ELi8ELc84ELc84ELc76ELb0ELb0EffPKfPfEviT_T9_T10_S3_lS5_S3_lS4_T11_S3_li, .Lfunc_end31-_ZL29rocblas_internal_gemmt_kernelIiLi16ELi32ELi8ELc84ELc84ELc76ELb0ELb0EffPKfPfEviT_T9_T10_S3_lS5_S3_lS4_T11_S3_li
                                        ; -- End function
	.set _ZL29rocblas_internal_gemmt_kernelIiLi16ELi32ELi8ELc84ELc84ELc76ELb0ELb0EffPKfPfEviT_T9_T10_S3_lS5_S3_lS4_T11_S3_li.num_vgpr, 48
	.set _ZL29rocblas_internal_gemmt_kernelIiLi16ELi32ELi8ELc84ELc84ELc76ELb0ELb0EffPKfPfEviT_T9_T10_S3_lS5_S3_lS4_T11_S3_li.num_agpr, 0
	.set _ZL29rocblas_internal_gemmt_kernelIiLi16ELi32ELi8ELc84ELc84ELc76ELb0ELb0EffPKfPfEviT_T9_T10_S3_lS5_S3_lS4_T11_S3_li.numbered_sgpr, 24
	.set _ZL29rocblas_internal_gemmt_kernelIiLi16ELi32ELi8ELc84ELc84ELc76ELb0ELb0EffPKfPfEviT_T9_T10_S3_lS5_S3_lS4_T11_S3_li.num_named_barrier, 0
	.set _ZL29rocblas_internal_gemmt_kernelIiLi16ELi32ELi8ELc84ELc84ELc76ELb0ELb0EffPKfPfEviT_T9_T10_S3_lS5_S3_lS4_T11_S3_li.private_seg_size, 0
	.set _ZL29rocblas_internal_gemmt_kernelIiLi16ELi32ELi8ELc84ELc84ELc76ELb0ELb0EffPKfPfEviT_T9_T10_S3_lS5_S3_lS4_T11_S3_li.uses_vcc, 1
	.set _ZL29rocblas_internal_gemmt_kernelIiLi16ELi32ELi8ELc84ELc84ELc76ELb0ELb0EffPKfPfEviT_T9_T10_S3_lS5_S3_lS4_T11_S3_li.uses_flat_scratch, 0
	.set _ZL29rocblas_internal_gemmt_kernelIiLi16ELi32ELi8ELc84ELc84ELc76ELb0ELb0EffPKfPfEviT_T9_T10_S3_lS5_S3_lS4_T11_S3_li.has_dyn_sized_stack, 0
	.set _ZL29rocblas_internal_gemmt_kernelIiLi16ELi32ELi8ELc84ELc84ELc76ELb0ELb0EffPKfPfEviT_T9_T10_S3_lS5_S3_lS4_T11_S3_li.has_recursion, 0
	.set _ZL29rocblas_internal_gemmt_kernelIiLi16ELi32ELi8ELc84ELc84ELc76ELb0ELb0EffPKfPfEviT_T9_T10_S3_lS5_S3_lS4_T11_S3_li.has_indirect_call, 0
	.section	.AMDGPU.csdata,"",@progbits
; Kernel info:
; codeLenInByte = 1244
; TotalNumSgprs: 30
; NumVgprs: 48
; NumAgprs: 0
; TotalNumVgprs: 48
; ScratchSize: 0
; MemoryBound: 0
; FloatMode: 240
; IeeeMode: 1
; LDSByteSize: 2048 bytes/workgroup (compile time only)
; SGPRBlocks: 3
; VGPRBlocks: 5
; NumSGPRsForWavesPerEU: 30
; NumVGPRsForWavesPerEU: 48
; AccumOffset: 48
; Occupancy: 8
; WaveLimiterHint : 0
; COMPUTE_PGM_RSRC2:SCRATCH_EN: 0
; COMPUTE_PGM_RSRC2:USER_SGPR: 2
; COMPUTE_PGM_RSRC2:TRAP_HANDLER: 0
; COMPUTE_PGM_RSRC2:TGID_X_EN: 1
; COMPUTE_PGM_RSRC2:TGID_Y_EN: 1
; COMPUTE_PGM_RSRC2:TGID_Z_EN: 1
; COMPUTE_PGM_RSRC2:TIDIG_COMP_CNT: 1
; COMPUTE_PGM_RSRC3_GFX90A:ACCUM_OFFSET: 11
; COMPUTE_PGM_RSRC3_GFX90A:TG_SPLIT: 0
	.section	.text._ZL29rocblas_internal_gemmt_kernelIiLi16ELi32ELi8ELc84ELc67ELc76ELb0ELb0EffPKfPfEviT_T9_T10_S3_lS5_S3_lS4_T11_S3_li,"axG",@progbits,_ZL29rocblas_internal_gemmt_kernelIiLi16ELi32ELi8ELc84ELc67ELc76ELb0ELb0EffPKfPfEviT_T9_T10_S3_lS5_S3_lS4_T11_S3_li,comdat
	.globl	_ZL29rocblas_internal_gemmt_kernelIiLi16ELi32ELi8ELc84ELc67ELc76ELb0ELb0EffPKfPfEviT_T9_T10_S3_lS5_S3_lS4_T11_S3_li ; -- Begin function _ZL29rocblas_internal_gemmt_kernelIiLi16ELi32ELi8ELc84ELc67ELc76ELb0ELb0EffPKfPfEviT_T9_T10_S3_lS5_S3_lS4_T11_S3_li
	.p2align	8
	.type	_ZL29rocblas_internal_gemmt_kernelIiLi16ELi32ELi8ELc84ELc67ELc76ELb0ELb0EffPKfPfEviT_T9_T10_S3_lS5_S3_lS4_T11_S3_li,@function
_ZL29rocblas_internal_gemmt_kernelIiLi16ELi32ELi8ELc84ELc67ELc76ELb0ELb0EffPKfPfEviT_T9_T10_S3_lS5_S3_lS4_T11_S3_li: ; @_ZL29rocblas_internal_gemmt_kernelIiLi16ELi32ELi8ELc84ELc67ELc76ELb0ELb0EffPKfPfEviT_T9_T10_S3_lS5_S3_lS4_T11_S3_li
; %bb.0:
	s_load_dword s16, s[0:1], 0x40
	s_load_dwordx4 s[8:11], s[0:1], 0x0
	s_waitcnt lgkmcnt(0)
	v_cmp_neq_f32_e64 s[6:7], s16, 1.0
	s_and_b64 vcc, exec, s[6:7]
	s_cbranch_vccnz .LBB32_2
; %bb.1:
	s_cmp_lg_u32 s9, 0
	s_cselect_b64 s[6:7], -1, 0
	v_cmp_neq_f32_e64 s[12:13], s10, 0
	s_and_b64 s[6:7], s[6:7], s[12:13]
.LBB32_2:
	s_andn2_b64 vcc, exec, s[6:7]
	s_cbranch_vccnz .LBB32_26
; %bb.3:
	s_lshl_b32 s5, s2, 5
	s_lshl_b32 s11, s3, 5
	s_cmp_lt_i32 s9, 1
	v_cmp_eq_f32_e64 s[2:3], s10, 0
	s_cselect_b64 s[6:7], -1, 0
	v_mov_b32_e32 v3, 0
	s_or_b64 s[2:3], s[2:3], s[6:7]
	v_and_b32_e32 v8, 0x3ff, v0
	v_bfe_u32 v9, v0, 10, 10
	s_mov_b32 s17, 0
	s_and_b64 vcc, exec, s[2:3]
	v_mov_b32_e32 v2, v3
	v_mov_b32_e32 v1, v3
	;; [unrolled: 1-line block ×3, first 2 shown]
	s_cbranch_vccnz .LBB32_10
; %bb.4:
	v_lshl_add_u32 v0, v9, 4, v8
	v_lshrrev_b32_e32 v11, 5, v0
	v_lshrrev_b32_e32 v1, 3, v0
	v_and_b32_e32 v0, 31, v0
	v_or_b32_e32 v3, s5, v0
	v_and_b32_e32 v10, 7, v8
	s_load_dwordx4 s[12:15], s[0:1], 0x20
	s_load_dword s6, s[0:1], 0x30
	s_load_dwordx2 s[18:19], s[0:1], 0x10
	s_load_dword s22, s[0:1], 0x18
	s_load_dwordx2 s[20:21], s[0:1], 0x38
	v_cmp_gt_i32_e32 vcc, s8, v3
	v_lshlrev_b32_e32 v3, 2, v0
	v_lshl_or_b32 v12, v11, 7, v3
	v_lshlrev_b32_e32 v3, 2, v10
	v_add_u32_e32 v2, s11, v1
	v_lshl_or_b32 v1, v1, 5, v3
	v_add_u32_e32 v13, 0x400, v1
	v_mov_b32_e32 v1, 0x400
	v_add_u32_e32 v0, s5, v0
	v_lshl_add_u32 v15, v9, 5, v1
	s_waitcnt lgkmcnt(0)
	v_mad_i64_i32 v[0:1], s[22:23], s22, v0, 0
	s_mul_i32 s13, s13, s4
	s_mul_hi_u32 s22, s12, s4
	s_add_i32 s13, s22, s13
	s_mul_i32 s12, s12, s4
	s_lshl_b64 s[12:13], s[12:13], 2
	v_lshl_add_u64 v[4:5], v[0:1], 2, s[12:13]
	v_lshlrev_b32_e32 v0, 2, v11
	v_mov_b32_e32 v1, 0
	v_lshl_add_u64 v[4:5], v[4:5], 0, v[0:1]
	v_lshl_add_u64 v[4:5], s[18:19], 0, v[4:5]
	s_mul_i32 s12, s21, s4
	s_mul_hi_u32 s13, s20, s4
	v_mad_i64_i32 v[6:7], s[18:19], s6, v10, 0
	s_add_i32 s13, s13, s12
	s_mul_i32 s12, s20, s4
	v_lshlrev_b64 v[6:7], 2, v[6:7]
	v_ashrrev_i32_e32 v3, 31, v2
	v_lshl_add_u64 v[6:7], s[12:13], 2, v[6:7]
	s_ashr_i32 s7, s6, 31
	v_cmp_gt_i32_e64 s[2:3], s8, v2
	v_lshl_add_u64 v[2:3], v[2:3], 2, v[6:7]
	v_lshlrev_b32_e32 v14, 2, v8
	v_lshl_add_u64 v[6:7], s[14:15], 0, v[2:3]
	s_lshl_b64 s[12:13], s[6:7], 5
	v_mov_b32_e32 v0, v1
	v_mov_b32_e32 v2, v1
	v_mov_b32_e32 v3, v1
	s_branch .LBB32_6
.LBB32_5:                               ;   in Loop: Header=BB32_6 Depth=1
	s_or_b64 exec, exec, s[6:7]
	s_waitcnt vmcnt(0)
	ds_write_b32 v13, v16
	s_waitcnt lgkmcnt(0)
	s_barrier
	ds_read_b128 v[16:19], v15
	ds_read_b128 v[20:23], v15 offset:16
	ds_read2_b32 v[32:33], v14 offset1:16
	ds_read2_b32 v[34:35], v14 offset0:32 offset1:48
	ds_read2_b32 v[36:37], v14 offset0:64 offset1:80
	;; [unrolled: 1-line block ×4, first 2 shown]
	ds_read_b128 v[24:27], v15 offset:512
	ds_read_b128 v[28:31], v15 offset:528
	ds_read2_b32 v[42:43], v14 offset0:160 offset1:176
	ds_read2_b32 v[44:45], v14 offset0:192 offset1:208
	;; [unrolled: 1-line block ×3, first 2 shown]
	s_waitcnt lgkmcnt(9)
	v_pk_fma_f32 v[2:3], v[32:33], v[16:17], v[2:3] op_sel_hi:[1,0,1]
	s_waitcnt lgkmcnt(4)
	v_pk_fma_f32 v[0:1], v[32:33], v[24:25], v[0:1] op_sel_hi:[1,0,1]
	v_pk_fma_f32 v[2:3], v[34:35], v[16:17], v[2:3] op_sel:[0,1,0]
	v_mov_b32_e32 v16, v19
	v_pk_fma_f32 v[2:3], v[36:37], v[18:19], v[2:3] op_sel_hi:[1,0,1]
	v_pk_fma_f32 v[0:1], v[34:35], v[24:25], v[0:1] op_sel:[0,1,0]
	v_pk_fma_f32 v[2:3], v[38:39], v[16:17], v[2:3] op_sel_hi:[1,0,1]
	v_mov_b32_e32 v16, v23
	v_pk_fma_f32 v[2:3], v[40:41], v[20:21], v[2:3] op_sel_hi:[1,0,1]
	v_pk_fma_f32 v[0:1], v[36:37], v[26:27], v[0:1] op_sel_hi:[1,0,1]
	s_waitcnt lgkmcnt(2)
	v_pk_fma_f32 v[2:3], v[42:43], v[20:21], v[2:3] op_sel:[0,1,0]
	s_add_i32 s17, s17, 8
	s_waitcnt lgkmcnt(1)
	v_pk_fma_f32 v[2:3], v[44:45], v[22:23], v[2:3] op_sel_hi:[1,0,1]
	v_lshl_add_u64 v[4:5], v[4:5], 0, 32
	s_waitcnt lgkmcnt(0)
	v_pk_fma_f32 v[2:3], v[46:47], v[16:17], v[2:3] op_sel_hi:[1,0,1]
	v_mov_b32_e32 v16, v27
	v_pk_fma_f32 v[0:1], v[38:39], v[16:17], v[0:1] op_sel_hi:[1,0,1]
	v_mov_b32_e32 v16, v31
	v_pk_fma_f32 v[0:1], v[40:41], v[28:29], v[0:1] op_sel_hi:[1,0,1]
	s_cmp_lt_i32 s17, s9
	v_pk_fma_f32 v[0:1], v[42:43], v[28:29], v[0:1] op_sel:[0,1,0]
	v_lshl_add_u64 v[6:7], v[6:7], 0, s[12:13]
	v_pk_fma_f32 v[0:1], v[44:45], v[30:31], v[0:1] op_sel_hi:[1,0,1]
	s_nop 0
	v_pk_fma_f32 v[0:1], v[46:47], v[16:17], v[0:1] op_sel_hi:[1,0,1]
	s_barrier
	s_cbranch_scc0 .LBB32_10
.LBB32_6:                               ; =>This Inner Loop Header: Depth=1
	v_add_u32_e32 v16, s17, v11
	v_cmp_gt_i32_e64 s[6:7], s9, v16
	s_and_b64 s[14:15], vcc, s[6:7]
	v_mov_b32_e32 v16, 0
	s_and_saveexec_b64 s[6:7], s[14:15]
	s_cbranch_execz .LBB32_8
; %bb.7:                                ;   in Loop: Header=BB32_6 Depth=1
	global_load_dword v16, v[4:5], off
.LBB32_8:                               ;   in Loop: Header=BB32_6 Depth=1
	s_or_b64 exec, exec, s[6:7]
	s_waitcnt vmcnt(0)
	ds_write_b32 v12, v16
	v_add_u32_e32 v16, s17, v10
	v_cmp_gt_i32_e64 s[6:7], s9, v16
	s_and_b64 s[14:15], s[6:7], s[2:3]
	v_mov_b32_e32 v16, 0
	s_and_saveexec_b64 s[6:7], s[14:15]
	s_cbranch_execz .LBB32_5
; %bb.9:                                ;   in Loop: Header=BB32_6 Depth=1
	global_load_dword v16, v[6:7], off
	s_branch .LBB32_5
.LBB32_10:
	s_load_dwordx2 s[2:3], s[0:1], 0x58
	s_load_dwordx2 s[6:7], s[0:1], 0x48
	s_load_dword s12, s[0:1], 0x50
	v_add_u32_e32 v10, s11, v9
	v_add_u32_e32 v4, s5, v8
	s_waitcnt lgkmcnt(0)
	s_mul_i32 s1, s3, s4
	s_mul_hi_u32 s3, s2, s4
	s_mul_i32 s0, s2, s4
	s_add_i32 s1, s3, s1
	s_lshl_b64 s[0:1], s[0:1], 2
	s_add_u32 s6, s6, s0
	s_addc_u32 s7, s7, s1
	v_mad_i64_i32 v[6:7], s[0:1], v10, s12, 0
	v_cmp_neq_f32_e64 s[0:1], s16, 0
	v_lshl_add_u64 v[8:9], v[6:7], 2, s[6:7]
	v_cmp_le_i32_e32 vcc, v10, v4
	v_cmp_gt_i32_e64 s[2:3], s8, v4
	v_cndmask_b32_e64 v6, 0, 1, s[0:1]
	s_and_b64 s[14:15], vcc, s[2:3]
	v_ashrrev_i32_e32 v5, 31, v4
	v_cmp_ne_u32_e64 s[0:1], 1, v6
	s_and_saveexec_b64 s[4:5], s[14:15]
	s_cbranch_execz .LBB32_14
; %bb.11:
	v_mul_f32_e32 v2, s10, v2
	s_and_b64 vcc, exec, s[0:1]
	v_lshl_add_u64 v[6:7], v[4:5], 2, v[8:9]
	s_cbranch_vccnz .LBB32_13
; %bb.12:
	global_load_dword v11, v[6:7], off
	s_waitcnt vmcnt(0)
	v_fmac_f32_e32 v2, s16, v11
.LBB32_13:
	global_store_dword v[6:7], v2, off
.LBB32_14:
	s_or_b64 exec, exec, s[4:5]
	v_add_u32_e32 v6, 16, v4
	v_cmp_le_i32_e32 vcc, v10, v6
	v_cmp_gt_i32_e64 s[4:5], s8, v6
	s_and_b64 s[14:15], vcc, s[4:5]
	v_ashrrev_i32_e32 v7, 31, v6
	s_and_saveexec_b64 s[8:9], s[14:15]
	s_cbranch_execz .LBB32_18
; %bb.15:
	v_mul_f32_e32 v11, s10, v3
	s_and_b64 vcc, exec, s[0:1]
	v_lshl_add_u64 v[2:3], v[6:7], 2, v[8:9]
	s_cbranch_vccnz .LBB32_17
; %bb.16:
	global_load_dword v8, v[2:3], off
	s_waitcnt vmcnt(0)
	v_fmac_f32_e32 v11, s16, v8
.LBB32_17:
	global_store_dword v[2:3], v11, off
.LBB32_18:
	s_or_b64 exec, exec, s[8:9]
	v_add_u32_e32 v8, 16, v10
	v_mad_i64_i32 v[2:3], s[8:9], v8, s12, 0
	v_cmp_le_i32_e32 vcc, v8, v4
	v_lshl_add_u64 v[2:3], v[2:3], 2, s[6:7]
	s_and_b64 s[6:7], vcc, s[2:3]
	s_and_saveexec_b64 s[2:3], s[6:7]
	s_cbranch_execz .LBB32_22
; %bb.19:
	v_mul_f32_e32 v0, s10, v0
	s_and_b64 vcc, exec, s[0:1]
	v_lshl_add_u64 v[4:5], v[4:5], 2, v[2:3]
	s_cbranch_vccnz .LBB32_21
; %bb.20:
	global_load_dword v9, v[4:5], off
	s_waitcnt vmcnt(0)
	v_fmac_f32_e32 v0, s16, v9
.LBB32_21:
	global_store_dword v[4:5], v0, off
.LBB32_22:
	s_or_b64 exec, exec, s[2:3]
	v_cmp_le_i32_e32 vcc, v8, v6
	s_and_b64 s[2:3], vcc, s[4:5]
	s_and_saveexec_b64 s[4:5], s[2:3]
	s_cbranch_execz .LBB32_26
; %bb.23:
	v_mul_f32_e32 v4, s10, v1
	s_and_b64 vcc, exec, s[0:1]
	v_lshl_add_u64 v[0:1], v[6:7], 2, v[2:3]
	s_cbranch_vccnz .LBB32_25
; %bb.24:
	global_load_dword v2, v[0:1], off
	s_waitcnt vmcnt(0)
	v_fmac_f32_e32 v4, s16, v2
.LBB32_25:
	global_store_dword v[0:1], v4, off
.LBB32_26:
	s_endpgm
	.section	.rodata,"a",@progbits
	.p2align	6, 0x0
	.amdhsa_kernel _ZL29rocblas_internal_gemmt_kernelIiLi16ELi32ELi8ELc84ELc67ELc76ELb0ELb0EffPKfPfEviT_T9_T10_S3_lS5_S3_lS4_T11_S3_li
		.amdhsa_group_segment_fixed_size 2048
		.amdhsa_private_segment_fixed_size 0
		.amdhsa_kernarg_size 100
		.amdhsa_user_sgpr_count 2
		.amdhsa_user_sgpr_dispatch_ptr 0
		.amdhsa_user_sgpr_queue_ptr 0
		.amdhsa_user_sgpr_kernarg_segment_ptr 1
		.amdhsa_user_sgpr_dispatch_id 0
		.amdhsa_user_sgpr_kernarg_preload_length 0
		.amdhsa_user_sgpr_kernarg_preload_offset 0
		.amdhsa_user_sgpr_private_segment_size 0
		.amdhsa_uses_dynamic_stack 0
		.amdhsa_enable_private_segment 0
		.amdhsa_system_sgpr_workgroup_id_x 1
		.amdhsa_system_sgpr_workgroup_id_y 1
		.amdhsa_system_sgpr_workgroup_id_z 1
		.amdhsa_system_sgpr_workgroup_info 0
		.amdhsa_system_vgpr_workitem_id 1
		.amdhsa_next_free_vgpr 48
		.amdhsa_next_free_sgpr 24
		.amdhsa_accum_offset 48
		.amdhsa_reserve_vcc 1
		.amdhsa_float_round_mode_32 0
		.amdhsa_float_round_mode_16_64 0
		.amdhsa_float_denorm_mode_32 3
		.amdhsa_float_denorm_mode_16_64 3
		.amdhsa_dx10_clamp 1
		.amdhsa_ieee_mode 1
		.amdhsa_fp16_overflow 0
		.amdhsa_tg_split 0
		.amdhsa_exception_fp_ieee_invalid_op 0
		.amdhsa_exception_fp_denorm_src 0
		.amdhsa_exception_fp_ieee_div_zero 0
		.amdhsa_exception_fp_ieee_overflow 0
		.amdhsa_exception_fp_ieee_underflow 0
		.amdhsa_exception_fp_ieee_inexact 0
		.amdhsa_exception_int_div_zero 0
	.end_amdhsa_kernel
	.section	.text._ZL29rocblas_internal_gemmt_kernelIiLi16ELi32ELi8ELc84ELc67ELc76ELb0ELb0EffPKfPfEviT_T9_T10_S3_lS5_S3_lS4_T11_S3_li,"axG",@progbits,_ZL29rocblas_internal_gemmt_kernelIiLi16ELi32ELi8ELc84ELc67ELc76ELb0ELb0EffPKfPfEviT_T9_T10_S3_lS5_S3_lS4_T11_S3_li,comdat
.Lfunc_end32:
	.size	_ZL29rocblas_internal_gemmt_kernelIiLi16ELi32ELi8ELc84ELc67ELc76ELb0ELb0EffPKfPfEviT_T9_T10_S3_lS5_S3_lS4_T11_S3_li, .Lfunc_end32-_ZL29rocblas_internal_gemmt_kernelIiLi16ELi32ELi8ELc84ELc67ELc76ELb0ELb0EffPKfPfEviT_T9_T10_S3_lS5_S3_lS4_T11_S3_li
                                        ; -- End function
	.set _ZL29rocblas_internal_gemmt_kernelIiLi16ELi32ELi8ELc84ELc67ELc76ELb0ELb0EffPKfPfEviT_T9_T10_S3_lS5_S3_lS4_T11_S3_li.num_vgpr, 48
	.set _ZL29rocblas_internal_gemmt_kernelIiLi16ELi32ELi8ELc84ELc67ELc76ELb0ELb0EffPKfPfEviT_T9_T10_S3_lS5_S3_lS4_T11_S3_li.num_agpr, 0
	.set _ZL29rocblas_internal_gemmt_kernelIiLi16ELi32ELi8ELc84ELc67ELc76ELb0ELb0EffPKfPfEviT_T9_T10_S3_lS5_S3_lS4_T11_S3_li.numbered_sgpr, 24
	.set _ZL29rocblas_internal_gemmt_kernelIiLi16ELi32ELi8ELc84ELc67ELc76ELb0ELb0EffPKfPfEviT_T9_T10_S3_lS5_S3_lS4_T11_S3_li.num_named_barrier, 0
	.set _ZL29rocblas_internal_gemmt_kernelIiLi16ELi32ELi8ELc84ELc67ELc76ELb0ELb0EffPKfPfEviT_T9_T10_S3_lS5_S3_lS4_T11_S3_li.private_seg_size, 0
	.set _ZL29rocblas_internal_gemmt_kernelIiLi16ELi32ELi8ELc84ELc67ELc76ELb0ELb0EffPKfPfEviT_T9_T10_S3_lS5_S3_lS4_T11_S3_li.uses_vcc, 1
	.set _ZL29rocblas_internal_gemmt_kernelIiLi16ELi32ELi8ELc84ELc67ELc76ELb0ELb0EffPKfPfEviT_T9_T10_S3_lS5_S3_lS4_T11_S3_li.uses_flat_scratch, 0
	.set _ZL29rocblas_internal_gemmt_kernelIiLi16ELi32ELi8ELc84ELc67ELc76ELb0ELb0EffPKfPfEviT_T9_T10_S3_lS5_S3_lS4_T11_S3_li.has_dyn_sized_stack, 0
	.set _ZL29rocblas_internal_gemmt_kernelIiLi16ELi32ELi8ELc84ELc67ELc76ELb0ELb0EffPKfPfEviT_T9_T10_S3_lS5_S3_lS4_T11_S3_li.has_recursion, 0
	.set _ZL29rocblas_internal_gemmt_kernelIiLi16ELi32ELi8ELc84ELc67ELc76ELb0ELb0EffPKfPfEviT_T9_T10_S3_lS5_S3_lS4_T11_S3_li.has_indirect_call, 0
	.section	.AMDGPU.csdata,"",@progbits
; Kernel info:
; codeLenInByte = 1244
; TotalNumSgprs: 30
; NumVgprs: 48
; NumAgprs: 0
; TotalNumVgprs: 48
; ScratchSize: 0
; MemoryBound: 0
; FloatMode: 240
; IeeeMode: 1
; LDSByteSize: 2048 bytes/workgroup (compile time only)
; SGPRBlocks: 3
; VGPRBlocks: 5
; NumSGPRsForWavesPerEU: 30
; NumVGPRsForWavesPerEU: 48
; AccumOffset: 48
; Occupancy: 8
; WaveLimiterHint : 0
; COMPUTE_PGM_RSRC2:SCRATCH_EN: 0
; COMPUTE_PGM_RSRC2:USER_SGPR: 2
; COMPUTE_PGM_RSRC2:TRAP_HANDLER: 0
; COMPUTE_PGM_RSRC2:TGID_X_EN: 1
; COMPUTE_PGM_RSRC2:TGID_Y_EN: 1
; COMPUTE_PGM_RSRC2:TGID_Z_EN: 1
; COMPUTE_PGM_RSRC2:TIDIG_COMP_CNT: 1
; COMPUTE_PGM_RSRC3_GFX90A:ACCUM_OFFSET: 11
; COMPUTE_PGM_RSRC3_GFX90A:TG_SPLIT: 0
	.section	.text._ZL29rocblas_internal_gemmt_kernelIiLi16ELi32ELi8ELc67ELc78ELc76ELb0ELb0EffPKfPfEviT_T9_T10_S3_lS5_S3_lS4_T11_S3_li,"axG",@progbits,_ZL29rocblas_internal_gemmt_kernelIiLi16ELi32ELi8ELc67ELc78ELc76ELb0ELb0EffPKfPfEviT_T9_T10_S3_lS5_S3_lS4_T11_S3_li,comdat
	.globl	_ZL29rocblas_internal_gemmt_kernelIiLi16ELi32ELi8ELc67ELc78ELc76ELb0ELb0EffPKfPfEviT_T9_T10_S3_lS5_S3_lS4_T11_S3_li ; -- Begin function _ZL29rocblas_internal_gemmt_kernelIiLi16ELi32ELi8ELc67ELc78ELc76ELb0ELb0EffPKfPfEviT_T9_T10_S3_lS5_S3_lS4_T11_S3_li
	.p2align	8
	.type	_ZL29rocblas_internal_gemmt_kernelIiLi16ELi32ELi8ELc67ELc78ELc76ELb0ELb0EffPKfPfEviT_T9_T10_S3_lS5_S3_lS4_T11_S3_li,@function
_ZL29rocblas_internal_gemmt_kernelIiLi16ELi32ELi8ELc67ELc78ELc76ELb0ELb0EffPKfPfEviT_T9_T10_S3_lS5_S3_lS4_T11_S3_li: ; @_ZL29rocblas_internal_gemmt_kernelIiLi16ELi32ELi8ELc67ELc78ELc76ELb0ELb0EffPKfPfEviT_T9_T10_S3_lS5_S3_lS4_T11_S3_li
; %bb.0:
	s_load_dword s16, s[0:1], 0x40
	s_load_dwordx4 s[8:11], s[0:1], 0x0
	s_waitcnt lgkmcnt(0)
	v_cmp_neq_f32_e64 s[6:7], s16, 1.0
	s_and_b64 vcc, exec, s[6:7]
	s_cbranch_vccnz .LBB33_2
; %bb.1:
	s_cmp_lg_u32 s9, 0
	s_cselect_b64 s[6:7], -1, 0
	v_cmp_neq_f32_e64 s[12:13], s10, 0
	s_and_b64 s[6:7], s[6:7], s[12:13]
.LBB33_2:
	s_andn2_b64 vcc, exec, s[6:7]
	s_cbranch_vccnz .LBB33_26
; %bb.3:
	s_lshl_b32 s5, s2, 5
	s_lshl_b32 s11, s3, 5
	s_cmp_lt_i32 s9, 1
	v_cmp_eq_f32_e64 s[2:3], s10, 0
	s_cselect_b64 s[6:7], -1, 0
	v_mov_b32_e32 v3, 0
	s_or_b64 s[2:3], s[2:3], s[6:7]
	v_and_b32_e32 v8, 0x3ff, v0
	v_bfe_u32 v9, v0, 10, 10
	s_mov_b32 s17, 0
	s_and_b64 vcc, exec, s[2:3]
	v_mov_b32_e32 v2, v3
	v_mov_b32_e32 v1, v3
	;; [unrolled: 1-line block ×3, first 2 shown]
	s_cbranch_vccnz .LBB33_10
; %bb.4:
	v_lshl_add_u32 v0, v9, 4, v8
	v_lshrrev_b32_e32 v11, 5, v0
	v_lshrrev_b32_e32 v1, 3, v0
	v_and_b32_e32 v0, 31, v0
	v_or_b32_e32 v2, s5, v0
	v_and_b32_e32 v10, 7, v8
	v_cmp_gt_i32_e32 vcc, s8, v2
	v_lshlrev_b32_e32 v2, 2, v0
	v_lshl_or_b32 v12, v11, 7, v2
	v_lshlrev_b32_e32 v2, 2, v10
	s_load_dwordx2 s[6:7], s[0:1], 0x10
	s_load_dword s20, s[0:1], 0x18
	s_load_dwordx4 s[12:15], s[0:1], 0x20
	s_load_dword s22, s[0:1], 0x30
	s_load_dwordx2 s[18:19], s[0:1], 0x38
	v_add_u32_e32 v3, s11, v1
	v_lshl_or_b32 v1, v1, 5, v2
	v_add_u32_e32 v13, 0x400, v1
	v_mov_b32_e32 v1, 0x400
	v_add_u32_e32 v0, s5, v0
	v_lshl_add_u32 v15, v9, 5, v1
	s_waitcnt lgkmcnt(0)
	v_mad_i64_i32 v[0:1], s[20:21], s20, v0, 0
	s_mul_i32 s13, s13, s4
	s_mul_hi_u32 s20, s12, s4
	s_add_i32 s13, s20, s13
	s_mul_i32 s12, s12, s4
	s_lshl_b64 s[12:13], s[12:13], 2
	v_lshl_add_u64 v[4:5], v[0:1], 2, s[12:13]
	v_lshlrev_b32_e32 v0, 2, v11
	v_mov_b32_e32 v1, 0
	v_lshl_add_u64 v[4:5], v[4:5], 0, v[0:1]
	v_lshl_add_u64 v[4:5], s[6:7], 0, v[4:5]
	v_mad_i64_i32 v[6:7], s[6:7], s22, v3, 0
	s_mul_i32 s6, s19, s4
	s_mul_hi_u32 s7, s18, s4
	s_add_i32 s7, s7, s6
	s_mul_i32 s6, s18, s4
	s_lshl_b64 s[6:7], s[6:7], 2
	v_cmp_gt_i32_e64 s[2:3], s8, v3
	v_lshl_add_u64 v[6:7], v[6:7], 2, s[6:7]
	v_mov_b32_e32 v3, v1
	v_lshl_add_u64 v[2:3], v[6:7], 0, v[2:3]
	v_lshlrev_b32_e32 v14, 2, v8
	v_lshl_add_u64 v[6:7], s[14:15], 0, v[2:3]
	v_mov_b32_e32 v0, v1
	v_mov_b32_e32 v2, v1
	;; [unrolled: 1-line block ×3, first 2 shown]
	s_branch .LBB33_6
.LBB33_5:                               ;   in Loop: Header=BB33_6 Depth=1
	s_or_b64 exec, exec, s[6:7]
	s_waitcnt vmcnt(0)
	ds_write_b32 v13, v16
	s_waitcnt lgkmcnt(0)
	s_barrier
	ds_read_b128 v[16:19], v15
	ds_read_b128 v[20:23], v15 offset:16
	ds_read2_b32 v[32:33], v14 offset1:16
	ds_read2_b32 v[34:35], v14 offset0:32 offset1:48
	ds_read2_b32 v[36:37], v14 offset0:64 offset1:80
	;; [unrolled: 1-line block ×4, first 2 shown]
	ds_read_b128 v[24:27], v15 offset:512
	ds_read_b128 v[28:31], v15 offset:528
	ds_read2_b32 v[42:43], v14 offset0:160 offset1:176
	ds_read2_b32 v[44:45], v14 offset0:192 offset1:208
	;; [unrolled: 1-line block ×3, first 2 shown]
	s_waitcnt lgkmcnt(9)
	v_pk_fma_f32 v[2:3], v[32:33], v[16:17], v[2:3] op_sel_hi:[1,0,1]
	s_waitcnt lgkmcnt(4)
	v_pk_fma_f32 v[0:1], v[32:33], v[24:25], v[0:1] op_sel_hi:[1,0,1]
	v_pk_fma_f32 v[2:3], v[34:35], v[16:17], v[2:3] op_sel:[0,1,0]
	v_mov_b32_e32 v16, v19
	v_pk_fma_f32 v[2:3], v[36:37], v[18:19], v[2:3] op_sel_hi:[1,0,1]
	v_pk_fma_f32 v[0:1], v[34:35], v[24:25], v[0:1] op_sel:[0,1,0]
	v_pk_fma_f32 v[2:3], v[38:39], v[16:17], v[2:3] op_sel_hi:[1,0,1]
	v_mov_b32_e32 v16, v23
	v_pk_fma_f32 v[2:3], v[40:41], v[20:21], v[2:3] op_sel_hi:[1,0,1]
	v_pk_fma_f32 v[0:1], v[36:37], v[26:27], v[0:1] op_sel_hi:[1,0,1]
	s_waitcnt lgkmcnt(2)
	v_pk_fma_f32 v[2:3], v[42:43], v[20:21], v[2:3] op_sel:[0,1,0]
	s_add_i32 s17, s17, 8
	s_waitcnt lgkmcnt(1)
	v_pk_fma_f32 v[2:3], v[44:45], v[22:23], v[2:3] op_sel_hi:[1,0,1]
	v_lshl_add_u64 v[4:5], v[4:5], 0, 32
	s_waitcnt lgkmcnt(0)
	v_pk_fma_f32 v[2:3], v[46:47], v[16:17], v[2:3] op_sel_hi:[1,0,1]
	v_mov_b32_e32 v16, v27
	v_pk_fma_f32 v[0:1], v[38:39], v[16:17], v[0:1] op_sel_hi:[1,0,1]
	v_mov_b32_e32 v16, v31
	v_pk_fma_f32 v[0:1], v[40:41], v[28:29], v[0:1] op_sel_hi:[1,0,1]
	s_cmp_lt_i32 s17, s9
	v_pk_fma_f32 v[0:1], v[42:43], v[28:29], v[0:1] op_sel:[0,1,0]
	v_lshl_add_u64 v[6:7], v[6:7], 0, 32
	v_pk_fma_f32 v[0:1], v[44:45], v[30:31], v[0:1] op_sel_hi:[1,0,1]
	s_nop 0
	v_pk_fma_f32 v[0:1], v[46:47], v[16:17], v[0:1] op_sel_hi:[1,0,1]
	s_barrier
	s_cbranch_scc0 .LBB33_10
.LBB33_6:                               ; =>This Inner Loop Header: Depth=1
	v_add_u32_e32 v16, s17, v11
	v_cmp_gt_i32_e64 s[6:7], s9, v16
	s_and_b64 s[12:13], vcc, s[6:7]
	v_mov_b32_e32 v16, 0
	s_and_saveexec_b64 s[6:7], s[12:13]
	s_cbranch_execz .LBB33_8
; %bb.7:                                ;   in Loop: Header=BB33_6 Depth=1
	global_load_dword v16, v[4:5], off
.LBB33_8:                               ;   in Loop: Header=BB33_6 Depth=1
	s_or_b64 exec, exec, s[6:7]
	s_waitcnt vmcnt(0)
	ds_write_b32 v12, v16
	v_add_u32_e32 v16, s17, v10
	v_cmp_gt_i32_e64 s[6:7], s9, v16
	s_and_b64 s[12:13], s[6:7], s[2:3]
	v_mov_b32_e32 v16, 0
	s_and_saveexec_b64 s[6:7], s[12:13]
	s_cbranch_execz .LBB33_5
; %bb.9:                                ;   in Loop: Header=BB33_6 Depth=1
	global_load_dword v16, v[6:7], off
	s_branch .LBB33_5
.LBB33_10:
	s_load_dwordx2 s[2:3], s[0:1], 0x58
	s_load_dwordx2 s[6:7], s[0:1], 0x48
	s_load_dword s12, s[0:1], 0x50
	v_add_u32_e32 v10, s11, v9
	v_add_u32_e32 v4, s5, v8
	s_waitcnt lgkmcnt(0)
	s_mul_i32 s1, s3, s4
	s_mul_hi_u32 s3, s2, s4
	s_mul_i32 s0, s2, s4
	s_add_i32 s1, s3, s1
	s_lshl_b64 s[0:1], s[0:1], 2
	s_add_u32 s6, s6, s0
	s_addc_u32 s7, s7, s1
	v_mad_i64_i32 v[6:7], s[0:1], v10, s12, 0
	v_cmp_neq_f32_e64 s[0:1], s16, 0
	v_lshl_add_u64 v[8:9], v[6:7], 2, s[6:7]
	v_cmp_le_i32_e32 vcc, v10, v4
	v_cmp_gt_i32_e64 s[2:3], s8, v4
	v_cndmask_b32_e64 v6, 0, 1, s[0:1]
	s_and_b64 s[14:15], vcc, s[2:3]
	v_ashrrev_i32_e32 v5, 31, v4
	v_cmp_ne_u32_e64 s[0:1], 1, v6
	s_and_saveexec_b64 s[4:5], s[14:15]
	s_cbranch_execz .LBB33_14
; %bb.11:
	v_mul_f32_e32 v2, s10, v2
	s_and_b64 vcc, exec, s[0:1]
	v_lshl_add_u64 v[6:7], v[4:5], 2, v[8:9]
	s_cbranch_vccnz .LBB33_13
; %bb.12:
	global_load_dword v11, v[6:7], off
	s_waitcnt vmcnt(0)
	v_fmac_f32_e32 v2, s16, v11
.LBB33_13:
	global_store_dword v[6:7], v2, off
.LBB33_14:
	s_or_b64 exec, exec, s[4:5]
	v_add_u32_e32 v6, 16, v4
	v_cmp_le_i32_e32 vcc, v10, v6
	v_cmp_gt_i32_e64 s[4:5], s8, v6
	s_and_b64 s[14:15], vcc, s[4:5]
	v_ashrrev_i32_e32 v7, 31, v6
	s_and_saveexec_b64 s[8:9], s[14:15]
	s_cbranch_execz .LBB33_18
; %bb.15:
	v_mul_f32_e32 v11, s10, v3
	s_and_b64 vcc, exec, s[0:1]
	v_lshl_add_u64 v[2:3], v[6:7], 2, v[8:9]
	s_cbranch_vccnz .LBB33_17
; %bb.16:
	global_load_dword v8, v[2:3], off
	s_waitcnt vmcnt(0)
	v_fmac_f32_e32 v11, s16, v8
.LBB33_17:
	global_store_dword v[2:3], v11, off
.LBB33_18:
	s_or_b64 exec, exec, s[8:9]
	v_add_u32_e32 v8, 16, v10
	v_mad_i64_i32 v[2:3], s[8:9], v8, s12, 0
	v_cmp_le_i32_e32 vcc, v8, v4
	v_lshl_add_u64 v[2:3], v[2:3], 2, s[6:7]
	s_and_b64 s[6:7], vcc, s[2:3]
	s_and_saveexec_b64 s[2:3], s[6:7]
	s_cbranch_execz .LBB33_22
; %bb.19:
	v_mul_f32_e32 v0, s10, v0
	s_and_b64 vcc, exec, s[0:1]
	v_lshl_add_u64 v[4:5], v[4:5], 2, v[2:3]
	s_cbranch_vccnz .LBB33_21
; %bb.20:
	global_load_dword v9, v[4:5], off
	s_waitcnt vmcnt(0)
	v_fmac_f32_e32 v0, s16, v9
.LBB33_21:
	global_store_dword v[4:5], v0, off
.LBB33_22:
	s_or_b64 exec, exec, s[2:3]
	v_cmp_le_i32_e32 vcc, v8, v6
	s_and_b64 s[2:3], vcc, s[4:5]
	s_and_saveexec_b64 s[4:5], s[2:3]
	s_cbranch_execz .LBB33_26
; %bb.23:
	v_mul_f32_e32 v4, s10, v1
	s_and_b64 vcc, exec, s[0:1]
	v_lshl_add_u64 v[0:1], v[6:7], 2, v[2:3]
	s_cbranch_vccnz .LBB33_25
; %bb.24:
	global_load_dword v2, v[0:1], off
	s_waitcnt vmcnt(0)
	v_fmac_f32_e32 v4, s16, v2
.LBB33_25:
	global_store_dword v[0:1], v4, off
.LBB33_26:
	s_endpgm
	.section	.rodata,"a",@progbits
	.p2align	6, 0x0
	.amdhsa_kernel _ZL29rocblas_internal_gemmt_kernelIiLi16ELi32ELi8ELc67ELc78ELc76ELb0ELb0EffPKfPfEviT_T9_T10_S3_lS5_S3_lS4_T11_S3_li
		.amdhsa_group_segment_fixed_size 2048
		.amdhsa_private_segment_fixed_size 0
		.amdhsa_kernarg_size 100
		.amdhsa_user_sgpr_count 2
		.amdhsa_user_sgpr_dispatch_ptr 0
		.amdhsa_user_sgpr_queue_ptr 0
		.amdhsa_user_sgpr_kernarg_segment_ptr 1
		.amdhsa_user_sgpr_dispatch_id 0
		.amdhsa_user_sgpr_kernarg_preload_length 0
		.amdhsa_user_sgpr_kernarg_preload_offset 0
		.amdhsa_user_sgpr_private_segment_size 0
		.amdhsa_uses_dynamic_stack 0
		.amdhsa_enable_private_segment 0
		.amdhsa_system_sgpr_workgroup_id_x 1
		.amdhsa_system_sgpr_workgroup_id_y 1
		.amdhsa_system_sgpr_workgroup_id_z 1
		.amdhsa_system_sgpr_workgroup_info 0
		.amdhsa_system_vgpr_workitem_id 1
		.amdhsa_next_free_vgpr 48
		.amdhsa_next_free_sgpr 23
		.amdhsa_accum_offset 48
		.amdhsa_reserve_vcc 1
		.amdhsa_float_round_mode_32 0
		.amdhsa_float_round_mode_16_64 0
		.amdhsa_float_denorm_mode_32 3
		.amdhsa_float_denorm_mode_16_64 3
		.amdhsa_dx10_clamp 1
		.amdhsa_ieee_mode 1
		.amdhsa_fp16_overflow 0
		.amdhsa_tg_split 0
		.amdhsa_exception_fp_ieee_invalid_op 0
		.amdhsa_exception_fp_denorm_src 0
		.amdhsa_exception_fp_ieee_div_zero 0
		.amdhsa_exception_fp_ieee_overflow 0
		.amdhsa_exception_fp_ieee_underflow 0
		.amdhsa_exception_fp_ieee_inexact 0
		.amdhsa_exception_int_div_zero 0
	.end_amdhsa_kernel
	.section	.text._ZL29rocblas_internal_gemmt_kernelIiLi16ELi32ELi8ELc67ELc78ELc76ELb0ELb0EffPKfPfEviT_T9_T10_S3_lS5_S3_lS4_T11_S3_li,"axG",@progbits,_ZL29rocblas_internal_gemmt_kernelIiLi16ELi32ELi8ELc67ELc78ELc76ELb0ELb0EffPKfPfEviT_T9_T10_S3_lS5_S3_lS4_T11_S3_li,comdat
.Lfunc_end33:
	.size	_ZL29rocblas_internal_gemmt_kernelIiLi16ELi32ELi8ELc67ELc78ELc76ELb0ELb0EffPKfPfEviT_T9_T10_S3_lS5_S3_lS4_T11_S3_li, .Lfunc_end33-_ZL29rocblas_internal_gemmt_kernelIiLi16ELi32ELi8ELc67ELc78ELc76ELb0ELb0EffPKfPfEviT_T9_T10_S3_lS5_S3_lS4_T11_S3_li
                                        ; -- End function
	.set _ZL29rocblas_internal_gemmt_kernelIiLi16ELi32ELi8ELc67ELc78ELc76ELb0ELb0EffPKfPfEviT_T9_T10_S3_lS5_S3_lS4_T11_S3_li.num_vgpr, 48
	.set _ZL29rocblas_internal_gemmt_kernelIiLi16ELi32ELi8ELc67ELc78ELc76ELb0ELb0EffPKfPfEviT_T9_T10_S3_lS5_S3_lS4_T11_S3_li.num_agpr, 0
	.set _ZL29rocblas_internal_gemmt_kernelIiLi16ELi32ELi8ELc67ELc78ELc76ELb0ELb0EffPKfPfEviT_T9_T10_S3_lS5_S3_lS4_T11_S3_li.numbered_sgpr, 23
	.set _ZL29rocblas_internal_gemmt_kernelIiLi16ELi32ELi8ELc67ELc78ELc76ELb0ELb0EffPKfPfEviT_T9_T10_S3_lS5_S3_lS4_T11_S3_li.num_named_barrier, 0
	.set _ZL29rocblas_internal_gemmt_kernelIiLi16ELi32ELi8ELc67ELc78ELc76ELb0ELb0EffPKfPfEviT_T9_T10_S3_lS5_S3_lS4_T11_S3_li.private_seg_size, 0
	.set _ZL29rocblas_internal_gemmt_kernelIiLi16ELi32ELi8ELc67ELc78ELc76ELb0ELb0EffPKfPfEviT_T9_T10_S3_lS5_S3_lS4_T11_S3_li.uses_vcc, 1
	.set _ZL29rocblas_internal_gemmt_kernelIiLi16ELi32ELi8ELc67ELc78ELc76ELb0ELb0EffPKfPfEviT_T9_T10_S3_lS5_S3_lS4_T11_S3_li.uses_flat_scratch, 0
	.set _ZL29rocblas_internal_gemmt_kernelIiLi16ELi32ELi8ELc67ELc78ELc76ELb0ELb0EffPKfPfEviT_T9_T10_S3_lS5_S3_lS4_T11_S3_li.has_dyn_sized_stack, 0
	.set _ZL29rocblas_internal_gemmt_kernelIiLi16ELi32ELi8ELc67ELc78ELc76ELb0ELb0EffPKfPfEviT_T9_T10_S3_lS5_S3_lS4_T11_S3_li.has_recursion, 0
	.set _ZL29rocblas_internal_gemmt_kernelIiLi16ELi32ELi8ELc67ELc78ELc76ELb0ELb0EffPKfPfEviT_T9_T10_S3_lS5_S3_lS4_T11_S3_li.has_indirect_call, 0
	.section	.AMDGPU.csdata,"",@progbits
; Kernel info:
; codeLenInByte = 1232
; TotalNumSgprs: 29
; NumVgprs: 48
; NumAgprs: 0
; TotalNumVgprs: 48
; ScratchSize: 0
; MemoryBound: 0
; FloatMode: 240
; IeeeMode: 1
; LDSByteSize: 2048 bytes/workgroup (compile time only)
; SGPRBlocks: 3
; VGPRBlocks: 5
; NumSGPRsForWavesPerEU: 29
; NumVGPRsForWavesPerEU: 48
; AccumOffset: 48
; Occupancy: 8
; WaveLimiterHint : 0
; COMPUTE_PGM_RSRC2:SCRATCH_EN: 0
; COMPUTE_PGM_RSRC2:USER_SGPR: 2
; COMPUTE_PGM_RSRC2:TRAP_HANDLER: 0
; COMPUTE_PGM_RSRC2:TGID_X_EN: 1
; COMPUTE_PGM_RSRC2:TGID_Y_EN: 1
; COMPUTE_PGM_RSRC2:TGID_Z_EN: 1
; COMPUTE_PGM_RSRC2:TIDIG_COMP_CNT: 1
; COMPUTE_PGM_RSRC3_GFX90A:ACCUM_OFFSET: 11
; COMPUTE_PGM_RSRC3_GFX90A:TG_SPLIT: 0
	.section	.text._ZL29rocblas_internal_gemmt_kernelIiLi16ELi32ELi8ELc67ELc84ELc76ELb0ELb0EffPKfPfEviT_T9_T10_S3_lS5_S3_lS4_T11_S3_li,"axG",@progbits,_ZL29rocblas_internal_gemmt_kernelIiLi16ELi32ELi8ELc67ELc84ELc76ELb0ELb0EffPKfPfEviT_T9_T10_S3_lS5_S3_lS4_T11_S3_li,comdat
	.globl	_ZL29rocblas_internal_gemmt_kernelIiLi16ELi32ELi8ELc67ELc84ELc76ELb0ELb0EffPKfPfEviT_T9_T10_S3_lS5_S3_lS4_T11_S3_li ; -- Begin function _ZL29rocblas_internal_gemmt_kernelIiLi16ELi32ELi8ELc67ELc84ELc76ELb0ELb0EffPKfPfEviT_T9_T10_S3_lS5_S3_lS4_T11_S3_li
	.p2align	8
	.type	_ZL29rocblas_internal_gemmt_kernelIiLi16ELi32ELi8ELc67ELc84ELc76ELb0ELb0EffPKfPfEviT_T9_T10_S3_lS5_S3_lS4_T11_S3_li,@function
_ZL29rocblas_internal_gemmt_kernelIiLi16ELi32ELi8ELc67ELc84ELc76ELb0ELb0EffPKfPfEviT_T9_T10_S3_lS5_S3_lS4_T11_S3_li: ; @_ZL29rocblas_internal_gemmt_kernelIiLi16ELi32ELi8ELc67ELc84ELc76ELb0ELb0EffPKfPfEviT_T9_T10_S3_lS5_S3_lS4_T11_S3_li
; %bb.0:
	s_load_dword s16, s[0:1], 0x40
	s_load_dwordx4 s[8:11], s[0:1], 0x0
	s_waitcnt lgkmcnt(0)
	v_cmp_neq_f32_e64 s[6:7], s16, 1.0
	s_and_b64 vcc, exec, s[6:7]
	s_cbranch_vccnz .LBB34_2
; %bb.1:
	s_cmp_lg_u32 s9, 0
	s_cselect_b64 s[6:7], -1, 0
	v_cmp_neq_f32_e64 s[12:13], s10, 0
	s_and_b64 s[6:7], s[6:7], s[12:13]
.LBB34_2:
	s_andn2_b64 vcc, exec, s[6:7]
	s_cbranch_vccnz .LBB34_26
; %bb.3:
	s_lshl_b32 s5, s2, 5
	s_lshl_b32 s11, s3, 5
	s_cmp_lt_i32 s9, 1
	v_cmp_eq_f32_e64 s[2:3], s10, 0
	s_cselect_b64 s[6:7], -1, 0
	v_mov_b32_e32 v3, 0
	s_or_b64 s[2:3], s[2:3], s[6:7]
	v_and_b32_e32 v8, 0x3ff, v0
	v_bfe_u32 v9, v0, 10, 10
	s_mov_b32 s17, 0
	s_and_b64 vcc, exec, s[2:3]
	v_mov_b32_e32 v2, v3
	v_mov_b32_e32 v1, v3
	;; [unrolled: 1-line block ×3, first 2 shown]
	s_cbranch_vccnz .LBB34_10
; %bb.4:
	v_lshl_add_u32 v0, v9, 4, v8
	v_lshrrev_b32_e32 v11, 5, v0
	v_lshrrev_b32_e32 v1, 3, v0
	v_and_b32_e32 v0, 31, v0
	v_or_b32_e32 v3, s5, v0
	v_and_b32_e32 v10, 7, v8
	s_load_dwordx4 s[12:15], s[0:1], 0x20
	s_load_dword s6, s[0:1], 0x30
	s_load_dwordx2 s[18:19], s[0:1], 0x10
	s_load_dword s22, s[0:1], 0x18
	s_load_dwordx2 s[20:21], s[0:1], 0x38
	v_cmp_gt_i32_e32 vcc, s8, v3
	v_lshlrev_b32_e32 v3, 2, v0
	v_lshl_or_b32 v12, v11, 7, v3
	v_lshlrev_b32_e32 v3, 2, v10
	v_add_u32_e32 v2, s11, v1
	v_lshl_or_b32 v1, v1, 5, v3
	v_add_u32_e32 v13, 0x400, v1
	v_mov_b32_e32 v1, 0x400
	v_add_u32_e32 v0, s5, v0
	v_lshl_add_u32 v15, v9, 5, v1
	s_waitcnt lgkmcnt(0)
	v_mad_i64_i32 v[0:1], s[22:23], s22, v0, 0
	s_mul_i32 s13, s13, s4
	s_mul_hi_u32 s22, s12, s4
	s_add_i32 s13, s22, s13
	s_mul_i32 s12, s12, s4
	s_lshl_b64 s[12:13], s[12:13], 2
	v_lshl_add_u64 v[4:5], v[0:1], 2, s[12:13]
	v_lshlrev_b32_e32 v0, 2, v11
	v_mov_b32_e32 v1, 0
	v_lshl_add_u64 v[4:5], v[4:5], 0, v[0:1]
	v_lshl_add_u64 v[4:5], s[18:19], 0, v[4:5]
	s_mul_i32 s12, s21, s4
	s_mul_hi_u32 s13, s20, s4
	v_mad_i64_i32 v[6:7], s[18:19], s6, v10, 0
	s_add_i32 s13, s13, s12
	s_mul_i32 s12, s20, s4
	v_lshlrev_b64 v[6:7], 2, v[6:7]
	v_ashrrev_i32_e32 v3, 31, v2
	v_lshl_add_u64 v[6:7], s[12:13], 2, v[6:7]
	s_ashr_i32 s7, s6, 31
	v_cmp_gt_i32_e64 s[2:3], s8, v2
	v_lshl_add_u64 v[2:3], v[2:3], 2, v[6:7]
	v_lshlrev_b32_e32 v14, 2, v8
	v_lshl_add_u64 v[6:7], s[14:15], 0, v[2:3]
	s_lshl_b64 s[12:13], s[6:7], 5
	v_mov_b32_e32 v0, v1
	v_mov_b32_e32 v2, v1
	;; [unrolled: 1-line block ×3, first 2 shown]
	s_branch .LBB34_6
.LBB34_5:                               ;   in Loop: Header=BB34_6 Depth=1
	s_or_b64 exec, exec, s[6:7]
	s_waitcnt vmcnt(0)
	ds_write_b32 v13, v16
	s_waitcnt lgkmcnt(0)
	s_barrier
	ds_read_b128 v[16:19], v15
	ds_read_b128 v[20:23], v15 offset:16
	ds_read2_b32 v[32:33], v14 offset1:16
	ds_read2_b32 v[34:35], v14 offset0:32 offset1:48
	ds_read2_b32 v[36:37], v14 offset0:64 offset1:80
	;; [unrolled: 1-line block ×4, first 2 shown]
	ds_read_b128 v[24:27], v15 offset:512
	ds_read_b128 v[28:31], v15 offset:528
	ds_read2_b32 v[42:43], v14 offset0:160 offset1:176
	ds_read2_b32 v[44:45], v14 offset0:192 offset1:208
	;; [unrolled: 1-line block ×3, first 2 shown]
	s_waitcnt lgkmcnt(9)
	v_pk_fma_f32 v[2:3], v[32:33], v[16:17], v[2:3] op_sel_hi:[1,0,1]
	s_waitcnt lgkmcnt(4)
	v_pk_fma_f32 v[0:1], v[32:33], v[24:25], v[0:1] op_sel_hi:[1,0,1]
	v_pk_fma_f32 v[2:3], v[34:35], v[16:17], v[2:3] op_sel:[0,1,0]
	v_mov_b32_e32 v16, v19
	v_pk_fma_f32 v[2:3], v[36:37], v[18:19], v[2:3] op_sel_hi:[1,0,1]
	v_pk_fma_f32 v[0:1], v[34:35], v[24:25], v[0:1] op_sel:[0,1,0]
	v_pk_fma_f32 v[2:3], v[38:39], v[16:17], v[2:3] op_sel_hi:[1,0,1]
	v_mov_b32_e32 v16, v23
	v_pk_fma_f32 v[2:3], v[40:41], v[20:21], v[2:3] op_sel_hi:[1,0,1]
	v_pk_fma_f32 v[0:1], v[36:37], v[26:27], v[0:1] op_sel_hi:[1,0,1]
	s_waitcnt lgkmcnt(2)
	v_pk_fma_f32 v[2:3], v[42:43], v[20:21], v[2:3] op_sel:[0,1,0]
	s_add_i32 s17, s17, 8
	s_waitcnt lgkmcnt(1)
	v_pk_fma_f32 v[2:3], v[44:45], v[22:23], v[2:3] op_sel_hi:[1,0,1]
	v_lshl_add_u64 v[4:5], v[4:5], 0, 32
	s_waitcnt lgkmcnt(0)
	v_pk_fma_f32 v[2:3], v[46:47], v[16:17], v[2:3] op_sel_hi:[1,0,1]
	v_mov_b32_e32 v16, v27
	v_pk_fma_f32 v[0:1], v[38:39], v[16:17], v[0:1] op_sel_hi:[1,0,1]
	v_mov_b32_e32 v16, v31
	v_pk_fma_f32 v[0:1], v[40:41], v[28:29], v[0:1] op_sel_hi:[1,0,1]
	s_cmp_lt_i32 s17, s9
	v_pk_fma_f32 v[0:1], v[42:43], v[28:29], v[0:1] op_sel:[0,1,0]
	v_lshl_add_u64 v[6:7], v[6:7], 0, s[12:13]
	v_pk_fma_f32 v[0:1], v[44:45], v[30:31], v[0:1] op_sel_hi:[1,0,1]
	s_nop 0
	v_pk_fma_f32 v[0:1], v[46:47], v[16:17], v[0:1] op_sel_hi:[1,0,1]
	s_barrier
	s_cbranch_scc0 .LBB34_10
.LBB34_6:                               ; =>This Inner Loop Header: Depth=1
	v_add_u32_e32 v16, s17, v11
	v_cmp_gt_i32_e64 s[6:7], s9, v16
	s_and_b64 s[14:15], vcc, s[6:7]
	v_mov_b32_e32 v16, 0
	s_and_saveexec_b64 s[6:7], s[14:15]
	s_cbranch_execz .LBB34_8
; %bb.7:                                ;   in Loop: Header=BB34_6 Depth=1
	global_load_dword v16, v[4:5], off
.LBB34_8:                               ;   in Loop: Header=BB34_6 Depth=1
	s_or_b64 exec, exec, s[6:7]
	s_waitcnt vmcnt(0)
	ds_write_b32 v12, v16
	v_add_u32_e32 v16, s17, v10
	v_cmp_gt_i32_e64 s[6:7], s9, v16
	s_and_b64 s[14:15], s[6:7], s[2:3]
	v_mov_b32_e32 v16, 0
	s_and_saveexec_b64 s[6:7], s[14:15]
	s_cbranch_execz .LBB34_5
; %bb.9:                                ;   in Loop: Header=BB34_6 Depth=1
	global_load_dword v16, v[6:7], off
	s_branch .LBB34_5
.LBB34_10:
	s_load_dwordx2 s[2:3], s[0:1], 0x58
	s_load_dwordx2 s[6:7], s[0:1], 0x48
	s_load_dword s12, s[0:1], 0x50
	v_add_u32_e32 v10, s11, v9
	v_add_u32_e32 v4, s5, v8
	s_waitcnt lgkmcnt(0)
	s_mul_i32 s1, s3, s4
	s_mul_hi_u32 s3, s2, s4
	s_mul_i32 s0, s2, s4
	s_add_i32 s1, s3, s1
	s_lshl_b64 s[0:1], s[0:1], 2
	s_add_u32 s6, s6, s0
	s_addc_u32 s7, s7, s1
	v_mad_i64_i32 v[6:7], s[0:1], v10, s12, 0
	v_cmp_neq_f32_e64 s[0:1], s16, 0
	v_lshl_add_u64 v[8:9], v[6:7], 2, s[6:7]
	v_cmp_le_i32_e32 vcc, v10, v4
	v_cmp_gt_i32_e64 s[2:3], s8, v4
	v_cndmask_b32_e64 v6, 0, 1, s[0:1]
	s_and_b64 s[14:15], vcc, s[2:3]
	v_ashrrev_i32_e32 v5, 31, v4
	v_cmp_ne_u32_e64 s[0:1], 1, v6
	s_and_saveexec_b64 s[4:5], s[14:15]
	s_cbranch_execz .LBB34_14
; %bb.11:
	v_mul_f32_e32 v2, s10, v2
	s_and_b64 vcc, exec, s[0:1]
	v_lshl_add_u64 v[6:7], v[4:5], 2, v[8:9]
	s_cbranch_vccnz .LBB34_13
; %bb.12:
	global_load_dword v11, v[6:7], off
	s_waitcnt vmcnt(0)
	v_fmac_f32_e32 v2, s16, v11
.LBB34_13:
	global_store_dword v[6:7], v2, off
.LBB34_14:
	s_or_b64 exec, exec, s[4:5]
	v_add_u32_e32 v6, 16, v4
	v_cmp_le_i32_e32 vcc, v10, v6
	v_cmp_gt_i32_e64 s[4:5], s8, v6
	s_and_b64 s[14:15], vcc, s[4:5]
	v_ashrrev_i32_e32 v7, 31, v6
	s_and_saveexec_b64 s[8:9], s[14:15]
	s_cbranch_execz .LBB34_18
; %bb.15:
	v_mul_f32_e32 v11, s10, v3
	s_and_b64 vcc, exec, s[0:1]
	v_lshl_add_u64 v[2:3], v[6:7], 2, v[8:9]
	s_cbranch_vccnz .LBB34_17
; %bb.16:
	global_load_dword v8, v[2:3], off
	s_waitcnt vmcnt(0)
	v_fmac_f32_e32 v11, s16, v8
.LBB34_17:
	global_store_dword v[2:3], v11, off
.LBB34_18:
	s_or_b64 exec, exec, s[8:9]
	v_add_u32_e32 v8, 16, v10
	v_mad_i64_i32 v[2:3], s[8:9], v8, s12, 0
	v_cmp_le_i32_e32 vcc, v8, v4
	v_lshl_add_u64 v[2:3], v[2:3], 2, s[6:7]
	s_and_b64 s[6:7], vcc, s[2:3]
	s_and_saveexec_b64 s[2:3], s[6:7]
	s_cbranch_execz .LBB34_22
; %bb.19:
	v_mul_f32_e32 v0, s10, v0
	s_and_b64 vcc, exec, s[0:1]
	v_lshl_add_u64 v[4:5], v[4:5], 2, v[2:3]
	s_cbranch_vccnz .LBB34_21
; %bb.20:
	global_load_dword v9, v[4:5], off
	s_waitcnt vmcnt(0)
	v_fmac_f32_e32 v0, s16, v9
.LBB34_21:
	global_store_dword v[4:5], v0, off
.LBB34_22:
	s_or_b64 exec, exec, s[2:3]
	v_cmp_le_i32_e32 vcc, v8, v6
	s_and_b64 s[2:3], vcc, s[4:5]
	s_and_saveexec_b64 s[4:5], s[2:3]
	s_cbranch_execz .LBB34_26
; %bb.23:
	v_mul_f32_e32 v4, s10, v1
	s_and_b64 vcc, exec, s[0:1]
	v_lshl_add_u64 v[0:1], v[6:7], 2, v[2:3]
	s_cbranch_vccnz .LBB34_25
; %bb.24:
	global_load_dword v2, v[0:1], off
	s_waitcnt vmcnt(0)
	v_fmac_f32_e32 v4, s16, v2
.LBB34_25:
	global_store_dword v[0:1], v4, off
.LBB34_26:
	s_endpgm
	.section	.rodata,"a",@progbits
	.p2align	6, 0x0
	.amdhsa_kernel _ZL29rocblas_internal_gemmt_kernelIiLi16ELi32ELi8ELc67ELc84ELc76ELb0ELb0EffPKfPfEviT_T9_T10_S3_lS5_S3_lS4_T11_S3_li
		.amdhsa_group_segment_fixed_size 2048
		.amdhsa_private_segment_fixed_size 0
		.amdhsa_kernarg_size 100
		.amdhsa_user_sgpr_count 2
		.amdhsa_user_sgpr_dispatch_ptr 0
		.amdhsa_user_sgpr_queue_ptr 0
		.amdhsa_user_sgpr_kernarg_segment_ptr 1
		.amdhsa_user_sgpr_dispatch_id 0
		.amdhsa_user_sgpr_kernarg_preload_length 0
		.amdhsa_user_sgpr_kernarg_preload_offset 0
		.amdhsa_user_sgpr_private_segment_size 0
		.amdhsa_uses_dynamic_stack 0
		.amdhsa_enable_private_segment 0
		.amdhsa_system_sgpr_workgroup_id_x 1
		.amdhsa_system_sgpr_workgroup_id_y 1
		.amdhsa_system_sgpr_workgroup_id_z 1
		.amdhsa_system_sgpr_workgroup_info 0
		.amdhsa_system_vgpr_workitem_id 1
		.amdhsa_next_free_vgpr 48
		.amdhsa_next_free_sgpr 24
		.amdhsa_accum_offset 48
		.amdhsa_reserve_vcc 1
		.amdhsa_float_round_mode_32 0
		.amdhsa_float_round_mode_16_64 0
		.amdhsa_float_denorm_mode_32 3
		.amdhsa_float_denorm_mode_16_64 3
		.amdhsa_dx10_clamp 1
		.amdhsa_ieee_mode 1
		.amdhsa_fp16_overflow 0
		.amdhsa_tg_split 0
		.amdhsa_exception_fp_ieee_invalid_op 0
		.amdhsa_exception_fp_denorm_src 0
		.amdhsa_exception_fp_ieee_div_zero 0
		.amdhsa_exception_fp_ieee_overflow 0
		.amdhsa_exception_fp_ieee_underflow 0
		.amdhsa_exception_fp_ieee_inexact 0
		.amdhsa_exception_int_div_zero 0
	.end_amdhsa_kernel
	.section	.text._ZL29rocblas_internal_gemmt_kernelIiLi16ELi32ELi8ELc67ELc84ELc76ELb0ELb0EffPKfPfEviT_T9_T10_S3_lS5_S3_lS4_T11_S3_li,"axG",@progbits,_ZL29rocblas_internal_gemmt_kernelIiLi16ELi32ELi8ELc67ELc84ELc76ELb0ELb0EffPKfPfEviT_T9_T10_S3_lS5_S3_lS4_T11_S3_li,comdat
.Lfunc_end34:
	.size	_ZL29rocblas_internal_gemmt_kernelIiLi16ELi32ELi8ELc67ELc84ELc76ELb0ELb0EffPKfPfEviT_T9_T10_S3_lS5_S3_lS4_T11_S3_li, .Lfunc_end34-_ZL29rocblas_internal_gemmt_kernelIiLi16ELi32ELi8ELc67ELc84ELc76ELb0ELb0EffPKfPfEviT_T9_T10_S3_lS5_S3_lS4_T11_S3_li
                                        ; -- End function
	.set _ZL29rocblas_internal_gemmt_kernelIiLi16ELi32ELi8ELc67ELc84ELc76ELb0ELb0EffPKfPfEviT_T9_T10_S3_lS5_S3_lS4_T11_S3_li.num_vgpr, 48
	.set _ZL29rocblas_internal_gemmt_kernelIiLi16ELi32ELi8ELc67ELc84ELc76ELb0ELb0EffPKfPfEviT_T9_T10_S3_lS5_S3_lS4_T11_S3_li.num_agpr, 0
	.set _ZL29rocblas_internal_gemmt_kernelIiLi16ELi32ELi8ELc67ELc84ELc76ELb0ELb0EffPKfPfEviT_T9_T10_S3_lS5_S3_lS4_T11_S3_li.numbered_sgpr, 24
	.set _ZL29rocblas_internal_gemmt_kernelIiLi16ELi32ELi8ELc67ELc84ELc76ELb0ELb0EffPKfPfEviT_T9_T10_S3_lS5_S3_lS4_T11_S3_li.num_named_barrier, 0
	.set _ZL29rocblas_internal_gemmt_kernelIiLi16ELi32ELi8ELc67ELc84ELc76ELb0ELb0EffPKfPfEviT_T9_T10_S3_lS5_S3_lS4_T11_S3_li.private_seg_size, 0
	.set _ZL29rocblas_internal_gemmt_kernelIiLi16ELi32ELi8ELc67ELc84ELc76ELb0ELb0EffPKfPfEviT_T9_T10_S3_lS5_S3_lS4_T11_S3_li.uses_vcc, 1
	.set _ZL29rocblas_internal_gemmt_kernelIiLi16ELi32ELi8ELc67ELc84ELc76ELb0ELb0EffPKfPfEviT_T9_T10_S3_lS5_S3_lS4_T11_S3_li.uses_flat_scratch, 0
	.set _ZL29rocblas_internal_gemmt_kernelIiLi16ELi32ELi8ELc67ELc84ELc76ELb0ELb0EffPKfPfEviT_T9_T10_S3_lS5_S3_lS4_T11_S3_li.has_dyn_sized_stack, 0
	.set _ZL29rocblas_internal_gemmt_kernelIiLi16ELi32ELi8ELc67ELc84ELc76ELb0ELb0EffPKfPfEviT_T9_T10_S3_lS5_S3_lS4_T11_S3_li.has_recursion, 0
	.set _ZL29rocblas_internal_gemmt_kernelIiLi16ELi32ELi8ELc67ELc84ELc76ELb0ELb0EffPKfPfEviT_T9_T10_S3_lS5_S3_lS4_T11_S3_li.has_indirect_call, 0
	.section	.AMDGPU.csdata,"",@progbits
; Kernel info:
; codeLenInByte = 1244
; TotalNumSgprs: 30
; NumVgprs: 48
; NumAgprs: 0
; TotalNumVgprs: 48
; ScratchSize: 0
; MemoryBound: 0
; FloatMode: 240
; IeeeMode: 1
; LDSByteSize: 2048 bytes/workgroup (compile time only)
; SGPRBlocks: 3
; VGPRBlocks: 5
; NumSGPRsForWavesPerEU: 30
; NumVGPRsForWavesPerEU: 48
; AccumOffset: 48
; Occupancy: 8
; WaveLimiterHint : 0
; COMPUTE_PGM_RSRC2:SCRATCH_EN: 0
; COMPUTE_PGM_RSRC2:USER_SGPR: 2
; COMPUTE_PGM_RSRC2:TRAP_HANDLER: 0
; COMPUTE_PGM_RSRC2:TGID_X_EN: 1
; COMPUTE_PGM_RSRC2:TGID_Y_EN: 1
; COMPUTE_PGM_RSRC2:TGID_Z_EN: 1
; COMPUTE_PGM_RSRC2:TIDIG_COMP_CNT: 1
; COMPUTE_PGM_RSRC3_GFX90A:ACCUM_OFFSET: 11
; COMPUTE_PGM_RSRC3_GFX90A:TG_SPLIT: 0
	.section	.text._ZL29rocblas_internal_gemmt_kernelIiLi16ELi32ELi8ELc67ELc67ELc76ELb0ELb0EffPKfPfEviT_T9_T10_S3_lS5_S3_lS4_T11_S3_li,"axG",@progbits,_ZL29rocblas_internal_gemmt_kernelIiLi16ELi32ELi8ELc67ELc67ELc76ELb0ELb0EffPKfPfEviT_T9_T10_S3_lS5_S3_lS4_T11_S3_li,comdat
	.globl	_ZL29rocblas_internal_gemmt_kernelIiLi16ELi32ELi8ELc67ELc67ELc76ELb0ELb0EffPKfPfEviT_T9_T10_S3_lS5_S3_lS4_T11_S3_li ; -- Begin function _ZL29rocblas_internal_gemmt_kernelIiLi16ELi32ELi8ELc67ELc67ELc76ELb0ELb0EffPKfPfEviT_T9_T10_S3_lS5_S3_lS4_T11_S3_li
	.p2align	8
	.type	_ZL29rocblas_internal_gemmt_kernelIiLi16ELi32ELi8ELc67ELc67ELc76ELb0ELb0EffPKfPfEviT_T9_T10_S3_lS5_S3_lS4_T11_S3_li,@function
_ZL29rocblas_internal_gemmt_kernelIiLi16ELi32ELi8ELc67ELc67ELc76ELb0ELb0EffPKfPfEviT_T9_T10_S3_lS5_S3_lS4_T11_S3_li: ; @_ZL29rocblas_internal_gemmt_kernelIiLi16ELi32ELi8ELc67ELc67ELc76ELb0ELb0EffPKfPfEviT_T9_T10_S3_lS5_S3_lS4_T11_S3_li
; %bb.0:
	s_load_dword s16, s[0:1], 0x40
	s_load_dwordx4 s[8:11], s[0:1], 0x0
	s_waitcnt lgkmcnt(0)
	v_cmp_neq_f32_e64 s[6:7], s16, 1.0
	s_and_b64 vcc, exec, s[6:7]
	s_cbranch_vccnz .LBB35_2
; %bb.1:
	s_cmp_lg_u32 s9, 0
	s_cselect_b64 s[6:7], -1, 0
	v_cmp_neq_f32_e64 s[12:13], s10, 0
	s_and_b64 s[6:7], s[6:7], s[12:13]
.LBB35_2:
	s_andn2_b64 vcc, exec, s[6:7]
	s_cbranch_vccnz .LBB35_26
; %bb.3:
	s_lshl_b32 s5, s2, 5
	s_lshl_b32 s11, s3, 5
	s_cmp_lt_i32 s9, 1
	v_cmp_eq_f32_e64 s[2:3], s10, 0
	s_cselect_b64 s[6:7], -1, 0
	v_mov_b32_e32 v3, 0
	s_or_b64 s[2:3], s[2:3], s[6:7]
	v_and_b32_e32 v8, 0x3ff, v0
	v_bfe_u32 v9, v0, 10, 10
	s_mov_b32 s17, 0
	s_and_b64 vcc, exec, s[2:3]
	v_mov_b32_e32 v2, v3
	v_mov_b32_e32 v1, v3
	;; [unrolled: 1-line block ×3, first 2 shown]
	s_cbranch_vccnz .LBB35_10
; %bb.4:
	v_lshl_add_u32 v0, v9, 4, v8
	v_lshrrev_b32_e32 v11, 5, v0
	v_lshrrev_b32_e32 v1, 3, v0
	v_and_b32_e32 v0, 31, v0
	v_or_b32_e32 v3, s5, v0
	v_and_b32_e32 v10, 7, v8
	s_load_dwordx4 s[12:15], s[0:1], 0x20
	s_load_dword s6, s[0:1], 0x30
	s_load_dwordx2 s[18:19], s[0:1], 0x10
	s_load_dword s22, s[0:1], 0x18
	s_load_dwordx2 s[20:21], s[0:1], 0x38
	v_cmp_gt_i32_e32 vcc, s8, v3
	v_lshlrev_b32_e32 v3, 2, v0
	v_lshl_or_b32 v12, v11, 7, v3
	v_lshlrev_b32_e32 v3, 2, v10
	v_add_u32_e32 v2, s11, v1
	v_lshl_or_b32 v1, v1, 5, v3
	v_add_u32_e32 v13, 0x400, v1
	v_mov_b32_e32 v1, 0x400
	v_add_u32_e32 v0, s5, v0
	v_lshl_add_u32 v15, v9, 5, v1
	s_waitcnt lgkmcnt(0)
	v_mad_i64_i32 v[0:1], s[22:23], s22, v0, 0
	s_mul_i32 s13, s13, s4
	s_mul_hi_u32 s22, s12, s4
	s_add_i32 s13, s22, s13
	s_mul_i32 s12, s12, s4
	s_lshl_b64 s[12:13], s[12:13], 2
	v_lshl_add_u64 v[4:5], v[0:1], 2, s[12:13]
	v_lshlrev_b32_e32 v0, 2, v11
	v_mov_b32_e32 v1, 0
	v_lshl_add_u64 v[4:5], v[4:5], 0, v[0:1]
	v_lshl_add_u64 v[4:5], s[18:19], 0, v[4:5]
	s_mul_i32 s12, s21, s4
	s_mul_hi_u32 s13, s20, s4
	v_mad_i64_i32 v[6:7], s[18:19], s6, v10, 0
	s_add_i32 s13, s13, s12
	s_mul_i32 s12, s20, s4
	v_lshlrev_b64 v[6:7], 2, v[6:7]
	v_ashrrev_i32_e32 v3, 31, v2
	v_lshl_add_u64 v[6:7], s[12:13], 2, v[6:7]
	s_ashr_i32 s7, s6, 31
	v_cmp_gt_i32_e64 s[2:3], s8, v2
	v_lshl_add_u64 v[2:3], v[2:3], 2, v[6:7]
	v_lshlrev_b32_e32 v14, 2, v8
	v_lshl_add_u64 v[6:7], s[14:15], 0, v[2:3]
	s_lshl_b64 s[12:13], s[6:7], 5
	v_mov_b32_e32 v0, v1
	v_mov_b32_e32 v2, v1
	;; [unrolled: 1-line block ×3, first 2 shown]
	s_branch .LBB35_6
.LBB35_5:                               ;   in Loop: Header=BB35_6 Depth=1
	s_or_b64 exec, exec, s[6:7]
	s_waitcnt vmcnt(0)
	ds_write_b32 v13, v16
	s_waitcnt lgkmcnt(0)
	s_barrier
	ds_read_b128 v[16:19], v15
	ds_read_b128 v[20:23], v15 offset:16
	ds_read2_b32 v[32:33], v14 offset1:16
	ds_read2_b32 v[34:35], v14 offset0:32 offset1:48
	ds_read2_b32 v[36:37], v14 offset0:64 offset1:80
	;; [unrolled: 1-line block ×4, first 2 shown]
	ds_read_b128 v[24:27], v15 offset:512
	ds_read_b128 v[28:31], v15 offset:528
	ds_read2_b32 v[42:43], v14 offset0:160 offset1:176
	ds_read2_b32 v[44:45], v14 offset0:192 offset1:208
	;; [unrolled: 1-line block ×3, first 2 shown]
	s_waitcnt lgkmcnt(9)
	v_pk_fma_f32 v[2:3], v[32:33], v[16:17], v[2:3] op_sel_hi:[1,0,1]
	s_waitcnt lgkmcnt(4)
	v_pk_fma_f32 v[0:1], v[32:33], v[24:25], v[0:1] op_sel_hi:[1,0,1]
	v_pk_fma_f32 v[2:3], v[34:35], v[16:17], v[2:3] op_sel:[0,1,0]
	v_mov_b32_e32 v16, v19
	v_pk_fma_f32 v[2:3], v[36:37], v[18:19], v[2:3] op_sel_hi:[1,0,1]
	v_pk_fma_f32 v[0:1], v[34:35], v[24:25], v[0:1] op_sel:[0,1,0]
	v_pk_fma_f32 v[2:3], v[38:39], v[16:17], v[2:3] op_sel_hi:[1,0,1]
	v_mov_b32_e32 v16, v23
	v_pk_fma_f32 v[2:3], v[40:41], v[20:21], v[2:3] op_sel_hi:[1,0,1]
	v_pk_fma_f32 v[0:1], v[36:37], v[26:27], v[0:1] op_sel_hi:[1,0,1]
	s_waitcnt lgkmcnt(2)
	v_pk_fma_f32 v[2:3], v[42:43], v[20:21], v[2:3] op_sel:[0,1,0]
	s_add_i32 s17, s17, 8
	s_waitcnt lgkmcnt(1)
	v_pk_fma_f32 v[2:3], v[44:45], v[22:23], v[2:3] op_sel_hi:[1,0,1]
	v_lshl_add_u64 v[4:5], v[4:5], 0, 32
	s_waitcnt lgkmcnt(0)
	v_pk_fma_f32 v[2:3], v[46:47], v[16:17], v[2:3] op_sel_hi:[1,0,1]
	v_mov_b32_e32 v16, v27
	v_pk_fma_f32 v[0:1], v[38:39], v[16:17], v[0:1] op_sel_hi:[1,0,1]
	v_mov_b32_e32 v16, v31
	v_pk_fma_f32 v[0:1], v[40:41], v[28:29], v[0:1] op_sel_hi:[1,0,1]
	s_cmp_lt_i32 s17, s9
	v_pk_fma_f32 v[0:1], v[42:43], v[28:29], v[0:1] op_sel:[0,1,0]
	v_lshl_add_u64 v[6:7], v[6:7], 0, s[12:13]
	v_pk_fma_f32 v[0:1], v[44:45], v[30:31], v[0:1] op_sel_hi:[1,0,1]
	s_nop 0
	v_pk_fma_f32 v[0:1], v[46:47], v[16:17], v[0:1] op_sel_hi:[1,0,1]
	s_barrier
	s_cbranch_scc0 .LBB35_10
.LBB35_6:                               ; =>This Inner Loop Header: Depth=1
	v_add_u32_e32 v16, s17, v11
	v_cmp_gt_i32_e64 s[6:7], s9, v16
	s_and_b64 s[14:15], vcc, s[6:7]
	v_mov_b32_e32 v16, 0
	s_and_saveexec_b64 s[6:7], s[14:15]
	s_cbranch_execz .LBB35_8
; %bb.7:                                ;   in Loop: Header=BB35_6 Depth=1
	global_load_dword v16, v[4:5], off
.LBB35_8:                               ;   in Loop: Header=BB35_6 Depth=1
	s_or_b64 exec, exec, s[6:7]
	s_waitcnt vmcnt(0)
	ds_write_b32 v12, v16
	v_add_u32_e32 v16, s17, v10
	v_cmp_gt_i32_e64 s[6:7], s9, v16
	s_and_b64 s[14:15], s[6:7], s[2:3]
	v_mov_b32_e32 v16, 0
	s_and_saveexec_b64 s[6:7], s[14:15]
	s_cbranch_execz .LBB35_5
; %bb.9:                                ;   in Loop: Header=BB35_6 Depth=1
	global_load_dword v16, v[6:7], off
	s_branch .LBB35_5
.LBB35_10:
	s_load_dwordx2 s[2:3], s[0:1], 0x58
	s_load_dwordx2 s[6:7], s[0:1], 0x48
	s_load_dword s12, s[0:1], 0x50
	v_add_u32_e32 v10, s11, v9
	v_add_u32_e32 v4, s5, v8
	s_waitcnt lgkmcnt(0)
	s_mul_i32 s1, s3, s4
	s_mul_hi_u32 s3, s2, s4
	s_mul_i32 s0, s2, s4
	s_add_i32 s1, s3, s1
	s_lshl_b64 s[0:1], s[0:1], 2
	s_add_u32 s6, s6, s0
	s_addc_u32 s7, s7, s1
	v_mad_i64_i32 v[6:7], s[0:1], v10, s12, 0
	v_cmp_neq_f32_e64 s[0:1], s16, 0
	v_lshl_add_u64 v[8:9], v[6:7], 2, s[6:7]
	v_cmp_le_i32_e32 vcc, v10, v4
	v_cmp_gt_i32_e64 s[2:3], s8, v4
	v_cndmask_b32_e64 v6, 0, 1, s[0:1]
	s_and_b64 s[14:15], vcc, s[2:3]
	v_ashrrev_i32_e32 v5, 31, v4
	v_cmp_ne_u32_e64 s[0:1], 1, v6
	s_and_saveexec_b64 s[4:5], s[14:15]
	s_cbranch_execz .LBB35_14
; %bb.11:
	v_mul_f32_e32 v2, s10, v2
	s_and_b64 vcc, exec, s[0:1]
	v_lshl_add_u64 v[6:7], v[4:5], 2, v[8:9]
	s_cbranch_vccnz .LBB35_13
; %bb.12:
	global_load_dword v11, v[6:7], off
	s_waitcnt vmcnt(0)
	v_fmac_f32_e32 v2, s16, v11
.LBB35_13:
	global_store_dword v[6:7], v2, off
.LBB35_14:
	s_or_b64 exec, exec, s[4:5]
	v_add_u32_e32 v6, 16, v4
	v_cmp_le_i32_e32 vcc, v10, v6
	v_cmp_gt_i32_e64 s[4:5], s8, v6
	s_and_b64 s[14:15], vcc, s[4:5]
	v_ashrrev_i32_e32 v7, 31, v6
	s_and_saveexec_b64 s[8:9], s[14:15]
	s_cbranch_execz .LBB35_18
; %bb.15:
	v_mul_f32_e32 v11, s10, v3
	s_and_b64 vcc, exec, s[0:1]
	v_lshl_add_u64 v[2:3], v[6:7], 2, v[8:9]
	s_cbranch_vccnz .LBB35_17
; %bb.16:
	global_load_dword v8, v[2:3], off
	s_waitcnt vmcnt(0)
	v_fmac_f32_e32 v11, s16, v8
.LBB35_17:
	global_store_dword v[2:3], v11, off
.LBB35_18:
	s_or_b64 exec, exec, s[8:9]
	v_add_u32_e32 v8, 16, v10
	v_mad_i64_i32 v[2:3], s[8:9], v8, s12, 0
	v_cmp_le_i32_e32 vcc, v8, v4
	v_lshl_add_u64 v[2:3], v[2:3], 2, s[6:7]
	s_and_b64 s[6:7], vcc, s[2:3]
	s_and_saveexec_b64 s[2:3], s[6:7]
	s_cbranch_execz .LBB35_22
; %bb.19:
	v_mul_f32_e32 v0, s10, v0
	s_and_b64 vcc, exec, s[0:1]
	v_lshl_add_u64 v[4:5], v[4:5], 2, v[2:3]
	s_cbranch_vccnz .LBB35_21
; %bb.20:
	global_load_dword v9, v[4:5], off
	s_waitcnt vmcnt(0)
	v_fmac_f32_e32 v0, s16, v9
.LBB35_21:
	global_store_dword v[4:5], v0, off
.LBB35_22:
	s_or_b64 exec, exec, s[2:3]
	v_cmp_le_i32_e32 vcc, v8, v6
	s_and_b64 s[2:3], vcc, s[4:5]
	s_and_saveexec_b64 s[4:5], s[2:3]
	s_cbranch_execz .LBB35_26
; %bb.23:
	v_mul_f32_e32 v4, s10, v1
	s_and_b64 vcc, exec, s[0:1]
	v_lshl_add_u64 v[0:1], v[6:7], 2, v[2:3]
	s_cbranch_vccnz .LBB35_25
; %bb.24:
	global_load_dword v2, v[0:1], off
	s_waitcnt vmcnt(0)
	v_fmac_f32_e32 v4, s16, v2
.LBB35_25:
	global_store_dword v[0:1], v4, off
.LBB35_26:
	s_endpgm
	.section	.rodata,"a",@progbits
	.p2align	6, 0x0
	.amdhsa_kernel _ZL29rocblas_internal_gemmt_kernelIiLi16ELi32ELi8ELc67ELc67ELc76ELb0ELb0EffPKfPfEviT_T9_T10_S3_lS5_S3_lS4_T11_S3_li
		.amdhsa_group_segment_fixed_size 2048
		.amdhsa_private_segment_fixed_size 0
		.amdhsa_kernarg_size 100
		.amdhsa_user_sgpr_count 2
		.amdhsa_user_sgpr_dispatch_ptr 0
		.amdhsa_user_sgpr_queue_ptr 0
		.amdhsa_user_sgpr_kernarg_segment_ptr 1
		.amdhsa_user_sgpr_dispatch_id 0
		.amdhsa_user_sgpr_kernarg_preload_length 0
		.amdhsa_user_sgpr_kernarg_preload_offset 0
		.amdhsa_user_sgpr_private_segment_size 0
		.amdhsa_uses_dynamic_stack 0
		.amdhsa_enable_private_segment 0
		.amdhsa_system_sgpr_workgroup_id_x 1
		.amdhsa_system_sgpr_workgroup_id_y 1
		.amdhsa_system_sgpr_workgroup_id_z 1
		.amdhsa_system_sgpr_workgroup_info 0
		.amdhsa_system_vgpr_workitem_id 1
		.amdhsa_next_free_vgpr 48
		.amdhsa_next_free_sgpr 24
		.amdhsa_accum_offset 48
		.amdhsa_reserve_vcc 1
		.amdhsa_float_round_mode_32 0
		.amdhsa_float_round_mode_16_64 0
		.amdhsa_float_denorm_mode_32 3
		.amdhsa_float_denorm_mode_16_64 3
		.amdhsa_dx10_clamp 1
		.amdhsa_ieee_mode 1
		.amdhsa_fp16_overflow 0
		.amdhsa_tg_split 0
		.amdhsa_exception_fp_ieee_invalid_op 0
		.amdhsa_exception_fp_denorm_src 0
		.amdhsa_exception_fp_ieee_div_zero 0
		.amdhsa_exception_fp_ieee_overflow 0
		.amdhsa_exception_fp_ieee_underflow 0
		.amdhsa_exception_fp_ieee_inexact 0
		.amdhsa_exception_int_div_zero 0
	.end_amdhsa_kernel
	.section	.text._ZL29rocblas_internal_gemmt_kernelIiLi16ELi32ELi8ELc67ELc67ELc76ELb0ELb0EffPKfPfEviT_T9_T10_S3_lS5_S3_lS4_T11_S3_li,"axG",@progbits,_ZL29rocblas_internal_gemmt_kernelIiLi16ELi32ELi8ELc67ELc67ELc76ELb0ELb0EffPKfPfEviT_T9_T10_S3_lS5_S3_lS4_T11_S3_li,comdat
.Lfunc_end35:
	.size	_ZL29rocblas_internal_gemmt_kernelIiLi16ELi32ELi8ELc67ELc67ELc76ELb0ELb0EffPKfPfEviT_T9_T10_S3_lS5_S3_lS4_T11_S3_li, .Lfunc_end35-_ZL29rocblas_internal_gemmt_kernelIiLi16ELi32ELi8ELc67ELc67ELc76ELb0ELb0EffPKfPfEviT_T9_T10_S3_lS5_S3_lS4_T11_S3_li
                                        ; -- End function
	.set _ZL29rocblas_internal_gemmt_kernelIiLi16ELi32ELi8ELc67ELc67ELc76ELb0ELb0EffPKfPfEviT_T9_T10_S3_lS5_S3_lS4_T11_S3_li.num_vgpr, 48
	.set _ZL29rocblas_internal_gemmt_kernelIiLi16ELi32ELi8ELc67ELc67ELc76ELb0ELb0EffPKfPfEviT_T9_T10_S3_lS5_S3_lS4_T11_S3_li.num_agpr, 0
	.set _ZL29rocblas_internal_gemmt_kernelIiLi16ELi32ELi8ELc67ELc67ELc76ELb0ELb0EffPKfPfEviT_T9_T10_S3_lS5_S3_lS4_T11_S3_li.numbered_sgpr, 24
	.set _ZL29rocblas_internal_gemmt_kernelIiLi16ELi32ELi8ELc67ELc67ELc76ELb0ELb0EffPKfPfEviT_T9_T10_S3_lS5_S3_lS4_T11_S3_li.num_named_barrier, 0
	.set _ZL29rocblas_internal_gemmt_kernelIiLi16ELi32ELi8ELc67ELc67ELc76ELb0ELb0EffPKfPfEviT_T9_T10_S3_lS5_S3_lS4_T11_S3_li.private_seg_size, 0
	.set _ZL29rocblas_internal_gemmt_kernelIiLi16ELi32ELi8ELc67ELc67ELc76ELb0ELb0EffPKfPfEviT_T9_T10_S3_lS5_S3_lS4_T11_S3_li.uses_vcc, 1
	.set _ZL29rocblas_internal_gemmt_kernelIiLi16ELi32ELi8ELc67ELc67ELc76ELb0ELb0EffPKfPfEviT_T9_T10_S3_lS5_S3_lS4_T11_S3_li.uses_flat_scratch, 0
	.set _ZL29rocblas_internal_gemmt_kernelIiLi16ELi32ELi8ELc67ELc67ELc76ELb0ELb0EffPKfPfEviT_T9_T10_S3_lS5_S3_lS4_T11_S3_li.has_dyn_sized_stack, 0
	.set _ZL29rocblas_internal_gemmt_kernelIiLi16ELi32ELi8ELc67ELc67ELc76ELb0ELb0EffPKfPfEviT_T9_T10_S3_lS5_S3_lS4_T11_S3_li.has_recursion, 0
	.set _ZL29rocblas_internal_gemmt_kernelIiLi16ELi32ELi8ELc67ELc67ELc76ELb0ELb0EffPKfPfEviT_T9_T10_S3_lS5_S3_lS4_T11_S3_li.has_indirect_call, 0
	.section	.AMDGPU.csdata,"",@progbits
; Kernel info:
; codeLenInByte = 1244
; TotalNumSgprs: 30
; NumVgprs: 48
; NumAgprs: 0
; TotalNumVgprs: 48
; ScratchSize: 0
; MemoryBound: 0
; FloatMode: 240
; IeeeMode: 1
; LDSByteSize: 2048 bytes/workgroup (compile time only)
; SGPRBlocks: 3
; VGPRBlocks: 5
; NumSGPRsForWavesPerEU: 30
; NumVGPRsForWavesPerEU: 48
; AccumOffset: 48
; Occupancy: 8
; WaveLimiterHint : 0
; COMPUTE_PGM_RSRC2:SCRATCH_EN: 0
; COMPUTE_PGM_RSRC2:USER_SGPR: 2
; COMPUTE_PGM_RSRC2:TRAP_HANDLER: 0
; COMPUTE_PGM_RSRC2:TGID_X_EN: 1
; COMPUTE_PGM_RSRC2:TGID_Y_EN: 1
; COMPUTE_PGM_RSRC2:TGID_Z_EN: 1
; COMPUTE_PGM_RSRC2:TIDIG_COMP_CNT: 1
; COMPUTE_PGM_RSRC3_GFX90A:ACCUM_OFFSET: 11
; COMPUTE_PGM_RSRC3_GFX90A:TG_SPLIT: 0
	.section	.text._ZL29rocblas_internal_gemmt_kernelIiLi16ELi32ELi8ELc78ELc78ELc85ELb0ELb0EdPKdS1_PdEviT_T9_T10_S3_lS5_S3_lS4_T11_S3_li,"axG",@progbits,_ZL29rocblas_internal_gemmt_kernelIiLi16ELi32ELi8ELc78ELc78ELc85ELb0ELb0EdPKdS1_PdEviT_T9_T10_S3_lS5_S3_lS4_T11_S3_li,comdat
	.globl	_ZL29rocblas_internal_gemmt_kernelIiLi16ELi32ELi8ELc78ELc78ELc85ELb0ELb0EdPKdS1_PdEviT_T9_T10_S3_lS5_S3_lS4_T11_S3_li ; -- Begin function _ZL29rocblas_internal_gemmt_kernelIiLi16ELi32ELi8ELc78ELc78ELc85ELb0ELb0EdPKdS1_PdEviT_T9_T10_S3_lS5_S3_lS4_T11_S3_li
	.p2align	8
	.type	_ZL29rocblas_internal_gemmt_kernelIiLi16ELi32ELi8ELc78ELc78ELc85ELb0ELb0EdPKdS1_PdEviT_T9_T10_S3_lS5_S3_lS4_T11_S3_li,@function
_ZL29rocblas_internal_gemmt_kernelIiLi16ELi32ELi8ELc78ELc78ELc85ELb0ELb0EdPKdS1_PdEviT_T9_T10_S3_lS5_S3_lS4_T11_S3_li: ; @_ZL29rocblas_internal_gemmt_kernelIiLi16ELi32ELi8ELc78ELc78ELc85ELb0ELb0EdPKdS1_PdEviT_T9_T10_S3_lS5_S3_lS4_T11_S3_li
; %bb.0:
	s_load_dwordx4 s[8:11], s[0:1], 0x38
	s_load_dwordx4 s[12:15], s[0:1], 0x8
	s_waitcnt lgkmcnt(0)
	s_load_dwordx2 s[20:21], s[10:11], 0x0
	s_load_dwordx2 s[24:25], s[0:1], 0x0
	;; [unrolled: 1-line block ×3, first 2 shown]
	s_waitcnt lgkmcnt(0)
	v_cmp_neq_f64_e64 s[6:7], s[20:21], 1.0
	s_and_b64 vcc, exec, s[6:7]
	s_cbranch_vccnz .LBB36_2
; %bb.1:
	s_cmp_lg_u32 s25, 0
	s_cselect_b64 s[6:7], -1, 0
	v_cmp_neq_f64_e64 s[10:11], s[22:23], 0
	s_and_b64 s[6:7], s[6:7], s[10:11]
.LBB36_2:
	s_andn2_b64 vcc, exec, s[6:7]
	s_cbranch_vccnz .LBB36_26
; %bb.3:
	s_load_dwordx2 s[10:11], s[0:1], 0x48
	s_lshl_b32 s5, s2, 5
	s_lshl_b32 s26, s3, 5
	s_cmp_lt_i32 s25, 1
	v_cmp_eq_f64_e64 s[2:3], s[22:23], 0
	s_cselect_b64 s[6:7], -1, 0
	s_or_b64 s[2:3], s[2:3], s[6:7]
	v_and_b32_e32 v13, 0x3ff, v0
	v_bfe_u32 v12, v0, 10, 10
	s_mov_b32 s27, 0
	v_mov_b64_e32 v[6:7], 0
	s_and_b64 vcc, exec, s[2:3]
	v_mov_b64_e32 v[4:5], 0
	v_mov_b64_e32 v[2:3], 0
	;; [unrolled: 1-line block ×3, first 2 shown]
	s_cbranch_vccnz .LBB36_10
; %bb.4:
	s_load_dword s6, s[0:1], 0x18
	s_load_dwordx4 s[16:19], s[0:1], 0x20
	s_load_dword s28, s[0:1], 0x30
	v_lshl_add_u32 v0, v12, 4, v13
	v_lshrrev_b32_e32 v15, 5, v0
	v_and_b32_e32 v4, 31, v0
	s_waitcnt lgkmcnt(0)
	v_mad_i64_i32 v[2:3], s[12:13], v15, s6, 0
	s_mul_i32 s12, s17, s4
	s_mul_hi_u32 s13, s16, s4
	v_lshrrev_b32_e32 v1, 3, v0
	v_or_b32_e32 v0, s5, v4
	s_add_i32 s13, s13, s12
	s_mul_i32 s12, s16, s4
	v_cmp_gt_i32_e32 vcc, s24, v0
	v_lshlrev_b32_e32 v0, 3, v4
	s_lshl_b64 s[12:13], s[12:13], 3
	v_add_u32_e32 v4, s5, v4
	v_lshl_add_u64 v[2:3], v[2:3], 3, s[12:13]
	v_ashrrev_i32_e32 v5, 31, v4
	s_ashr_i32 s7, s6, 31
	v_add_u32_e32 v6, s26, v1
	v_lshl_add_u64 v[2:3], v[4:5], 3, v[2:3]
	v_and_b32_e32 v14, 7, v13
	v_lshl_add_u64 v[8:9], s[14:15], 0, v[2:3]
	s_lshl_b64 s[12:13], s[6:7], 6
	v_mad_i64_i32 v[2:3], s[6:7], s28, v6, 0
	v_lshl_or_b32 v16, v15, 8, v0
	v_lshlrev_b32_e32 v0, 3, v14
	s_mul_i32 s6, s9, s4
	s_mul_hi_u32 s7, s8, s4
	v_lshl_or_b32 v1, v1, 6, v0
	s_add_i32 s7, s7, s6
	s_mul_i32 s6, s8, s4
	v_add_u32_e32 v17, 0x800, v1
	v_mov_b32_e32 v1, 0x800
	s_lshl_b64 s[6:7], s[6:7], 3
	v_lshl_add_u32 v19, v12, 6, v1
	v_lshl_add_u64 v[2:3], v[2:3], 3, s[6:7]
	v_mov_b32_e32 v1, 0
	v_lshl_add_u64 v[0:1], v[2:3], 0, v[0:1]
	v_cmp_gt_i32_e64 s[2:3], s24, v6
	v_lshlrev_b32_e32 v18, 3, v13
	v_lshl_add_u64 v[10:11], s[18:19], 0, v[0:1]
	v_mov_b64_e32 v[0:1], 0
	v_mov_b64_e32 v[2:3], 0
	v_mov_b64_e32 v[4:5], 0
	v_mov_b64_e32 v[6:7], 0
	s_branch .LBB36_6
.LBB36_5:                               ;   in Loop: Header=BB36_6 Depth=1
	s_or_b64 exec, exec, s[6:7]
	s_waitcnt vmcnt(0)
	ds_write_b64 v17, v[20:21]
	s_waitcnt lgkmcnt(0)
	s_barrier
	ds_read2_b64 v[20:23], v18 offset1:16
	ds_read_b128 v[24:27], v19
	ds_read_b128 v[28:31], v19 offset:16
	ds_read_b128 v[32:35], v19 offset:32
	;; [unrolled: 1-line block ×4, first 2 shown]
	ds_read2_b64 v[44:47], v18 offset0:32 offset1:48
	s_waitcnt lgkmcnt(5)
	v_fmac_f64_e32 v[6:7], v[20:21], v[24:25]
	v_fmac_f64_e32 v[4:5], v[22:23], v[24:25]
	ds_read_b128 v[48:51], v19 offset:1040
	s_waitcnt lgkmcnt(2)
	v_fmac_f64_e32 v[2:3], v[20:21], v[40:41]
	v_fmac_f64_e32 v[0:1], v[22:23], v[40:41]
	ds_read2_b64 v[20:23], v18 offset0:64 offset1:80
	s_waitcnt lgkmcnt(2)
	v_fmac_f64_e32 v[6:7], v[44:45], v[26:27]
	v_fmac_f64_e32 v[4:5], v[46:47], v[26:27]
	ds_read2_b64 v[24:27], v18 offset0:96 offset1:112
	v_fmac_f64_e32 v[2:3], v[44:45], v[42:43]
	v_fmac_f64_e32 v[0:1], v[46:47], v[42:43]
	s_waitcnt lgkmcnt(1)
	v_fmac_f64_e32 v[6:7], v[20:21], v[28:29]
	v_fmac_f64_e32 v[4:5], v[22:23], v[28:29]
	ds_read_b128 v[40:43], v19 offset:1072
	v_fmac_f64_e32 v[2:3], v[20:21], v[48:49]
	v_fmac_f64_e32 v[0:1], v[22:23], v[48:49]
	s_waitcnt lgkmcnt(1)
	v_fmac_f64_e32 v[6:7], v[24:25], v[30:31]
	ds_read2_b64 v[20:23], v18 offset0:128 offset1:144
	v_fmac_f64_e32 v[4:5], v[26:27], v[30:31]
	v_fmac_f64_e32 v[2:3], v[24:25], v[50:51]
	;; [unrolled: 1-line block ×3, first 2 shown]
	ds_read_b128 v[24:27], v19 offset:1056
	ds_read2_b64 v[28:31], v18 offset0:160 offset1:176
	s_waitcnt lgkmcnt(2)
	v_fmac_f64_e32 v[6:7], v[20:21], v[32:33]
	v_fmac_f64_e32 v[4:5], v[22:23], v[32:33]
	s_add_i32 s27, s27, 8
	s_waitcnt lgkmcnt(1)
	v_fmac_f64_e32 v[2:3], v[20:21], v[24:25]
	v_fmac_f64_e32 v[0:1], v[22:23], v[24:25]
	ds_read2_b64 v[20:23], v18 offset0:192 offset1:208
	s_waitcnt lgkmcnt(1)
	v_fmac_f64_e32 v[2:3], v[28:29], v[26:27]
	v_fmac_f64_e32 v[0:1], v[30:31], v[26:27]
	ds_read2_b64 v[24:27], v18 offset0:224 offset1:240
	v_fmac_f64_e32 v[6:7], v[28:29], v[34:35]
	v_fmac_f64_e32 v[4:5], v[30:31], v[34:35]
	s_waitcnt lgkmcnt(1)
	v_fmac_f64_e32 v[6:7], v[20:21], v[36:37]
	v_fmac_f64_e32 v[4:5], v[22:23], v[36:37]
	;; [unrolled: 1-line block ×4, first 2 shown]
	s_waitcnt lgkmcnt(0)
	v_fmac_f64_e32 v[6:7], v[24:25], v[38:39]
	v_fmac_f64_e32 v[4:5], v[26:27], v[38:39]
	;; [unrolled: 1-line block ×4, first 2 shown]
	v_lshl_add_u64 v[8:9], v[8:9], 0, s[12:13]
	s_cmp_lt_i32 s27, s25
	v_lshl_add_u64 v[10:11], v[10:11], 0, 64
	s_barrier
	s_cbranch_scc0 .LBB36_10
.LBB36_6:                               ; =>This Inner Loop Header: Depth=1
	v_add_u32_e32 v20, s27, v15
	v_cmp_gt_i32_e64 s[6:7], s25, v20
	s_and_b64 s[8:9], vcc, s[6:7]
	v_mov_b64_e32 v[20:21], 0
	s_and_saveexec_b64 s[6:7], s[8:9]
	s_cbranch_execz .LBB36_8
; %bb.7:                                ;   in Loop: Header=BB36_6 Depth=1
	global_load_dwordx2 v[20:21], v[8:9], off
.LBB36_8:                               ;   in Loop: Header=BB36_6 Depth=1
	s_or_b64 exec, exec, s[6:7]
	s_waitcnt vmcnt(0)
	ds_write_b64 v16, v[20:21]
	v_add_u32_e32 v20, s27, v14
	v_cmp_gt_i32_e64 s[6:7], s25, v20
	s_and_b64 s[8:9], s[6:7], s[2:3]
	v_mov_b64_e32 v[20:21], 0
	s_and_saveexec_b64 s[6:7], s[8:9]
	s_cbranch_execz .LBB36_5
; %bb.9:                                ;   in Loop: Header=BB36_6 Depth=1
	global_load_dwordx2 v[20:21], v[10:11], off
	s_branch .LBB36_5
.LBB36_10:
	s_load_dwordx2 s[2:3], s[0:1], 0x58
	s_load_dword s8, s[0:1], 0x50
	v_add_u32_e32 v14, s26, v12
	v_add_u32_e32 v8, s5, v13
	v_cmp_le_i32_e32 vcc, v8, v14
	s_waitcnt lgkmcnt(0)
	s_mul_i32 s1, s3, s4
	s_mul_hi_u32 s3, s2, s4
	s_mul_i32 s0, s2, s4
	s_add_i32 s1, s3, s1
	s_lshl_b64 s[0:1], s[0:1], 3
	s_add_u32 s4, s10, s0
	s_addc_u32 s5, s11, s1
	v_mad_i64_i32 v[10:11], s[0:1], v14, s8, 0
	v_cmp_neq_f64_e64 s[0:1], s[20:21], 0
	v_cmp_gt_i32_e64 s[2:3], s24, v14
	v_lshl_add_u64 v[10:11], v[10:11], 3, s[4:5]
	v_cndmask_b32_e64 v12, 0, 1, s[0:1]
	s_and_b64 s[10:11], s[2:3], vcc
	v_ashrrev_i32_e32 v9, 31, v8
	v_cmp_ne_u32_e64 s[0:1], 1, v12
	s_and_saveexec_b64 s[6:7], s[10:11]
	s_cbranch_execz .LBB36_14
; %bb.11:
	v_mul_f64 v[6:7], s[22:23], v[6:7]
	s_and_b64 vcc, exec, s[0:1]
	v_lshl_add_u64 v[12:13], v[8:9], 3, v[10:11]
	s_cbranch_vccnz .LBB36_13
; %bb.12:
	global_load_dwordx2 v[16:17], v[12:13], off
	s_waitcnt vmcnt(0)
	v_fmac_f64_e32 v[6:7], s[20:21], v[16:17]
.LBB36_13:
	global_store_dwordx2 v[12:13], v[6:7], off
.LBB36_14:
	s_or_b64 exec, exec, s[6:7]
	v_add_u32_e32 v6, 16, v8
	v_cmp_le_i32_e32 vcc, v6, v14
	s_and_b64 s[6:7], s[2:3], vcc
	v_ashrrev_i32_e32 v7, 31, v6
	s_and_saveexec_b64 s[2:3], s[6:7]
	s_cbranch_execz .LBB36_18
; %bb.15:
	v_mul_f64 v[4:5], s[22:23], v[4:5]
	s_and_b64 vcc, exec, s[0:1]
	v_lshl_add_u64 v[10:11], v[6:7], 3, v[10:11]
	s_cbranch_vccnz .LBB36_17
; %bb.16:
	global_load_dwordx2 v[12:13], v[10:11], off
	s_waitcnt vmcnt(0)
	v_fmac_f64_e32 v[4:5], s[20:21], v[12:13]
.LBB36_17:
	global_store_dwordx2 v[10:11], v[4:5], off
.LBB36_18:
	s_or_b64 exec, exec, s[2:3]
	v_add_u32_e32 v10, 16, v14
	v_cmp_gt_i32_e64 s[2:3], s24, v10
	v_mad_i64_i32 v[4:5], s[6:7], v10, s8, 0
	v_cmp_le_i32_e32 vcc, v8, v10
	v_lshl_add_u64 v[4:5], v[4:5], 3, s[4:5]
	s_and_b64 s[6:7], s[2:3], vcc
	s_and_saveexec_b64 s[4:5], s[6:7]
	s_cbranch_execz .LBB36_22
; %bb.19:
	v_mul_f64 v[2:3], s[22:23], v[2:3]
	s_and_b64 vcc, exec, s[0:1]
	v_lshl_add_u64 v[8:9], v[8:9], 3, v[4:5]
	s_cbranch_vccnz .LBB36_21
; %bb.20:
	global_load_dwordx2 v[12:13], v[8:9], off
	s_waitcnt vmcnt(0)
	v_fmac_f64_e32 v[2:3], s[20:21], v[12:13]
.LBB36_21:
	global_store_dwordx2 v[8:9], v[2:3], off
.LBB36_22:
	s_or_b64 exec, exec, s[4:5]
	v_cmp_le_i32_e32 vcc, v6, v10
	s_and_b64 s[2:3], s[2:3], vcc
	s_and_saveexec_b64 s[4:5], s[2:3]
	s_cbranch_execz .LBB36_26
; %bb.23:
	v_mul_f64 v[0:1], s[22:23], v[0:1]
	s_and_b64 vcc, exec, s[0:1]
	v_lshl_add_u64 v[2:3], v[6:7], 3, v[4:5]
	s_cbranch_vccnz .LBB36_25
; %bb.24:
	global_load_dwordx2 v[4:5], v[2:3], off
	s_waitcnt vmcnt(0)
	v_fmac_f64_e32 v[0:1], s[20:21], v[4:5]
.LBB36_25:
	global_store_dwordx2 v[2:3], v[0:1], off
.LBB36_26:
	s_endpgm
	.section	.rodata,"a",@progbits
	.p2align	6, 0x0
	.amdhsa_kernel _ZL29rocblas_internal_gemmt_kernelIiLi16ELi32ELi8ELc78ELc78ELc85ELb0ELb0EdPKdS1_PdEviT_T9_T10_S3_lS5_S3_lS4_T11_S3_li
		.amdhsa_group_segment_fixed_size 4096
		.amdhsa_private_segment_fixed_size 0
		.amdhsa_kernarg_size 100
		.amdhsa_user_sgpr_count 2
		.amdhsa_user_sgpr_dispatch_ptr 0
		.amdhsa_user_sgpr_queue_ptr 0
		.amdhsa_user_sgpr_kernarg_segment_ptr 1
		.amdhsa_user_sgpr_dispatch_id 0
		.amdhsa_user_sgpr_kernarg_preload_length 0
		.amdhsa_user_sgpr_kernarg_preload_offset 0
		.amdhsa_user_sgpr_private_segment_size 0
		.amdhsa_uses_dynamic_stack 0
		.amdhsa_enable_private_segment 0
		.amdhsa_system_sgpr_workgroup_id_x 1
		.amdhsa_system_sgpr_workgroup_id_y 1
		.amdhsa_system_sgpr_workgroup_id_z 1
		.amdhsa_system_sgpr_workgroup_info 0
		.amdhsa_system_vgpr_workitem_id 1
		.amdhsa_next_free_vgpr 52
		.amdhsa_next_free_sgpr 29
		.amdhsa_accum_offset 52
		.amdhsa_reserve_vcc 1
		.amdhsa_float_round_mode_32 0
		.amdhsa_float_round_mode_16_64 0
		.amdhsa_float_denorm_mode_32 3
		.amdhsa_float_denorm_mode_16_64 3
		.amdhsa_dx10_clamp 1
		.amdhsa_ieee_mode 1
		.amdhsa_fp16_overflow 0
		.amdhsa_tg_split 0
		.amdhsa_exception_fp_ieee_invalid_op 0
		.amdhsa_exception_fp_denorm_src 0
		.amdhsa_exception_fp_ieee_div_zero 0
		.amdhsa_exception_fp_ieee_overflow 0
		.amdhsa_exception_fp_ieee_underflow 0
		.amdhsa_exception_fp_ieee_inexact 0
		.amdhsa_exception_int_div_zero 0
	.end_amdhsa_kernel
	.section	.text._ZL29rocblas_internal_gemmt_kernelIiLi16ELi32ELi8ELc78ELc78ELc85ELb0ELb0EdPKdS1_PdEviT_T9_T10_S3_lS5_S3_lS4_T11_S3_li,"axG",@progbits,_ZL29rocblas_internal_gemmt_kernelIiLi16ELi32ELi8ELc78ELc78ELc85ELb0ELb0EdPKdS1_PdEviT_T9_T10_S3_lS5_S3_lS4_T11_S3_li,comdat
.Lfunc_end36:
	.size	_ZL29rocblas_internal_gemmt_kernelIiLi16ELi32ELi8ELc78ELc78ELc85ELb0ELb0EdPKdS1_PdEviT_T9_T10_S3_lS5_S3_lS4_T11_S3_li, .Lfunc_end36-_ZL29rocblas_internal_gemmt_kernelIiLi16ELi32ELi8ELc78ELc78ELc85ELb0ELb0EdPKdS1_PdEviT_T9_T10_S3_lS5_S3_lS4_T11_S3_li
                                        ; -- End function
	.set _ZL29rocblas_internal_gemmt_kernelIiLi16ELi32ELi8ELc78ELc78ELc85ELb0ELb0EdPKdS1_PdEviT_T9_T10_S3_lS5_S3_lS4_T11_S3_li.num_vgpr, 52
	.set _ZL29rocblas_internal_gemmt_kernelIiLi16ELi32ELi8ELc78ELc78ELc85ELb0ELb0EdPKdS1_PdEviT_T9_T10_S3_lS5_S3_lS4_T11_S3_li.num_agpr, 0
	.set _ZL29rocblas_internal_gemmt_kernelIiLi16ELi32ELi8ELc78ELc78ELc85ELb0ELb0EdPKdS1_PdEviT_T9_T10_S3_lS5_S3_lS4_T11_S3_li.numbered_sgpr, 29
	.set _ZL29rocblas_internal_gemmt_kernelIiLi16ELi32ELi8ELc78ELc78ELc85ELb0ELb0EdPKdS1_PdEviT_T9_T10_S3_lS5_S3_lS4_T11_S3_li.num_named_barrier, 0
	.set _ZL29rocblas_internal_gemmt_kernelIiLi16ELi32ELi8ELc78ELc78ELc85ELb0ELb0EdPKdS1_PdEviT_T9_T10_S3_lS5_S3_lS4_T11_S3_li.private_seg_size, 0
	.set _ZL29rocblas_internal_gemmt_kernelIiLi16ELi32ELi8ELc78ELc78ELc85ELb0ELb0EdPKdS1_PdEviT_T9_T10_S3_lS5_S3_lS4_T11_S3_li.uses_vcc, 1
	.set _ZL29rocblas_internal_gemmt_kernelIiLi16ELi32ELi8ELc78ELc78ELc85ELb0ELb0EdPKdS1_PdEviT_T9_T10_S3_lS5_S3_lS4_T11_S3_li.uses_flat_scratch, 0
	.set _ZL29rocblas_internal_gemmt_kernelIiLi16ELi32ELi8ELc78ELc78ELc85ELb0ELb0EdPKdS1_PdEviT_T9_T10_S3_lS5_S3_lS4_T11_S3_li.has_dyn_sized_stack, 0
	.set _ZL29rocblas_internal_gemmt_kernelIiLi16ELi32ELi8ELc78ELc78ELc85ELb0ELb0EdPKdS1_PdEviT_T9_T10_S3_lS5_S3_lS4_T11_S3_li.has_recursion, 0
	.set _ZL29rocblas_internal_gemmt_kernelIiLi16ELi32ELi8ELc78ELc78ELc85ELb0ELb0EdPKdS1_PdEviT_T9_T10_S3_lS5_S3_lS4_T11_S3_li.has_indirect_call, 0
	.section	.AMDGPU.csdata,"",@progbits
; Kernel info:
; codeLenInByte = 1300
; TotalNumSgprs: 35
; NumVgprs: 52
; NumAgprs: 0
; TotalNumVgprs: 52
; ScratchSize: 0
; MemoryBound: 0
; FloatMode: 240
; IeeeMode: 1
; LDSByteSize: 4096 bytes/workgroup (compile time only)
; SGPRBlocks: 4
; VGPRBlocks: 6
; NumSGPRsForWavesPerEU: 35
; NumVGPRsForWavesPerEU: 52
; AccumOffset: 52
; Occupancy: 8
; WaveLimiterHint : 0
; COMPUTE_PGM_RSRC2:SCRATCH_EN: 0
; COMPUTE_PGM_RSRC2:USER_SGPR: 2
; COMPUTE_PGM_RSRC2:TRAP_HANDLER: 0
; COMPUTE_PGM_RSRC2:TGID_X_EN: 1
; COMPUTE_PGM_RSRC2:TGID_Y_EN: 1
; COMPUTE_PGM_RSRC2:TGID_Z_EN: 1
; COMPUTE_PGM_RSRC2:TIDIG_COMP_CNT: 1
; COMPUTE_PGM_RSRC3_GFX90A:ACCUM_OFFSET: 12
; COMPUTE_PGM_RSRC3_GFX90A:TG_SPLIT: 0
	.section	.text._ZL29rocblas_internal_gemmt_kernelIiLi16ELi32ELi8ELc78ELc84ELc85ELb0ELb0EdPKdS1_PdEviT_T9_T10_S3_lS5_S3_lS4_T11_S3_li,"axG",@progbits,_ZL29rocblas_internal_gemmt_kernelIiLi16ELi32ELi8ELc78ELc84ELc85ELb0ELb0EdPKdS1_PdEviT_T9_T10_S3_lS5_S3_lS4_T11_S3_li,comdat
	.globl	_ZL29rocblas_internal_gemmt_kernelIiLi16ELi32ELi8ELc78ELc84ELc85ELb0ELb0EdPKdS1_PdEviT_T9_T10_S3_lS5_S3_lS4_T11_S3_li ; -- Begin function _ZL29rocblas_internal_gemmt_kernelIiLi16ELi32ELi8ELc78ELc84ELc85ELb0ELb0EdPKdS1_PdEviT_T9_T10_S3_lS5_S3_lS4_T11_S3_li
	.p2align	8
	.type	_ZL29rocblas_internal_gemmt_kernelIiLi16ELi32ELi8ELc78ELc84ELc85ELb0ELb0EdPKdS1_PdEviT_T9_T10_S3_lS5_S3_lS4_T11_S3_li,@function
_ZL29rocblas_internal_gemmt_kernelIiLi16ELi32ELi8ELc78ELc84ELc85ELb0ELb0EdPKdS1_PdEviT_T9_T10_S3_lS5_S3_lS4_T11_S3_li: ; @_ZL29rocblas_internal_gemmt_kernelIiLi16ELi32ELi8ELc78ELc84ELc85ELb0ELb0EdPKdS1_PdEviT_T9_T10_S3_lS5_S3_lS4_T11_S3_li
; %bb.0:
	s_load_dwordx4 s[8:11], s[0:1], 0x38
	s_load_dwordx4 s[12:15], s[0:1], 0x8
	s_waitcnt lgkmcnt(0)
	s_load_dwordx2 s[20:21], s[10:11], 0x0
	s_load_dwordx2 s[24:25], s[0:1], 0x0
	;; [unrolled: 1-line block ×3, first 2 shown]
	s_waitcnt lgkmcnt(0)
	v_cmp_neq_f64_e64 s[6:7], s[20:21], 1.0
	s_and_b64 vcc, exec, s[6:7]
	s_cbranch_vccnz .LBB37_2
; %bb.1:
	s_cmp_lg_u32 s25, 0
	s_cselect_b64 s[6:7], -1, 0
	v_cmp_neq_f64_e64 s[10:11], s[22:23], 0
	s_and_b64 s[6:7], s[6:7], s[10:11]
.LBB37_2:
	s_andn2_b64 vcc, exec, s[6:7]
	s_cbranch_vccnz .LBB37_26
; %bb.3:
	s_load_dwordx2 s[10:11], s[0:1], 0x48
	s_lshl_b32 s5, s2, 5
	s_lshl_b32 s26, s3, 5
	s_cmp_lt_i32 s25, 1
	v_cmp_eq_f64_e64 s[2:3], s[22:23], 0
	s_cselect_b64 s[6:7], -1, 0
	s_or_b64 s[2:3], s[2:3], s[6:7]
	v_and_b32_e32 v13, 0x3ff, v0
	v_bfe_u32 v12, v0, 10, 10
	s_mov_b32 s27, 0
	v_mov_b64_e32 v[6:7], 0
	s_and_b64 vcc, exec, s[2:3]
	v_mov_b64_e32 v[4:5], 0
	v_mov_b64_e32 v[2:3], 0
	;; [unrolled: 1-line block ×3, first 2 shown]
	s_cbranch_vccnz .LBB37_10
; %bb.4:
	v_lshl_add_u32 v1, v12, 4, v13
	v_and_b32_e32 v4, 31, v1
	v_lshrrev_b32_e32 v15, 5, v1
	v_lshrrev_b32_e32 v2, 3, v1
	v_or_b32_e32 v1, s5, v4
	s_load_dword s6, s[0:1], 0x18
	s_load_dwordx4 s[16:19], s[0:1], 0x20
	s_load_dword s28, s[0:1], 0x30
	v_and_b32_e32 v14, 7, v13
	v_cmp_gt_i32_e32 vcc, s24, v1
	v_lshlrev_b32_e32 v1, 3, v4
	v_lshl_or_b32 v16, v15, 8, v1
	v_lshlrev_b32_e32 v1, 3, v14
	v_add_u32_e32 v0, s26, v2
	v_lshl_or_b32 v1, v2, 6, v1
	v_mov_b32_e32 v2, 0x800
	v_lshl_add_u32 v19, v12, 6, v2
	s_waitcnt lgkmcnt(0)
	v_mad_i64_i32 v[2:3], s[12:13], v15, s6, 0
	s_mul_i32 s12, s17, s4
	s_mul_hi_u32 s13, s16, s4
	s_add_i32 s13, s13, s12
	s_mul_i32 s12, s16, s4
	s_lshl_b64 s[12:13], s[12:13], 3
	v_add_u32_e32 v4, s5, v4
	s_ashr_i32 s7, s6, 31
	v_lshl_add_u64 v[2:3], v[2:3], 3, s[12:13]
	v_ashrrev_i32_e32 v5, 31, v4
	v_lshl_add_u64 v[2:3], v[4:5], 3, v[2:3]
	s_lshl_b64 s[12:13], s[6:7], 6
	s_mul_i32 s6, s9, s4
	s_mul_hi_u32 s7, s8, s4
	v_lshl_add_u64 v[8:9], s[14:15], 0, v[2:3]
	s_add_i32 s7, s7, s6
	s_mul_i32 s6, s8, s4
	v_mad_i64_i32 v[2:3], s[8:9], s28, v14, 0
	v_lshlrev_b64 v[2:3], 3, v[2:3]
	v_add_u32_e32 v17, 0x800, v1
	v_ashrrev_i32_e32 v1, 31, v0
	v_lshl_add_u64 v[2:3], s[6:7], 3, v[2:3]
	s_ashr_i32 s29, s28, 31
	v_cmp_gt_i32_e64 s[2:3], s24, v0
	v_lshl_add_u64 v[0:1], v[0:1], 3, v[2:3]
	v_lshlrev_b32_e32 v18, 3, v13
	v_lshl_add_u64 v[10:11], s[18:19], 0, v[0:1]
	s_lshl_b64 s[8:9], s[28:29], 6
	v_mov_b64_e32 v[0:1], 0
	v_mov_b64_e32 v[2:3], 0
	;; [unrolled: 1-line block ×4, first 2 shown]
	s_branch .LBB37_6
.LBB37_5:                               ;   in Loop: Header=BB37_6 Depth=1
	s_or_b64 exec, exec, s[6:7]
	s_waitcnt vmcnt(0)
	ds_write_b64 v17, v[20:21]
	s_waitcnt lgkmcnt(0)
	s_barrier
	ds_read2_b64 v[20:23], v18 offset1:16
	ds_read_b128 v[24:27], v19
	ds_read_b128 v[28:31], v19 offset:16
	ds_read_b128 v[32:35], v19 offset:32
	;; [unrolled: 1-line block ×4, first 2 shown]
	ds_read2_b64 v[44:47], v18 offset0:32 offset1:48
	s_waitcnt lgkmcnt(5)
	v_fmac_f64_e32 v[6:7], v[20:21], v[24:25]
	v_fmac_f64_e32 v[4:5], v[22:23], v[24:25]
	ds_read_b128 v[48:51], v19 offset:1040
	s_waitcnt lgkmcnt(2)
	v_fmac_f64_e32 v[2:3], v[20:21], v[40:41]
	v_fmac_f64_e32 v[0:1], v[22:23], v[40:41]
	ds_read2_b64 v[20:23], v18 offset0:64 offset1:80
	s_waitcnt lgkmcnt(2)
	v_fmac_f64_e32 v[6:7], v[44:45], v[26:27]
	v_fmac_f64_e32 v[4:5], v[46:47], v[26:27]
	ds_read2_b64 v[24:27], v18 offset0:96 offset1:112
	v_fmac_f64_e32 v[2:3], v[44:45], v[42:43]
	v_fmac_f64_e32 v[0:1], v[46:47], v[42:43]
	s_waitcnt lgkmcnt(1)
	v_fmac_f64_e32 v[6:7], v[20:21], v[28:29]
	v_fmac_f64_e32 v[4:5], v[22:23], v[28:29]
	ds_read_b128 v[40:43], v19 offset:1072
	v_fmac_f64_e32 v[2:3], v[20:21], v[48:49]
	v_fmac_f64_e32 v[0:1], v[22:23], v[48:49]
	s_waitcnt lgkmcnt(1)
	v_fmac_f64_e32 v[6:7], v[24:25], v[30:31]
	ds_read2_b64 v[20:23], v18 offset0:128 offset1:144
	v_fmac_f64_e32 v[4:5], v[26:27], v[30:31]
	v_fmac_f64_e32 v[2:3], v[24:25], v[50:51]
	;; [unrolled: 1-line block ×3, first 2 shown]
	ds_read_b128 v[24:27], v19 offset:1056
	ds_read2_b64 v[28:31], v18 offset0:160 offset1:176
	s_waitcnt lgkmcnt(2)
	v_fmac_f64_e32 v[6:7], v[20:21], v[32:33]
	v_fmac_f64_e32 v[4:5], v[22:23], v[32:33]
	s_add_i32 s27, s27, 8
	s_waitcnt lgkmcnt(1)
	v_fmac_f64_e32 v[2:3], v[20:21], v[24:25]
	v_fmac_f64_e32 v[0:1], v[22:23], v[24:25]
	ds_read2_b64 v[20:23], v18 offset0:192 offset1:208
	s_waitcnt lgkmcnt(1)
	v_fmac_f64_e32 v[2:3], v[28:29], v[26:27]
	v_fmac_f64_e32 v[0:1], v[30:31], v[26:27]
	ds_read2_b64 v[24:27], v18 offset0:224 offset1:240
	v_fmac_f64_e32 v[6:7], v[28:29], v[34:35]
	v_fmac_f64_e32 v[4:5], v[30:31], v[34:35]
	s_waitcnt lgkmcnt(1)
	v_fmac_f64_e32 v[6:7], v[20:21], v[36:37]
	v_fmac_f64_e32 v[4:5], v[22:23], v[36:37]
	;; [unrolled: 1-line block ×4, first 2 shown]
	s_waitcnt lgkmcnt(0)
	v_fmac_f64_e32 v[6:7], v[24:25], v[38:39]
	v_fmac_f64_e32 v[4:5], v[26:27], v[38:39]
	;; [unrolled: 1-line block ×4, first 2 shown]
	v_lshl_add_u64 v[8:9], v[8:9], 0, s[12:13]
	s_cmp_lt_i32 s27, s25
	v_lshl_add_u64 v[10:11], v[10:11], 0, s[8:9]
	s_barrier
	s_cbranch_scc0 .LBB37_10
.LBB37_6:                               ; =>This Inner Loop Header: Depth=1
	v_add_u32_e32 v20, s27, v15
	v_cmp_gt_i32_e64 s[6:7], s25, v20
	s_and_b64 s[14:15], vcc, s[6:7]
	v_mov_b64_e32 v[20:21], 0
	s_and_saveexec_b64 s[6:7], s[14:15]
	s_cbranch_execz .LBB37_8
; %bb.7:                                ;   in Loop: Header=BB37_6 Depth=1
	global_load_dwordx2 v[20:21], v[8:9], off
.LBB37_8:                               ;   in Loop: Header=BB37_6 Depth=1
	s_or_b64 exec, exec, s[6:7]
	s_waitcnt vmcnt(0)
	ds_write_b64 v16, v[20:21]
	v_add_u32_e32 v20, s27, v14
	v_cmp_gt_i32_e64 s[6:7], s25, v20
	s_and_b64 s[14:15], s[6:7], s[2:3]
	v_mov_b64_e32 v[20:21], 0
	s_and_saveexec_b64 s[6:7], s[14:15]
	s_cbranch_execz .LBB37_5
; %bb.9:                                ;   in Loop: Header=BB37_6 Depth=1
	global_load_dwordx2 v[20:21], v[10:11], off
	s_branch .LBB37_5
.LBB37_10:
	s_load_dwordx2 s[2:3], s[0:1], 0x58
	s_load_dword s8, s[0:1], 0x50
	v_add_u32_e32 v14, s26, v12
	v_add_u32_e32 v8, s5, v13
	v_cmp_le_i32_e32 vcc, v8, v14
	s_waitcnt lgkmcnt(0)
	s_mul_i32 s1, s3, s4
	s_mul_hi_u32 s3, s2, s4
	s_mul_i32 s0, s2, s4
	s_add_i32 s1, s3, s1
	s_lshl_b64 s[0:1], s[0:1], 3
	s_add_u32 s4, s10, s0
	s_addc_u32 s5, s11, s1
	v_mad_i64_i32 v[10:11], s[0:1], v14, s8, 0
	v_cmp_neq_f64_e64 s[0:1], s[20:21], 0
	v_cmp_gt_i32_e64 s[2:3], s24, v14
	v_lshl_add_u64 v[10:11], v[10:11], 3, s[4:5]
	v_cndmask_b32_e64 v12, 0, 1, s[0:1]
	s_and_b64 s[10:11], s[2:3], vcc
	v_ashrrev_i32_e32 v9, 31, v8
	v_cmp_ne_u32_e64 s[0:1], 1, v12
	s_and_saveexec_b64 s[6:7], s[10:11]
	s_cbranch_execz .LBB37_14
; %bb.11:
	v_mul_f64 v[6:7], s[22:23], v[6:7]
	s_and_b64 vcc, exec, s[0:1]
	v_lshl_add_u64 v[12:13], v[8:9], 3, v[10:11]
	s_cbranch_vccnz .LBB37_13
; %bb.12:
	global_load_dwordx2 v[16:17], v[12:13], off
	s_waitcnt vmcnt(0)
	v_fmac_f64_e32 v[6:7], s[20:21], v[16:17]
.LBB37_13:
	global_store_dwordx2 v[12:13], v[6:7], off
.LBB37_14:
	s_or_b64 exec, exec, s[6:7]
	v_add_u32_e32 v6, 16, v8
	v_cmp_le_i32_e32 vcc, v6, v14
	s_and_b64 s[6:7], s[2:3], vcc
	v_ashrrev_i32_e32 v7, 31, v6
	s_and_saveexec_b64 s[2:3], s[6:7]
	s_cbranch_execz .LBB37_18
; %bb.15:
	v_mul_f64 v[4:5], s[22:23], v[4:5]
	s_and_b64 vcc, exec, s[0:1]
	v_lshl_add_u64 v[10:11], v[6:7], 3, v[10:11]
	s_cbranch_vccnz .LBB37_17
; %bb.16:
	global_load_dwordx2 v[12:13], v[10:11], off
	s_waitcnt vmcnt(0)
	v_fmac_f64_e32 v[4:5], s[20:21], v[12:13]
.LBB37_17:
	global_store_dwordx2 v[10:11], v[4:5], off
.LBB37_18:
	s_or_b64 exec, exec, s[2:3]
	v_add_u32_e32 v10, 16, v14
	v_cmp_gt_i32_e64 s[2:3], s24, v10
	v_mad_i64_i32 v[4:5], s[6:7], v10, s8, 0
	v_cmp_le_i32_e32 vcc, v8, v10
	v_lshl_add_u64 v[4:5], v[4:5], 3, s[4:5]
	s_and_b64 s[6:7], s[2:3], vcc
	s_and_saveexec_b64 s[4:5], s[6:7]
	s_cbranch_execz .LBB37_22
; %bb.19:
	v_mul_f64 v[2:3], s[22:23], v[2:3]
	s_and_b64 vcc, exec, s[0:1]
	v_lshl_add_u64 v[8:9], v[8:9], 3, v[4:5]
	s_cbranch_vccnz .LBB37_21
; %bb.20:
	global_load_dwordx2 v[12:13], v[8:9], off
	s_waitcnt vmcnt(0)
	v_fmac_f64_e32 v[2:3], s[20:21], v[12:13]
.LBB37_21:
	global_store_dwordx2 v[8:9], v[2:3], off
.LBB37_22:
	s_or_b64 exec, exec, s[4:5]
	v_cmp_le_i32_e32 vcc, v6, v10
	s_and_b64 s[2:3], s[2:3], vcc
	s_and_saveexec_b64 s[4:5], s[2:3]
	s_cbranch_execz .LBB37_26
; %bb.23:
	v_mul_f64 v[0:1], s[22:23], v[0:1]
	s_and_b64 vcc, exec, s[0:1]
	v_lshl_add_u64 v[2:3], v[6:7], 3, v[4:5]
	s_cbranch_vccnz .LBB37_25
; %bb.24:
	global_load_dwordx2 v[4:5], v[2:3], off
	s_waitcnt vmcnt(0)
	v_fmac_f64_e32 v[0:1], s[20:21], v[4:5]
.LBB37_25:
	global_store_dwordx2 v[2:3], v[0:1], off
.LBB37_26:
	s_endpgm
	.section	.rodata,"a",@progbits
	.p2align	6, 0x0
	.amdhsa_kernel _ZL29rocblas_internal_gemmt_kernelIiLi16ELi32ELi8ELc78ELc84ELc85ELb0ELb0EdPKdS1_PdEviT_T9_T10_S3_lS5_S3_lS4_T11_S3_li
		.amdhsa_group_segment_fixed_size 4096
		.amdhsa_private_segment_fixed_size 0
		.amdhsa_kernarg_size 100
		.amdhsa_user_sgpr_count 2
		.amdhsa_user_sgpr_dispatch_ptr 0
		.amdhsa_user_sgpr_queue_ptr 0
		.amdhsa_user_sgpr_kernarg_segment_ptr 1
		.amdhsa_user_sgpr_dispatch_id 0
		.amdhsa_user_sgpr_kernarg_preload_length 0
		.amdhsa_user_sgpr_kernarg_preload_offset 0
		.amdhsa_user_sgpr_private_segment_size 0
		.amdhsa_uses_dynamic_stack 0
		.amdhsa_enable_private_segment 0
		.amdhsa_system_sgpr_workgroup_id_x 1
		.amdhsa_system_sgpr_workgroup_id_y 1
		.amdhsa_system_sgpr_workgroup_id_z 1
		.amdhsa_system_sgpr_workgroup_info 0
		.amdhsa_system_vgpr_workitem_id 1
		.amdhsa_next_free_vgpr 52
		.amdhsa_next_free_sgpr 30
		.amdhsa_accum_offset 52
		.amdhsa_reserve_vcc 1
		.amdhsa_float_round_mode_32 0
		.amdhsa_float_round_mode_16_64 0
		.amdhsa_float_denorm_mode_32 3
		.amdhsa_float_denorm_mode_16_64 3
		.amdhsa_dx10_clamp 1
		.amdhsa_ieee_mode 1
		.amdhsa_fp16_overflow 0
		.amdhsa_tg_split 0
		.amdhsa_exception_fp_ieee_invalid_op 0
		.amdhsa_exception_fp_denorm_src 0
		.amdhsa_exception_fp_ieee_div_zero 0
		.amdhsa_exception_fp_ieee_overflow 0
		.amdhsa_exception_fp_ieee_underflow 0
		.amdhsa_exception_fp_ieee_inexact 0
		.amdhsa_exception_int_div_zero 0
	.end_amdhsa_kernel
	.section	.text._ZL29rocblas_internal_gemmt_kernelIiLi16ELi32ELi8ELc78ELc84ELc85ELb0ELb0EdPKdS1_PdEviT_T9_T10_S3_lS5_S3_lS4_T11_S3_li,"axG",@progbits,_ZL29rocblas_internal_gemmt_kernelIiLi16ELi32ELi8ELc78ELc84ELc85ELb0ELb0EdPKdS1_PdEviT_T9_T10_S3_lS5_S3_lS4_T11_S3_li,comdat
.Lfunc_end37:
	.size	_ZL29rocblas_internal_gemmt_kernelIiLi16ELi32ELi8ELc78ELc84ELc85ELb0ELb0EdPKdS1_PdEviT_T9_T10_S3_lS5_S3_lS4_T11_S3_li, .Lfunc_end37-_ZL29rocblas_internal_gemmt_kernelIiLi16ELi32ELi8ELc78ELc84ELc85ELb0ELb0EdPKdS1_PdEviT_T9_T10_S3_lS5_S3_lS4_T11_S3_li
                                        ; -- End function
	.set _ZL29rocblas_internal_gemmt_kernelIiLi16ELi32ELi8ELc78ELc84ELc85ELb0ELb0EdPKdS1_PdEviT_T9_T10_S3_lS5_S3_lS4_T11_S3_li.num_vgpr, 52
	.set _ZL29rocblas_internal_gemmt_kernelIiLi16ELi32ELi8ELc78ELc84ELc85ELb0ELb0EdPKdS1_PdEviT_T9_T10_S3_lS5_S3_lS4_T11_S3_li.num_agpr, 0
	.set _ZL29rocblas_internal_gemmt_kernelIiLi16ELi32ELi8ELc78ELc84ELc85ELb0ELb0EdPKdS1_PdEviT_T9_T10_S3_lS5_S3_lS4_T11_S3_li.numbered_sgpr, 30
	.set _ZL29rocblas_internal_gemmt_kernelIiLi16ELi32ELi8ELc78ELc84ELc85ELb0ELb0EdPKdS1_PdEviT_T9_T10_S3_lS5_S3_lS4_T11_S3_li.num_named_barrier, 0
	.set _ZL29rocblas_internal_gemmt_kernelIiLi16ELi32ELi8ELc78ELc84ELc85ELb0ELb0EdPKdS1_PdEviT_T9_T10_S3_lS5_S3_lS4_T11_S3_li.private_seg_size, 0
	.set _ZL29rocblas_internal_gemmt_kernelIiLi16ELi32ELi8ELc78ELc84ELc85ELb0ELb0EdPKdS1_PdEviT_T9_T10_S3_lS5_S3_lS4_T11_S3_li.uses_vcc, 1
	.set _ZL29rocblas_internal_gemmt_kernelIiLi16ELi32ELi8ELc78ELc84ELc85ELb0ELb0EdPKdS1_PdEviT_T9_T10_S3_lS5_S3_lS4_T11_S3_li.uses_flat_scratch, 0
	.set _ZL29rocblas_internal_gemmt_kernelIiLi16ELi32ELi8ELc78ELc84ELc85ELb0ELb0EdPKdS1_PdEviT_T9_T10_S3_lS5_S3_lS4_T11_S3_li.has_dyn_sized_stack, 0
	.set _ZL29rocblas_internal_gemmt_kernelIiLi16ELi32ELi8ELc78ELc84ELc85ELb0ELb0EdPKdS1_PdEviT_T9_T10_S3_lS5_S3_lS4_T11_S3_li.has_recursion, 0
	.set _ZL29rocblas_internal_gemmt_kernelIiLi16ELi32ELi8ELc78ELc84ELc85ELb0ELb0EdPKdS1_PdEviT_T9_T10_S3_lS5_S3_lS4_T11_S3_li.has_indirect_call, 0
	.section	.AMDGPU.csdata,"",@progbits
; Kernel info:
; codeLenInByte = 1312
; TotalNumSgprs: 36
; NumVgprs: 52
; NumAgprs: 0
; TotalNumVgprs: 52
; ScratchSize: 0
; MemoryBound: 0
; FloatMode: 240
; IeeeMode: 1
; LDSByteSize: 4096 bytes/workgroup (compile time only)
; SGPRBlocks: 4
; VGPRBlocks: 6
; NumSGPRsForWavesPerEU: 36
; NumVGPRsForWavesPerEU: 52
; AccumOffset: 52
; Occupancy: 8
; WaveLimiterHint : 0
; COMPUTE_PGM_RSRC2:SCRATCH_EN: 0
; COMPUTE_PGM_RSRC2:USER_SGPR: 2
; COMPUTE_PGM_RSRC2:TRAP_HANDLER: 0
; COMPUTE_PGM_RSRC2:TGID_X_EN: 1
; COMPUTE_PGM_RSRC2:TGID_Y_EN: 1
; COMPUTE_PGM_RSRC2:TGID_Z_EN: 1
; COMPUTE_PGM_RSRC2:TIDIG_COMP_CNT: 1
; COMPUTE_PGM_RSRC3_GFX90A:ACCUM_OFFSET: 12
; COMPUTE_PGM_RSRC3_GFX90A:TG_SPLIT: 0
	.section	.text._ZL29rocblas_internal_gemmt_kernelIiLi16ELi32ELi8ELc78ELc67ELc85ELb0ELb0EdPKdS1_PdEviT_T9_T10_S3_lS5_S3_lS4_T11_S3_li,"axG",@progbits,_ZL29rocblas_internal_gemmt_kernelIiLi16ELi32ELi8ELc78ELc67ELc85ELb0ELb0EdPKdS1_PdEviT_T9_T10_S3_lS5_S3_lS4_T11_S3_li,comdat
	.globl	_ZL29rocblas_internal_gemmt_kernelIiLi16ELi32ELi8ELc78ELc67ELc85ELb0ELb0EdPKdS1_PdEviT_T9_T10_S3_lS5_S3_lS4_T11_S3_li ; -- Begin function _ZL29rocblas_internal_gemmt_kernelIiLi16ELi32ELi8ELc78ELc67ELc85ELb0ELb0EdPKdS1_PdEviT_T9_T10_S3_lS5_S3_lS4_T11_S3_li
	.p2align	8
	.type	_ZL29rocblas_internal_gemmt_kernelIiLi16ELi32ELi8ELc78ELc67ELc85ELb0ELb0EdPKdS1_PdEviT_T9_T10_S3_lS5_S3_lS4_T11_S3_li,@function
_ZL29rocblas_internal_gemmt_kernelIiLi16ELi32ELi8ELc78ELc67ELc85ELb0ELb0EdPKdS1_PdEviT_T9_T10_S3_lS5_S3_lS4_T11_S3_li: ; @_ZL29rocblas_internal_gemmt_kernelIiLi16ELi32ELi8ELc78ELc67ELc85ELb0ELb0EdPKdS1_PdEviT_T9_T10_S3_lS5_S3_lS4_T11_S3_li
; %bb.0:
	s_load_dwordx4 s[8:11], s[0:1], 0x38
	s_load_dwordx4 s[12:15], s[0:1], 0x8
	s_waitcnt lgkmcnt(0)
	s_load_dwordx2 s[20:21], s[10:11], 0x0
	s_load_dwordx2 s[24:25], s[0:1], 0x0
	;; [unrolled: 1-line block ×3, first 2 shown]
	s_waitcnt lgkmcnt(0)
	v_cmp_neq_f64_e64 s[6:7], s[20:21], 1.0
	s_and_b64 vcc, exec, s[6:7]
	s_cbranch_vccnz .LBB38_2
; %bb.1:
	s_cmp_lg_u32 s25, 0
	s_cselect_b64 s[6:7], -1, 0
	v_cmp_neq_f64_e64 s[10:11], s[22:23], 0
	s_and_b64 s[6:7], s[6:7], s[10:11]
.LBB38_2:
	s_andn2_b64 vcc, exec, s[6:7]
	s_cbranch_vccnz .LBB38_26
; %bb.3:
	s_load_dwordx2 s[10:11], s[0:1], 0x48
	s_lshl_b32 s5, s2, 5
	s_lshl_b32 s26, s3, 5
	s_cmp_lt_i32 s25, 1
	v_cmp_eq_f64_e64 s[2:3], s[22:23], 0
	s_cselect_b64 s[6:7], -1, 0
	s_or_b64 s[2:3], s[2:3], s[6:7]
	v_and_b32_e32 v13, 0x3ff, v0
	v_bfe_u32 v12, v0, 10, 10
	s_mov_b32 s27, 0
	v_mov_b64_e32 v[6:7], 0
	s_and_b64 vcc, exec, s[2:3]
	v_mov_b64_e32 v[4:5], 0
	v_mov_b64_e32 v[2:3], 0
	;; [unrolled: 1-line block ×3, first 2 shown]
	s_cbranch_vccnz .LBB38_10
; %bb.4:
	v_lshl_add_u32 v1, v12, 4, v13
	v_and_b32_e32 v4, 31, v1
	v_lshrrev_b32_e32 v15, 5, v1
	v_lshrrev_b32_e32 v2, 3, v1
	v_or_b32_e32 v1, s5, v4
	s_load_dword s6, s[0:1], 0x18
	s_load_dwordx4 s[16:19], s[0:1], 0x20
	s_load_dword s28, s[0:1], 0x30
	v_and_b32_e32 v14, 7, v13
	v_cmp_gt_i32_e32 vcc, s24, v1
	v_lshlrev_b32_e32 v1, 3, v4
	v_lshl_or_b32 v16, v15, 8, v1
	v_lshlrev_b32_e32 v1, 3, v14
	v_add_u32_e32 v0, s26, v2
	v_lshl_or_b32 v1, v2, 6, v1
	v_mov_b32_e32 v2, 0x800
	v_lshl_add_u32 v19, v12, 6, v2
	s_waitcnt lgkmcnt(0)
	v_mad_i64_i32 v[2:3], s[12:13], v15, s6, 0
	s_mul_i32 s12, s17, s4
	s_mul_hi_u32 s13, s16, s4
	s_add_i32 s13, s13, s12
	s_mul_i32 s12, s16, s4
	s_lshl_b64 s[12:13], s[12:13], 3
	v_add_u32_e32 v4, s5, v4
	s_ashr_i32 s7, s6, 31
	v_lshl_add_u64 v[2:3], v[2:3], 3, s[12:13]
	v_ashrrev_i32_e32 v5, 31, v4
	v_lshl_add_u64 v[2:3], v[4:5], 3, v[2:3]
	s_lshl_b64 s[12:13], s[6:7], 6
	s_mul_i32 s6, s9, s4
	s_mul_hi_u32 s7, s8, s4
	v_lshl_add_u64 v[8:9], s[14:15], 0, v[2:3]
	s_add_i32 s7, s7, s6
	s_mul_i32 s6, s8, s4
	v_mad_i64_i32 v[2:3], s[8:9], s28, v14, 0
	v_lshlrev_b64 v[2:3], 3, v[2:3]
	v_add_u32_e32 v17, 0x800, v1
	v_ashrrev_i32_e32 v1, 31, v0
	v_lshl_add_u64 v[2:3], s[6:7], 3, v[2:3]
	s_ashr_i32 s29, s28, 31
	v_cmp_gt_i32_e64 s[2:3], s24, v0
	v_lshl_add_u64 v[0:1], v[0:1], 3, v[2:3]
	v_lshlrev_b32_e32 v18, 3, v13
	v_lshl_add_u64 v[10:11], s[18:19], 0, v[0:1]
	s_lshl_b64 s[8:9], s[28:29], 6
	v_mov_b64_e32 v[0:1], 0
	v_mov_b64_e32 v[2:3], 0
	;; [unrolled: 1-line block ×4, first 2 shown]
	s_branch .LBB38_6
.LBB38_5:                               ;   in Loop: Header=BB38_6 Depth=1
	s_or_b64 exec, exec, s[6:7]
	s_waitcnt vmcnt(0)
	ds_write_b64 v17, v[20:21]
	s_waitcnt lgkmcnt(0)
	s_barrier
	ds_read2_b64 v[20:23], v18 offset1:16
	ds_read_b128 v[24:27], v19
	ds_read_b128 v[28:31], v19 offset:16
	ds_read_b128 v[32:35], v19 offset:32
	;; [unrolled: 1-line block ×4, first 2 shown]
	ds_read2_b64 v[44:47], v18 offset0:32 offset1:48
	s_waitcnt lgkmcnt(5)
	v_fmac_f64_e32 v[6:7], v[20:21], v[24:25]
	v_fmac_f64_e32 v[4:5], v[22:23], v[24:25]
	ds_read_b128 v[48:51], v19 offset:1040
	s_waitcnt lgkmcnt(2)
	v_fmac_f64_e32 v[2:3], v[20:21], v[40:41]
	v_fmac_f64_e32 v[0:1], v[22:23], v[40:41]
	ds_read2_b64 v[20:23], v18 offset0:64 offset1:80
	s_waitcnt lgkmcnt(2)
	v_fmac_f64_e32 v[6:7], v[44:45], v[26:27]
	v_fmac_f64_e32 v[4:5], v[46:47], v[26:27]
	ds_read2_b64 v[24:27], v18 offset0:96 offset1:112
	v_fmac_f64_e32 v[2:3], v[44:45], v[42:43]
	v_fmac_f64_e32 v[0:1], v[46:47], v[42:43]
	s_waitcnt lgkmcnt(1)
	v_fmac_f64_e32 v[6:7], v[20:21], v[28:29]
	v_fmac_f64_e32 v[4:5], v[22:23], v[28:29]
	ds_read_b128 v[40:43], v19 offset:1072
	v_fmac_f64_e32 v[2:3], v[20:21], v[48:49]
	v_fmac_f64_e32 v[0:1], v[22:23], v[48:49]
	s_waitcnt lgkmcnt(1)
	v_fmac_f64_e32 v[6:7], v[24:25], v[30:31]
	ds_read2_b64 v[20:23], v18 offset0:128 offset1:144
	v_fmac_f64_e32 v[4:5], v[26:27], v[30:31]
	v_fmac_f64_e32 v[2:3], v[24:25], v[50:51]
	;; [unrolled: 1-line block ×3, first 2 shown]
	ds_read_b128 v[24:27], v19 offset:1056
	ds_read2_b64 v[28:31], v18 offset0:160 offset1:176
	s_waitcnt lgkmcnt(2)
	v_fmac_f64_e32 v[6:7], v[20:21], v[32:33]
	v_fmac_f64_e32 v[4:5], v[22:23], v[32:33]
	s_add_i32 s27, s27, 8
	s_waitcnt lgkmcnt(1)
	v_fmac_f64_e32 v[2:3], v[20:21], v[24:25]
	v_fmac_f64_e32 v[0:1], v[22:23], v[24:25]
	ds_read2_b64 v[20:23], v18 offset0:192 offset1:208
	s_waitcnt lgkmcnt(1)
	v_fmac_f64_e32 v[2:3], v[28:29], v[26:27]
	v_fmac_f64_e32 v[0:1], v[30:31], v[26:27]
	ds_read2_b64 v[24:27], v18 offset0:224 offset1:240
	v_fmac_f64_e32 v[6:7], v[28:29], v[34:35]
	v_fmac_f64_e32 v[4:5], v[30:31], v[34:35]
	s_waitcnt lgkmcnt(1)
	v_fmac_f64_e32 v[6:7], v[20:21], v[36:37]
	v_fmac_f64_e32 v[4:5], v[22:23], v[36:37]
	;; [unrolled: 1-line block ×4, first 2 shown]
	s_waitcnt lgkmcnt(0)
	v_fmac_f64_e32 v[6:7], v[24:25], v[38:39]
	v_fmac_f64_e32 v[4:5], v[26:27], v[38:39]
	;; [unrolled: 1-line block ×4, first 2 shown]
	v_lshl_add_u64 v[8:9], v[8:9], 0, s[12:13]
	s_cmp_lt_i32 s27, s25
	v_lshl_add_u64 v[10:11], v[10:11], 0, s[8:9]
	s_barrier
	s_cbranch_scc0 .LBB38_10
.LBB38_6:                               ; =>This Inner Loop Header: Depth=1
	v_add_u32_e32 v20, s27, v15
	v_cmp_gt_i32_e64 s[6:7], s25, v20
	s_and_b64 s[14:15], vcc, s[6:7]
	v_mov_b64_e32 v[20:21], 0
	s_and_saveexec_b64 s[6:7], s[14:15]
	s_cbranch_execz .LBB38_8
; %bb.7:                                ;   in Loop: Header=BB38_6 Depth=1
	global_load_dwordx2 v[20:21], v[8:9], off
.LBB38_8:                               ;   in Loop: Header=BB38_6 Depth=1
	s_or_b64 exec, exec, s[6:7]
	s_waitcnt vmcnt(0)
	ds_write_b64 v16, v[20:21]
	v_add_u32_e32 v20, s27, v14
	v_cmp_gt_i32_e64 s[6:7], s25, v20
	s_and_b64 s[14:15], s[6:7], s[2:3]
	v_mov_b64_e32 v[20:21], 0
	s_and_saveexec_b64 s[6:7], s[14:15]
	s_cbranch_execz .LBB38_5
; %bb.9:                                ;   in Loop: Header=BB38_6 Depth=1
	global_load_dwordx2 v[20:21], v[10:11], off
	s_branch .LBB38_5
.LBB38_10:
	s_load_dwordx2 s[2:3], s[0:1], 0x58
	s_load_dword s8, s[0:1], 0x50
	v_add_u32_e32 v14, s26, v12
	v_add_u32_e32 v8, s5, v13
	v_cmp_le_i32_e32 vcc, v8, v14
	s_waitcnt lgkmcnt(0)
	s_mul_i32 s1, s3, s4
	s_mul_hi_u32 s3, s2, s4
	s_mul_i32 s0, s2, s4
	s_add_i32 s1, s3, s1
	s_lshl_b64 s[0:1], s[0:1], 3
	s_add_u32 s4, s10, s0
	s_addc_u32 s5, s11, s1
	v_mad_i64_i32 v[10:11], s[0:1], v14, s8, 0
	v_cmp_neq_f64_e64 s[0:1], s[20:21], 0
	v_cmp_gt_i32_e64 s[2:3], s24, v14
	v_lshl_add_u64 v[10:11], v[10:11], 3, s[4:5]
	v_cndmask_b32_e64 v12, 0, 1, s[0:1]
	s_and_b64 s[10:11], s[2:3], vcc
	v_ashrrev_i32_e32 v9, 31, v8
	v_cmp_ne_u32_e64 s[0:1], 1, v12
	s_and_saveexec_b64 s[6:7], s[10:11]
	s_cbranch_execz .LBB38_14
; %bb.11:
	v_mul_f64 v[6:7], s[22:23], v[6:7]
	s_and_b64 vcc, exec, s[0:1]
	v_lshl_add_u64 v[12:13], v[8:9], 3, v[10:11]
	s_cbranch_vccnz .LBB38_13
; %bb.12:
	global_load_dwordx2 v[16:17], v[12:13], off
	s_waitcnt vmcnt(0)
	v_fmac_f64_e32 v[6:7], s[20:21], v[16:17]
.LBB38_13:
	global_store_dwordx2 v[12:13], v[6:7], off
.LBB38_14:
	s_or_b64 exec, exec, s[6:7]
	v_add_u32_e32 v6, 16, v8
	v_cmp_le_i32_e32 vcc, v6, v14
	s_and_b64 s[6:7], s[2:3], vcc
	v_ashrrev_i32_e32 v7, 31, v6
	s_and_saveexec_b64 s[2:3], s[6:7]
	s_cbranch_execz .LBB38_18
; %bb.15:
	v_mul_f64 v[4:5], s[22:23], v[4:5]
	s_and_b64 vcc, exec, s[0:1]
	v_lshl_add_u64 v[10:11], v[6:7], 3, v[10:11]
	s_cbranch_vccnz .LBB38_17
; %bb.16:
	global_load_dwordx2 v[12:13], v[10:11], off
	s_waitcnt vmcnt(0)
	v_fmac_f64_e32 v[4:5], s[20:21], v[12:13]
.LBB38_17:
	global_store_dwordx2 v[10:11], v[4:5], off
.LBB38_18:
	s_or_b64 exec, exec, s[2:3]
	v_add_u32_e32 v10, 16, v14
	v_cmp_gt_i32_e64 s[2:3], s24, v10
	v_mad_i64_i32 v[4:5], s[6:7], v10, s8, 0
	v_cmp_le_i32_e32 vcc, v8, v10
	v_lshl_add_u64 v[4:5], v[4:5], 3, s[4:5]
	s_and_b64 s[6:7], s[2:3], vcc
	s_and_saveexec_b64 s[4:5], s[6:7]
	s_cbranch_execz .LBB38_22
; %bb.19:
	v_mul_f64 v[2:3], s[22:23], v[2:3]
	s_and_b64 vcc, exec, s[0:1]
	v_lshl_add_u64 v[8:9], v[8:9], 3, v[4:5]
	s_cbranch_vccnz .LBB38_21
; %bb.20:
	global_load_dwordx2 v[12:13], v[8:9], off
	s_waitcnt vmcnt(0)
	v_fmac_f64_e32 v[2:3], s[20:21], v[12:13]
.LBB38_21:
	global_store_dwordx2 v[8:9], v[2:3], off
.LBB38_22:
	s_or_b64 exec, exec, s[4:5]
	v_cmp_le_i32_e32 vcc, v6, v10
	s_and_b64 s[2:3], s[2:3], vcc
	s_and_saveexec_b64 s[4:5], s[2:3]
	s_cbranch_execz .LBB38_26
; %bb.23:
	v_mul_f64 v[0:1], s[22:23], v[0:1]
	s_and_b64 vcc, exec, s[0:1]
	v_lshl_add_u64 v[2:3], v[6:7], 3, v[4:5]
	s_cbranch_vccnz .LBB38_25
; %bb.24:
	global_load_dwordx2 v[4:5], v[2:3], off
	s_waitcnt vmcnt(0)
	v_fmac_f64_e32 v[0:1], s[20:21], v[4:5]
.LBB38_25:
	global_store_dwordx2 v[2:3], v[0:1], off
.LBB38_26:
	s_endpgm
	.section	.rodata,"a",@progbits
	.p2align	6, 0x0
	.amdhsa_kernel _ZL29rocblas_internal_gemmt_kernelIiLi16ELi32ELi8ELc78ELc67ELc85ELb0ELb0EdPKdS1_PdEviT_T9_T10_S3_lS5_S3_lS4_T11_S3_li
		.amdhsa_group_segment_fixed_size 4096
		.amdhsa_private_segment_fixed_size 0
		.amdhsa_kernarg_size 100
		.amdhsa_user_sgpr_count 2
		.amdhsa_user_sgpr_dispatch_ptr 0
		.amdhsa_user_sgpr_queue_ptr 0
		.amdhsa_user_sgpr_kernarg_segment_ptr 1
		.amdhsa_user_sgpr_dispatch_id 0
		.amdhsa_user_sgpr_kernarg_preload_length 0
		.amdhsa_user_sgpr_kernarg_preload_offset 0
		.amdhsa_user_sgpr_private_segment_size 0
		.amdhsa_uses_dynamic_stack 0
		.amdhsa_enable_private_segment 0
		.amdhsa_system_sgpr_workgroup_id_x 1
		.amdhsa_system_sgpr_workgroup_id_y 1
		.amdhsa_system_sgpr_workgroup_id_z 1
		.amdhsa_system_sgpr_workgroup_info 0
		.amdhsa_system_vgpr_workitem_id 1
		.amdhsa_next_free_vgpr 52
		.amdhsa_next_free_sgpr 30
		.amdhsa_accum_offset 52
		.amdhsa_reserve_vcc 1
		.amdhsa_float_round_mode_32 0
		.amdhsa_float_round_mode_16_64 0
		.amdhsa_float_denorm_mode_32 3
		.amdhsa_float_denorm_mode_16_64 3
		.amdhsa_dx10_clamp 1
		.amdhsa_ieee_mode 1
		.amdhsa_fp16_overflow 0
		.amdhsa_tg_split 0
		.amdhsa_exception_fp_ieee_invalid_op 0
		.amdhsa_exception_fp_denorm_src 0
		.amdhsa_exception_fp_ieee_div_zero 0
		.amdhsa_exception_fp_ieee_overflow 0
		.amdhsa_exception_fp_ieee_underflow 0
		.amdhsa_exception_fp_ieee_inexact 0
		.amdhsa_exception_int_div_zero 0
	.end_amdhsa_kernel
	.section	.text._ZL29rocblas_internal_gemmt_kernelIiLi16ELi32ELi8ELc78ELc67ELc85ELb0ELb0EdPKdS1_PdEviT_T9_T10_S3_lS5_S3_lS4_T11_S3_li,"axG",@progbits,_ZL29rocblas_internal_gemmt_kernelIiLi16ELi32ELi8ELc78ELc67ELc85ELb0ELb0EdPKdS1_PdEviT_T9_T10_S3_lS5_S3_lS4_T11_S3_li,comdat
.Lfunc_end38:
	.size	_ZL29rocblas_internal_gemmt_kernelIiLi16ELi32ELi8ELc78ELc67ELc85ELb0ELb0EdPKdS1_PdEviT_T9_T10_S3_lS5_S3_lS4_T11_S3_li, .Lfunc_end38-_ZL29rocblas_internal_gemmt_kernelIiLi16ELi32ELi8ELc78ELc67ELc85ELb0ELb0EdPKdS1_PdEviT_T9_T10_S3_lS5_S3_lS4_T11_S3_li
                                        ; -- End function
	.set _ZL29rocblas_internal_gemmt_kernelIiLi16ELi32ELi8ELc78ELc67ELc85ELb0ELb0EdPKdS1_PdEviT_T9_T10_S3_lS5_S3_lS4_T11_S3_li.num_vgpr, 52
	.set _ZL29rocblas_internal_gemmt_kernelIiLi16ELi32ELi8ELc78ELc67ELc85ELb0ELb0EdPKdS1_PdEviT_T9_T10_S3_lS5_S3_lS4_T11_S3_li.num_agpr, 0
	.set _ZL29rocblas_internal_gemmt_kernelIiLi16ELi32ELi8ELc78ELc67ELc85ELb0ELb0EdPKdS1_PdEviT_T9_T10_S3_lS5_S3_lS4_T11_S3_li.numbered_sgpr, 30
	.set _ZL29rocblas_internal_gemmt_kernelIiLi16ELi32ELi8ELc78ELc67ELc85ELb0ELb0EdPKdS1_PdEviT_T9_T10_S3_lS5_S3_lS4_T11_S3_li.num_named_barrier, 0
	.set _ZL29rocblas_internal_gemmt_kernelIiLi16ELi32ELi8ELc78ELc67ELc85ELb0ELb0EdPKdS1_PdEviT_T9_T10_S3_lS5_S3_lS4_T11_S3_li.private_seg_size, 0
	.set _ZL29rocblas_internal_gemmt_kernelIiLi16ELi32ELi8ELc78ELc67ELc85ELb0ELb0EdPKdS1_PdEviT_T9_T10_S3_lS5_S3_lS4_T11_S3_li.uses_vcc, 1
	.set _ZL29rocblas_internal_gemmt_kernelIiLi16ELi32ELi8ELc78ELc67ELc85ELb0ELb0EdPKdS1_PdEviT_T9_T10_S3_lS5_S3_lS4_T11_S3_li.uses_flat_scratch, 0
	.set _ZL29rocblas_internal_gemmt_kernelIiLi16ELi32ELi8ELc78ELc67ELc85ELb0ELb0EdPKdS1_PdEviT_T9_T10_S3_lS5_S3_lS4_T11_S3_li.has_dyn_sized_stack, 0
	.set _ZL29rocblas_internal_gemmt_kernelIiLi16ELi32ELi8ELc78ELc67ELc85ELb0ELb0EdPKdS1_PdEviT_T9_T10_S3_lS5_S3_lS4_T11_S3_li.has_recursion, 0
	.set _ZL29rocblas_internal_gemmt_kernelIiLi16ELi32ELi8ELc78ELc67ELc85ELb0ELb0EdPKdS1_PdEviT_T9_T10_S3_lS5_S3_lS4_T11_S3_li.has_indirect_call, 0
	.section	.AMDGPU.csdata,"",@progbits
; Kernel info:
; codeLenInByte = 1312
; TotalNumSgprs: 36
; NumVgprs: 52
; NumAgprs: 0
; TotalNumVgprs: 52
; ScratchSize: 0
; MemoryBound: 0
; FloatMode: 240
; IeeeMode: 1
; LDSByteSize: 4096 bytes/workgroup (compile time only)
; SGPRBlocks: 4
; VGPRBlocks: 6
; NumSGPRsForWavesPerEU: 36
; NumVGPRsForWavesPerEU: 52
; AccumOffset: 52
; Occupancy: 8
; WaveLimiterHint : 0
; COMPUTE_PGM_RSRC2:SCRATCH_EN: 0
; COMPUTE_PGM_RSRC2:USER_SGPR: 2
; COMPUTE_PGM_RSRC2:TRAP_HANDLER: 0
; COMPUTE_PGM_RSRC2:TGID_X_EN: 1
; COMPUTE_PGM_RSRC2:TGID_Y_EN: 1
; COMPUTE_PGM_RSRC2:TGID_Z_EN: 1
; COMPUTE_PGM_RSRC2:TIDIG_COMP_CNT: 1
; COMPUTE_PGM_RSRC3_GFX90A:ACCUM_OFFSET: 12
; COMPUTE_PGM_RSRC3_GFX90A:TG_SPLIT: 0
	.section	.text._ZL29rocblas_internal_gemmt_kernelIiLi16ELi32ELi8ELc84ELc78ELc85ELb0ELb0EdPKdS1_PdEviT_T9_T10_S3_lS5_S3_lS4_T11_S3_li,"axG",@progbits,_ZL29rocblas_internal_gemmt_kernelIiLi16ELi32ELi8ELc84ELc78ELc85ELb0ELb0EdPKdS1_PdEviT_T9_T10_S3_lS5_S3_lS4_T11_S3_li,comdat
	.globl	_ZL29rocblas_internal_gemmt_kernelIiLi16ELi32ELi8ELc84ELc78ELc85ELb0ELb0EdPKdS1_PdEviT_T9_T10_S3_lS5_S3_lS4_T11_S3_li ; -- Begin function _ZL29rocblas_internal_gemmt_kernelIiLi16ELi32ELi8ELc84ELc78ELc85ELb0ELb0EdPKdS1_PdEviT_T9_T10_S3_lS5_S3_lS4_T11_S3_li
	.p2align	8
	.type	_ZL29rocblas_internal_gemmt_kernelIiLi16ELi32ELi8ELc84ELc78ELc85ELb0ELb0EdPKdS1_PdEviT_T9_T10_S3_lS5_S3_lS4_T11_S3_li,@function
_ZL29rocblas_internal_gemmt_kernelIiLi16ELi32ELi8ELc84ELc78ELc85ELb0ELb0EdPKdS1_PdEviT_T9_T10_S3_lS5_S3_lS4_T11_S3_li: ; @_ZL29rocblas_internal_gemmt_kernelIiLi16ELi32ELi8ELc84ELc78ELc85ELb0ELb0EdPKdS1_PdEviT_T9_T10_S3_lS5_S3_lS4_T11_S3_li
; %bb.0:
	s_load_dwordx4 s[8:11], s[0:1], 0x38
	s_load_dwordx4 s[12:15], s[0:1], 0x8
	s_waitcnt lgkmcnt(0)
	s_load_dwordx2 s[20:21], s[10:11], 0x0
	s_load_dwordx2 s[24:25], s[0:1], 0x0
	;; [unrolled: 1-line block ×3, first 2 shown]
	s_waitcnt lgkmcnt(0)
	v_cmp_neq_f64_e64 s[6:7], s[20:21], 1.0
	s_and_b64 vcc, exec, s[6:7]
	s_cbranch_vccnz .LBB39_2
; %bb.1:
	s_cmp_lg_u32 s25, 0
	s_cselect_b64 s[6:7], -1, 0
	v_cmp_neq_f64_e64 s[10:11], s[22:23], 0
	s_and_b64 s[6:7], s[6:7], s[10:11]
.LBB39_2:
	s_andn2_b64 vcc, exec, s[6:7]
	s_cbranch_vccnz .LBB39_26
; %bb.3:
	s_load_dwordx2 s[10:11], s[0:1], 0x48
	s_lshl_b32 s5, s2, 5
	s_lshl_b32 s12, s3, 5
	s_cmp_lt_i32 s25, 1
	v_cmp_eq_f64_e64 s[2:3], s[22:23], 0
	s_cselect_b64 s[6:7], -1, 0
	s_or_b64 s[2:3], s[2:3], s[6:7]
	v_and_b32_e32 v13, 0x3ff, v0
	v_bfe_u32 v12, v0, 10, 10
	s_mov_b32 s13, 0
	v_mov_b64_e32 v[6:7], 0
	s_and_b64 vcc, exec, s[2:3]
	v_mov_b64_e32 v[4:5], 0
	v_mov_b64_e32 v[2:3], 0
	;; [unrolled: 1-line block ×3, first 2 shown]
	s_cbranch_vccnz .LBB39_10
; %bb.4:
	v_lshl_add_u32 v0, v12, 4, v13
	v_and_b32_e32 v2, 31, v0
	v_lshrrev_b32_e32 v15, 5, v0
	v_lshrrev_b32_e32 v1, 3, v0
	v_or_b32_e32 v0, s5, v2
	v_and_b32_e32 v14, 7, v13
	v_cmp_gt_i32_e32 vcc, s24, v0
	v_lshlrev_b32_e32 v0, 3, v2
	v_lshl_or_b32 v16, v15, 8, v0
	v_lshlrev_b32_e32 v0, 3, v14
	s_load_dword s6, s[0:1], 0x18
	s_load_dwordx4 s[16:19], s[0:1], 0x20
	s_load_dword s26, s[0:1], 0x30
	v_add_u32_e32 v6, s12, v1
	v_lshl_or_b32 v1, v1, 6, v0
	v_add_u32_e32 v17, 0x800, v1
	v_mov_b32_e32 v1, 0x800
	v_lshl_add_u32 v19, v12, 6, v1
	v_add_u32_e32 v1, s5, v2
	s_waitcnt lgkmcnt(0)
	v_mad_i64_i32 v[2:3], s[6:7], s6, v1, 0
	s_mul_i32 s6, s17, s4
	s_mul_hi_u32 s7, s16, s4
	s_add_i32 s7, s7, s6
	s_mul_i32 s6, s16, s4
	s_lshl_b64 s[6:7], s[6:7], 3
	v_lshl_add_u64 v[2:3], v[2:3], 3, s[6:7]
	v_lshlrev_b32_e32 v4, 3, v15
	v_mov_b32_e32 v5, 0
	v_lshl_add_u64 v[2:3], v[2:3], 0, v[4:5]
	v_lshl_add_u64 v[8:9], s[14:15], 0, v[2:3]
	v_mad_i64_i32 v[2:3], s[6:7], s26, v6, 0
	s_mul_i32 s6, s9, s4
	s_mul_hi_u32 s7, s8, s4
	s_add_i32 s7, s7, s6
	s_mul_i32 s6, s8, s4
	s_lshl_b64 s[6:7], s[6:7], 3
	v_lshl_add_u64 v[2:3], v[2:3], 3, s[6:7]
	v_mov_b32_e32 v1, v5
	v_lshl_add_u64 v[0:1], v[2:3], 0, v[0:1]
	v_cmp_gt_i32_e64 s[2:3], s24, v6
	v_lshlrev_b32_e32 v18, 3, v13
	v_lshl_add_u64 v[10:11], s[18:19], 0, v[0:1]
	v_mov_b64_e32 v[0:1], 0
	v_mov_b64_e32 v[2:3], 0
	;; [unrolled: 1-line block ×4, first 2 shown]
	s_branch .LBB39_6
.LBB39_5:                               ;   in Loop: Header=BB39_6 Depth=1
	s_or_b64 exec, exec, s[6:7]
	s_waitcnt vmcnt(0)
	ds_write_b64 v17, v[20:21]
	s_waitcnt lgkmcnt(0)
	s_barrier
	ds_read2_b64 v[20:23], v18 offset1:16
	ds_read_b128 v[24:27], v19
	ds_read_b128 v[28:31], v19 offset:16
	ds_read_b128 v[32:35], v19 offset:32
	;; [unrolled: 1-line block ×4, first 2 shown]
	ds_read2_b64 v[44:47], v18 offset0:32 offset1:48
	s_waitcnt lgkmcnt(5)
	v_fmac_f64_e32 v[6:7], v[20:21], v[24:25]
	v_fmac_f64_e32 v[4:5], v[22:23], v[24:25]
	ds_read_b128 v[48:51], v19 offset:1040
	s_waitcnt lgkmcnt(2)
	v_fmac_f64_e32 v[2:3], v[20:21], v[40:41]
	v_fmac_f64_e32 v[0:1], v[22:23], v[40:41]
	ds_read2_b64 v[20:23], v18 offset0:64 offset1:80
	s_waitcnt lgkmcnt(2)
	v_fmac_f64_e32 v[6:7], v[44:45], v[26:27]
	v_fmac_f64_e32 v[4:5], v[46:47], v[26:27]
	ds_read2_b64 v[24:27], v18 offset0:96 offset1:112
	v_fmac_f64_e32 v[2:3], v[44:45], v[42:43]
	v_fmac_f64_e32 v[0:1], v[46:47], v[42:43]
	s_waitcnt lgkmcnt(1)
	v_fmac_f64_e32 v[6:7], v[20:21], v[28:29]
	v_fmac_f64_e32 v[4:5], v[22:23], v[28:29]
	ds_read_b128 v[40:43], v19 offset:1072
	v_fmac_f64_e32 v[2:3], v[20:21], v[48:49]
	v_fmac_f64_e32 v[0:1], v[22:23], v[48:49]
	s_waitcnt lgkmcnt(1)
	v_fmac_f64_e32 v[6:7], v[24:25], v[30:31]
	ds_read2_b64 v[20:23], v18 offset0:128 offset1:144
	v_fmac_f64_e32 v[4:5], v[26:27], v[30:31]
	v_fmac_f64_e32 v[2:3], v[24:25], v[50:51]
	;; [unrolled: 1-line block ×3, first 2 shown]
	ds_read_b128 v[24:27], v19 offset:1056
	ds_read2_b64 v[28:31], v18 offset0:160 offset1:176
	s_waitcnt lgkmcnt(2)
	v_fmac_f64_e32 v[6:7], v[20:21], v[32:33]
	v_fmac_f64_e32 v[4:5], v[22:23], v[32:33]
	s_add_i32 s13, s13, 8
	s_waitcnt lgkmcnt(1)
	v_fmac_f64_e32 v[2:3], v[20:21], v[24:25]
	v_fmac_f64_e32 v[0:1], v[22:23], v[24:25]
	ds_read2_b64 v[20:23], v18 offset0:192 offset1:208
	s_waitcnt lgkmcnt(1)
	v_fmac_f64_e32 v[2:3], v[28:29], v[26:27]
	v_fmac_f64_e32 v[0:1], v[30:31], v[26:27]
	ds_read2_b64 v[24:27], v18 offset0:224 offset1:240
	v_fmac_f64_e32 v[6:7], v[28:29], v[34:35]
	v_fmac_f64_e32 v[4:5], v[30:31], v[34:35]
	s_waitcnt lgkmcnt(1)
	v_fmac_f64_e32 v[6:7], v[20:21], v[36:37]
	v_fmac_f64_e32 v[4:5], v[22:23], v[36:37]
	;; [unrolled: 1-line block ×4, first 2 shown]
	s_waitcnt lgkmcnt(0)
	v_fmac_f64_e32 v[6:7], v[24:25], v[38:39]
	v_fmac_f64_e32 v[4:5], v[26:27], v[38:39]
	;; [unrolled: 1-line block ×4, first 2 shown]
	v_lshl_add_u64 v[8:9], v[8:9], 0, 64
	s_cmp_lt_i32 s13, s25
	v_lshl_add_u64 v[10:11], v[10:11], 0, 64
	s_barrier
	s_cbranch_scc0 .LBB39_10
.LBB39_6:                               ; =>This Inner Loop Header: Depth=1
	v_add_u32_e32 v20, s13, v15
	v_cmp_gt_i32_e64 s[6:7], s25, v20
	s_and_b64 s[8:9], vcc, s[6:7]
	v_mov_b64_e32 v[20:21], 0
	s_and_saveexec_b64 s[6:7], s[8:9]
	s_cbranch_execz .LBB39_8
; %bb.7:                                ;   in Loop: Header=BB39_6 Depth=1
	global_load_dwordx2 v[20:21], v[8:9], off
.LBB39_8:                               ;   in Loop: Header=BB39_6 Depth=1
	s_or_b64 exec, exec, s[6:7]
	s_waitcnt vmcnt(0)
	ds_write_b64 v16, v[20:21]
	v_add_u32_e32 v20, s13, v14
	v_cmp_gt_i32_e64 s[6:7], s25, v20
	s_and_b64 s[8:9], s[6:7], s[2:3]
	v_mov_b64_e32 v[20:21], 0
	s_and_saveexec_b64 s[6:7], s[8:9]
	s_cbranch_execz .LBB39_5
; %bb.9:                                ;   in Loop: Header=BB39_6 Depth=1
	global_load_dwordx2 v[20:21], v[10:11], off
	s_branch .LBB39_5
.LBB39_10:
	s_load_dwordx2 s[2:3], s[0:1], 0x58
	s_load_dword s8, s[0:1], 0x50
	v_add_u32_e32 v14, s12, v12
	v_add_u32_e32 v8, s5, v13
	v_cmp_le_i32_e32 vcc, v8, v14
	s_waitcnt lgkmcnt(0)
	s_mul_i32 s1, s3, s4
	s_mul_hi_u32 s3, s2, s4
	s_mul_i32 s0, s2, s4
	s_add_i32 s1, s3, s1
	s_lshl_b64 s[0:1], s[0:1], 3
	s_add_u32 s4, s10, s0
	s_addc_u32 s5, s11, s1
	v_mad_i64_i32 v[10:11], s[0:1], v14, s8, 0
	v_cmp_neq_f64_e64 s[0:1], s[20:21], 0
	v_cmp_gt_i32_e64 s[2:3], s24, v14
	v_lshl_add_u64 v[10:11], v[10:11], 3, s[4:5]
	v_cndmask_b32_e64 v12, 0, 1, s[0:1]
	s_and_b64 s[10:11], s[2:3], vcc
	v_ashrrev_i32_e32 v9, 31, v8
	v_cmp_ne_u32_e64 s[0:1], 1, v12
	s_and_saveexec_b64 s[6:7], s[10:11]
	s_cbranch_execz .LBB39_14
; %bb.11:
	v_mul_f64 v[6:7], s[22:23], v[6:7]
	s_and_b64 vcc, exec, s[0:1]
	v_lshl_add_u64 v[12:13], v[8:9], 3, v[10:11]
	s_cbranch_vccnz .LBB39_13
; %bb.12:
	global_load_dwordx2 v[16:17], v[12:13], off
	s_waitcnt vmcnt(0)
	v_fmac_f64_e32 v[6:7], s[20:21], v[16:17]
.LBB39_13:
	global_store_dwordx2 v[12:13], v[6:7], off
.LBB39_14:
	s_or_b64 exec, exec, s[6:7]
	v_add_u32_e32 v6, 16, v8
	v_cmp_le_i32_e32 vcc, v6, v14
	s_and_b64 s[6:7], s[2:3], vcc
	v_ashrrev_i32_e32 v7, 31, v6
	s_and_saveexec_b64 s[2:3], s[6:7]
	s_cbranch_execz .LBB39_18
; %bb.15:
	v_mul_f64 v[4:5], s[22:23], v[4:5]
	s_and_b64 vcc, exec, s[0:1]
	v_lshl_add_u64 v[10:11], v[6:7], 3, v[10:11]
	s_cbranch_vccnz .LBB39_17
; %bb.16:
	global_load_dwordx2 v[12:13], v[10:11], off
	s_waitcnt vmcnt(0)
	v_fmac_f64_e32 v[4:5], s[20:21], v[12:13]
.LBB39_17:
	global_store_dwordx2 v[10:11], v[4:5], off
.LBB39_18:
	s_or_b64 exec, exec, s[2:3]
	v_add_u32_e32 v10, 16, v14
	v_cmp_gt_i32_e64 s[2:3], s24, v10
	v_mad_i64_i32 v[4:5], s[6:7], v10, s8, 0
	v_cmp_le_i32_e32 vcc, v8, v10
	v_lshl_add_u64 v[4:5], v[4:5], 3, s[4:5]
	s_and_b64 s[6:7], s[2:3], vcc
	s_and_saveexec_b64 s[4:5], s[6:7]
	s_cbranch_execz .LBB39_22
; %bb.19:
	v_mul_f64 v[2:3], s[22:23], v[2:3]
	s_and_b64 vcc, exec, s[0:1]
	v_lshl_add_u64 v[8:9], v[8:9], 3, v[4:5]
	s_cbranch_vccnz .LBB39_21
; %bb.20:
	global_load_dwordx2 v[12:13], v[8:9], off
	s_waitcnt vmcnt(0)
	v_fmac_f64_e32 v[2:3], s[20:21], v[12:13]
.LBB39_21:
	global_store_dwordx2 v[8:9], v[2:3], off
.LBB39_22:
	s_or_b64 exec, exec, s[4:5]
	v_cmp_le_i32_e32 vcc, v6, v10
	s_and_b64 s[2:3], s[2:3], vcc
	s_and_saveexec_b64 s[4:5], s[2:3]
	s_cbranch_execz .LBB39_26
; %bb.23:
	v_mul_f64 v[0:1], s[22:23], v[0:1]
	s_and_b64 vcc, exec, s[0:1]
	v_lshl_add_u64 v[2:3], v[6:7], 3, v[4:5]
	s_cbranch_vccnz .LBB39_25
; %bb.24:
	global_load_dwordx2 v[4:5], v[2:3], off
	s_waitcnt vmcnt(0)
	v_fmac_f64_e32 v[0:1], s[20:21], v[4:5]
.LBB39_25:
	global_store_dwordx2 v[2:3], v[0:1], off
.LBB39_26:
	s_endpgm
	.section	.rodata,"a",@progbits
	.p2align	6, 0x0
	.amdhsa_kernel _ZL29rocblas_internal_gemmt_kernelIiLi16ELi32ELi8ELc84ELc78ELc85ELb0ELb0EdPKdS1_PdEviT_T9_T10_S3_lS5_S3_lS4_T11_S3_li
		.amdhsa_group_segment_fixed_size 4096
		.amdhsa_private_segment_fixed_size 0
		.amdhsa_kernarg_size 100
		.amdhsa_user_sgpr_count 2
		.amdhsa_user_sgpr_dispatch_ptr 0
		.amdhsa_user_sgpr_queue_ptr 0
		.amdhsa_user_sgpr_kernarg_segment_ptr 1
		.amdhsa_user_sgpr_dispatch_id 0
		.amdhsa_user_sgpr_kernarg_preload_length 0
		.amdhsa_user_sgpr_kernarg_preload_offset 0
		.amdhsa_user_sgpr_private_segment_size 0
		.amdhsa_uses_dynamic_stack 0
		.amdhsa_enable_private_segment 0
		.amdhsa_system_sgpr_workgroup_id_x 1
		.amdhsa_system_sgpr_workgroup_id_y 1
		.amdhsa_system_sgpr_workgroup_id_z 1
		.amdhsa_system_sgpr_workgroup_info 0
		.amdhsa_system_vgpr_workitem_id 1
		.amdhsa_next_free_vgpr 52
		.amdhsa_next_free_sgpr 27
		.amdhsa_accum_offset 52
		.amdhsa_reserve_vcc 1
		.amdhsa_float_round_mode_32 0
		.amdhsa_float_round_mode_16_64 0
		.amdhsa_float_denorm_mode_32 3
		.amdhsa_float_denorm_mode_16_64 3
		.amdhsa_dx10_clamp 1
		.amdhsa_ieee_mode 1
		.amdhsa_fp16_overflow 0
		.amdhsa_tg_split 0
		.amdhsa_exception_fp_ieee_invalid_op 0
		.amdhsa_exception_fp_denorm_src 0
		.amdhsa_exception_fp_ieee_div_zero 0
		.amdhsa_exception_fp_ieee_overflow 0
		.amdhsa_exception_fp_ieee_underflow 0
		.amdhsa_exception_fp_ieee_inexact 0
		.amdhsa_exception_int_div_zero 0
	.end_amdhsa_kernel
	.section	.text._ZL29rocblas_internal_gemmt_kernelIiLi16ELi32ELi8ELc84ELc78ELc85ELb0ELb0EdPKdS1_PdEviT_T9_T10_S3_lS5_S3_lS4_T11_S3_li,"axG",@progbits,_ZL29rocblas_internal_gemmt_kernelIiLi16ELi32ELi8ELc84ELc78ELc85ELb0ELb0EdPKdS1_PdEviT_T9_T10_S3_lS5_S3_lS4_T11_S3_li,comdat
.Lfunc_end39:
	.size	_ZL29rocblas_internal_gemmt_kernelIiLi16ELi32ELi8ELc84ELc78ELc85ELb0ELb0EdPKdS1_PdEviT_T9_T10_S3_lS5_S3_lS4_T11_S3_li, .Lfunc_end39-_ZL29rocblas_internal_gemmt_kernelIiLi16ELi32ELi8ELc84ELc78ELc85ELb0ELb0EdPKdS1_PdEviT_T9_T10_S3_lS5_S3_lS4_T11_S3_li
                                        ; -- End function
	.set _ZL29rocblas_internal_gemmt_kernelIiLi16ELi32ELi8ELc84ELc78ELc85ELb0ELb0EdPKdS1_PdEviT_T9_T10_S3_lS5_S3_lS4_T11_S3_li.num_vgpr, 52
	.set _ZL29rocblas_internal_gemmt_kernelIiLi16ELi32ELi8ELc84ELc78ELc85ELb0ELb0EdPKdS1_PdEviT_T9_T10_S3_lS5_S3_lS4_T11_S3_li.num_agpr, 0
	.set _ZL29rocblas_internal_gemmt_kernelIiLi16ELi32ELi8ELc84ELc78ELc85ELb0ELb0EdPKdS1_PdEviT_T9_T10_S3_lS5_S3_lS4_T11_S3_li.numbered_sgpr, 27
	.set _ZL29rocblas_internal_gemmt_kernelIiLi16ELi32ELi8ELc84ELc78ELc85ELb0ELb0EdPKdS1_PdEviT_T9_T10_S3_lS5_S3_lS4_T11_S3_li.num_named_barrier, 0
	.set _ZL29rocblas_internal_gemmt_kernelIiLi16ELi32ELi8ELc84ELc78ELc85ELb0ELb0EdPKdS1_PdEviT_T9_T10_S3_lS5_S3_lS4_T11_S3_li.private_seg_size, 0
	.set _ZL29rocblas_internal_gemmt_kernelIiLi16ELi32ELi8ELc84ELc78ELc85ELb0ELb0EdPKdS1_PdEviT_T9_T10_S3_lS5_S3_lS4_T11_S3_li.uses_vcc, 1
	.set _ZL29rocblas_internal_gemmt_kernelIiLi16ELi32ELi8ELc84ELc78ELc85ELb0ELb0EdPKdS1_PdEviT_T9_T10_S3_lS5_S3_lS4_T11_S3_li.uses_flat_scratch, 0
	.set _ZL29rocblas_internal_gemmt_kernelIiLi16ELi32ELi8ELc84ELc78ELc85ELb0ELb0EdPKdS1_PdEviT_T9_T10_S3_lS5_S3_lS4_T11_S3_li.has_dyn_sized_stack, 0
	.set _ZL29rocblas_internal_gemmt_kernelIiLi16ELi32ELi8ELc84ELc78ELc85ELb0ELb0EdPKdS1_PdEviT_T9_T10_S3_lS5_S3_lS4_T11_S3_li.has_recursion, 0
	.set _ZL29rocblas_internal_gemmt_kernelIiLi16ELi32ELi8ELc84ELc78ELc85ELb0ELb0EdPKdS1_PdEviT_T9_T10_S3_lS5_S3_lS4_T11_S3_li.has_indirect_call, 0
	.section	.AMDGPU.csdata,"",@progbits
; Kernel info:
; codeLenInByte = 1296
; TotalNumSgprs: 33
; NumVgprs: 52
; NumAgprs: 0
; TotalNumVgprs: 52
; ScratchSize: 0
; MemoryBound: 0
; FloatMode: 240
; IeeeMode: 1
; LDSByteSize: 4096 bytes/workgroup (compile time only)
; SGPRBlocks: 4
; VGPRBlocks: 6
; NumSGPRsForWavesPerEU: 33
; NumVGPRsForWavesPerEU: 52
; AccumOffset: 52
; Occupancy: 8
; WaveLimiterHint : 0
; COMPUTE_PGM_RSRC2:SCRATCH_EN: 0
; COMPUTE_PGM_RSRC2:USER_SGPR: 2
; COMPUTE_PGM_RSRC2:TRAP_HANDLER: 0
; COMPUTE_PGM_RSRC2:TGID_X_EN: 1
; COMPUTE_PGM_RSRC2:TGID_Y_EN: 1
; COMPUTE_PGM_RSRC2:TGID_Z_EN: 1
; COMPUTE_PGM_RSRC2:TIDIG_COMP_CNT: 1
; COMPUTE_PGM_RSRC3_GFX90A:ACCUM_OFFSET: 12
; COMPUTE_PGM_RSRC3_GFX90A:TG_SPLIT: 0
	.section	.text._ZL29rocblas_internal_gemmt_kernelIiLi16ELi32ELi8ELc84ELc84ELc85ELb0ELb0EdPKdS1_PdEviT_T9_T10_S3_lS5_S3_lS4_T11_S3_li,"axG",@progbits,_ZL29rocblas_internal_gemmt_kernelIiLi16ELi32ELi8ELc84ELc84ELc85ELb0ELb0EdPKdS1_PdEviT_T9_T10_S3_lS5_S3_lS4_T11_S3_li,comdat
	.globl	_ZL29rocblas_internal_gemmt_kernelIiLi16ELi32ELi8ELc84ELc84ELc85ELb0ELb0EdPKdS1_PdEviT_T9_T10_S3_lS5_S3_lS4_T11_S3_li ; -- Begin function _ZL29rocblas_internal_gemmt_kernelIiLi16ELi32ELi8ELc84ELc84ELc85ELb0ELb0EdPKdS1_PdEviT_T9_T10_S3_lS5_S3_lS4_T11_S3_li
	.p2align	8
	.type	_ZL29rocblas_internal_gemmt_kernelIiLi16ELi32ELi8ELc84ELc84ELc85ELb0ELb0EdPKdS1_PdEviT_T9_T10_S3_lS5_S3_lS4_T11_S3_li,@function
_ZL29rocblas_internal_gemmt_kernelIiLi16ELi32ELi8ELc84ELc84ELc85ELb0ELb0EdPKdS1_PdEviT_T9_T10_S3_lS5_S3_lS4_T11_S3_li: ; @_ZL29rocblas_internal_gemmt_kernelIiLi16ELi32ELi8ELc84ELc84ELc85ELb0ELb0EdPKdS1_PdEviT_T9_T10_S3_lS5_S3_lS4_T11_S3_li
; %bb.0:
	s_load_dwordx4 s[8:11], s[0:1], 0x38
	s_load_dwordx4 s[12:15], s[0:1], 0x8
	s_waitcnt lgkmcnt(0)
	s_load_dwordx2 s[20:21], s[10:11], 0x0
	s_load_dwordx2 s[24:25], s[0:1], 0x0
	;; [unrolled: 1-line block ×3, first 2 shown]
	s_waitcnt lgkmcnt(0)
	v_cmp_neq_f64_e64 s[6:7], s[20:21], 1.0
	s_and_b64 vcc, exec, s[6:7]
	s_cbranch_vccnz .LBB40_2
; %bb.1:
	s_cmp_lg_u32 s25, 0
	s_cselect_b64 s[6:7], -1, 0
	v_cmp_neq_f64_e64 s[10:11], s[22:23], 0
	s_and_b64 s[6:7], s[6:7], s[10:11]
.LBB40_2:
	s_andn2_b64 vcc, exec, s[6:7]
	s_cbranch_vccnz .LBB40_26
; %bb.3:
	s_load_dwordx2 s[10:11], s[0:1], 0x48
	s_lshl_b32 s5, s2, 5
	s_lshl_b32 s12, s3, 5
	s_cmp_lt_i32 s25, 1
	v_cmp_eq_f64_e64 s[2:3], s[22:23], 0
	s_cselect_b64 s[6:7], -1, 0
	s_or_b64 s[2:3], s[2:3], s[6:7]
	v_and_b32_e32 v13, 0x3ff, v0
	v_bfe_u32 v12, v0, 10, 10
	s_mov_b32 s13, 0
	v_mov_b64_e32 v[6:7], 0
	s_and_b64 vcc, exec, s[2:3]
	v_mov_b64_e32 v[4:5], 0
	v_mov_b64_e32 v[2:3], 0
	;; [unrolled: 1-line block ×3, first 2 shown]
	s_cbranch_vccnz .LBB40_10
; %bb.4:
	v_lshl_add_u32 v1, v12, 4, v13
	v_and_b32_e32 v3, 31, v1
	v_lshrrev_b32_e32 v15, 5, v1
	v_lshrrev_b32_e32 v2, 3, v1
	v_or_b32_e32 v1, s5, v3
	s_load_dword s26, s[0:1], 0x18
	s_load_dword s6, s[0:1], 0x30
	s_load_dwordx4 s[16:19], s[0:1], 0x20
	v_and_b32_e32 v14, 7, v13
	v_cmp_gt_i32_e32 vcc, s24, v1
	v_lshlrev_b32_e32 v1, 3, v3
	v_lshl_or_b32 v16, v15, 8, v1
	v_lshlrev_b32_e32 v1, 3, v14
	v_add_u32_e32 v0, s12, v2
	v_lshl_or_b32 v1, v2, 6, v1
	v_mov_b32_e32 v2, 0x800
	v_lshl_add_u32 v19, v12, 6, v2
	v_add_u32_e32 v2, s5, v3
	s_waitcnt lgkmcnt(0)
	v_mad_i64_i32 v[2:3], s[26:27], s26, v2, 0
	s_mul_i32 s17, s17, s4
	s_mul_hi_u32 s26, s16, s4
	s_add_i32 s17, s26, s17
	s_mul_i32 s16, s16, s4
	s_lshl_b64 s[16:17], s[16:17], 3
	v_lshl_add_u64 v[2:3], v[2:3], 3, s[16:17]
	v_lshlrev_b32_e32 v4, 3, v15
	v_mov_b32_e32 v5, 0
	v_lshl_add_u64 v[2:3], v[2:3], 0, v[4:5]
	v_lshl_add_u64 v[8:9], s[14:15], 0, v[2:3]
	s_mul_i32 s9, s9, s4
	s_mul_hi_u32 s14, s8, s4
	s_add_i32 s9, s14, s9
	v_mad_i64_i32 v[2:3], s[14:15], s6, v14, 0
	s_mul_i32 s8, s8, s4
	v_lshlrev_b64 v[2:3], 3, v[2:3]
	v_add_u32_e32 v17, 0x800, v1
	v_ashrrev_i32_e32 v1, 31, v0
	v_lshl_add_u64 v[2:3], s[8:9], 3, v[2:3]
	s_ashr_i32 s7, s6, 31
	v_cmp_gt_i32_e64 s[2:3], s24, v0
	v_lshl_add_u64 v[0:1], v[0:1], 3, v[2:3]
	v_lshlrev_b32_e32 v18, 3, v13
	v_lshl_add_u64 v[10:11], s[18:19], 0, v[0:1]
	s_lshl_b64 s[8:9], s[6:7], 6
	v_mov_b64_e32 v[0:1], 0
	v_mov_b64_e32 v[2:3], 0
	;; [unrolled: 1-line block ×4, first 2 shown]
	s_branch .LBB40_6
.LBB40_5:                               ;   in Loop: Header=BB40_6 Depth=1
	s_or_b64 exec, exec, s[6:7]
	s_waitcnt vmcnt(0)
	ds_write_b64 v17, v[20:21]
	s_waitcnt lgkmcnt(0)
	s_barrier
	ds_read2_b64 v[20:23], v18 offset1:16
	ds_read_b128 v[24:27], v19
	ds_read_b128 v[28:31], v19 offset:16
	ds_read_b128 v[32:35], v19 offset:32
	;; [unrolled: 1-line block ×4, first 2 shown]
	ds_read2_b64 v[44:47], v18 offset0:32 offset1:48
	s_waitcnt lgkmcnt(5)
	v_fmac_f64_e32 v[6:7], v[20:21], v[24:25]
	v_fmac_f64_e32 v[4:5], v[22:23], v[24:25]
	ds_read_b128 v[48:51], v19 offset:1040
	s_waitcnt lgkmcnt(2)
	v_fmac_f64_e32 v[2:3], v[20:21], v[40:41]
	v_fmac_f64_e32 v[0:1], v[22:23], v[40:41]
	ds_read2_b64 v[20:23], v18 offset0:64 offset1:80
	s_waitcnt lgkmcnt(2)
	v_fmac_f64_e32 v[6:7], v[44:45], v[26:27]
	v_fmac_f64_e32 v[4:5], v[46:47], v[26:27]
	ds_read2_b64 v[24:27], v18 offset0:96 offset1:112
	v_fmac_f64_e32 v[2:3], v[44:45], v[42:43]
	v_fmac_f64_e32 v[0:1], v[46:47], v[42:43]
	s_waitcnt lgkmcnt(1)
	v_fmac_f64_e32 v[6:7], v[20:21], v[28:29]
	v_fmac_f64_e32 v[4:5], v[22:23], v[28:29]
	ds_read_b128 v[40:43], v19 offset:1072
	v_fmac_f64_e32 v[2:3], v[20:21], v[48:49]
	v_fmac_f64_e32 v[0:1], v[22:23], v[48:49]
	s_waitcnt lgkmcnt(1)
	v_fmac_f64_e32 v[6:7], v[24:25], v[30:31]
	ds_read2_b64 v[20:23], v18 offset0:128 offset1:144
	v_fmac_f64_e32 v[4:5], v[26:27], v[30:31]
	v_fmac_f64_e32 v[2:3], v[24:25], v[50:51]
	;; [unrolled: 1-line block ×3, first 2 shown]
	ds_read_b128 v[24:27], v19 offset:1056
	ds_read2_b64 v[28:31], v18 offset0:160 offset1:176
	s_waitcnt lgkmcnt(2)
	v_fmac_f64_e32 v[6:7], v[20:21], v[32:33]
	v_fmac_f64_e32 v[4:5], v[22:23], v[32:33]
	s_add_i32 s13, s13, 8
	s_waitcnt lgkmcnt(1)
	v_fmac_f64_e32 v[2:3], v[20:21], v[24:25]
	v_fmac_f64_e32 v[0:1], v[22:23], v[24:25]
	ds_read2_b64 v[20:23], v18 offset0:192 offset1:208
	s_waitcnt lgkmcnt(1)
	v_fmac_f64_e32 v[2:3], v[28:29], v[26:27]
	v_fmac_f64_e32 v[0:1], v[30:31], v[26:27]
	ds_read2_b64 v[24:27], v18 offset0:224 offset1:240
	v_fmac_f64_e32 v[6:7], v[28:29], v[34:35]
	v_fmac_f64_e32 v[4:5], v[30:31], v[34:35]
	s_waitcnt lgkmcnt(1)
	v_fmac_f64_e32 v[6:7], v[20:21], v[36:37]
	v_fmac_f64_e32 v[4:5], v[22:23], v[36:37]
	;; [unrolled: 1-line block ×4, first 2 shown]
	s_waitcnt lgkmcnt(0)
	v_fmac_f64_e32 v[6:7], v[24:25], v[38:39]
	v_fmac_f64_e32 v[4:5], v[26:27], v[38:39]
	;; [unrolled: 1-line block ×4, first 2 shown]
	v_lshl_add_u64 v[8:9], v[8:9], 0, 64
	s_cmp_lt_i32 s13, s25
	v_lshl_add_u64 v[10:11], v[10:11], 0, s[8:9]
	s_barrier
	s_cbranch_scc0 .LBB40_10
.LBB40_6:                               ; =>This Inner Loop Header: Depth=1
	v_add_u32_e32 v20, s13, v15
	v_cmp_gt_i32_e64 s[6:7], s25, v20
	s_and_b64 s[14:15], vcc, s[6:7]
	v_mov_b64_e32 v[20:21], 0
	s_and_saveexec_b64 s[6:7], s[14:15]
	s_cbranch_execz .LBB40_8
; %bb.7:                                ;   in Loop: Header=BB40_6 Depth=1
	global_load_dwordx2 v[20:21], v[8:9], off
.LBB40_8:                               ;   in Loop: Header=BB40_6 Depth=1
	s_or_b64 exec, exec, s[6:7]
	s_waitcnt vmcnt(0)
	ds_write_b64 v16, v[20:21]
	v_add_u32_e32 v20, s13, v14
	v_cmp_gt_i32_e64 s[6:7], s25, v20
	s_and_b64 s[14:15], s[6:7], s[2:3]
	v_mov_b64_e32 v[20:21], 0
	s_and_saveexec_b64 s[6:7], s[14:15]
	s_cbranch_execz .LBB40_5
; %bb.9:                                ;   in Loop: Header=BB40_6 Depth=1
	global_load_dwordx2 v[20:21], v[10:11], off
	s_branch .LBB40_5
.LBB40_10:
	s_load_dwordx2 s[2:3], s[0:1], 0x58
	s_load_dword s8, s[0:1], 0x50
	v_add_u32_e32 v14, s12, v12
	v_add_u32_e32 v8, s5, v13
	v_cmp_le_i32_e32 vcc, v8, v14
	s_waitcnt lgkmcnt(0)
	s_mul_i32 s1, s3, s4
	s_mul_hi_u32 s3, s2, s4
	s_mul_i32 s0, s2, s4
	s_add_i32 s1, s3, s1
	s_lshl_b64 s[0:1], s[0:1], 3
	s_add_u32 s4, s10, s0
	s_addc_u32 s5, s11, s1
	v_mad_i64_i32 v[10:11], s[0:1], v14, s8, 0
	v_cmp_neq_f64_e64 s[0:1], s[20:21], 0
	v_cmp_gt_i32_e64 s[2:3], s24, v14
	v_lshl_add_u64 v[10:11], v[10:11], 3, s[4:5]
	v_cndmask_b32_e64 v12, 0, 1, s[0:1]
	s_and_b64 s[10:11], s[2:3], vcc
	v_ashrrev_i32_e32 v9, 31, v8
	v_cmp_ne_u32_e64 s[0:1], 1, v12
	s_and_saveexec_b64 s[6:7], s[10:11]
	s_cbranch_execz .LBB40_14
; %bb.11:
	v_mul_f64 v[6:7], s[22:23], v[6:7]
	s_and_b64 vcc, exec, s[0:1]
	v_lshl_add_u64 v[12:13], v[8:9], 3, v[10:11]
	s_cbranch_vccnz .LBB40_13
; %bb.12:
	global_load_dwordx2 v[16:17], v[12:13], off
	s_waitcnt vmcnt(0)
	v_fmac_f64_e32 v[6:7], s[20:21], v[16:17]
.LBB40_13:
	global_store_dwordx2 v[12:13], v[6:7], off
.LBB40_14:
	s_or_b64 exec, exec, s[6:7]
	v_add_u32_e32 v6, 16, v8
	v_cmp_le_i32_e32 vcc, v6, v14
	s_and_b64 s[6:7], s[2:3], vcc
	v_ashrrev_i32_e32 v7, 31, v6
	s_and_saveexec_b64 s[2:3], s[6:7]
	s_cbranch_execz .LBB40_18
; %bb.15:
	v_mul_f64 v[4:5], s[22:23], v[4:5]
	s_and_b64 vcc, exec, s[0:1]
	v_lshl_add_u64 v[10:11], v[6:7], 3, v[10:11]
	s_cbranch_vccnz .LBB40_17
; %bb.16:
	global_load_dwordx2 v[12:13], v[10:11], off
	s_waitcnt vmcnt(0)
	v_fmac_f64_e32 v[4:5], s[20:21], v[12:13]
.LBB40_17:
	global_store_dwordx2 v[10:11], v[4:5], off
.LBB40_18:
	s_or_b64 exec, exec, s[2:3]
	v_add_u32_e32 v10, 16, v14
	v_cmp_gt_i32_e64 s[2:3], s24, v10
	v_mad_i64_i32 v[4:5], s[6:7], v10, s8, 0
	v_cmp_le_i32_e32 vcc, v8, v10
	v_lshl_add_u64 v[4:5], v[4:5], 3, s[4:5]
	s_and_b64 s[6:7], s[2:3], vcc
	s_and_saveexec_b64 s[4:5], s[6:7]
	s_cbranch_execz .LBB40_22
; %bb.19:
	v_mul_f64 v[2:3], s[22:23], v[2:3]
	s_and_b64 vcc, exec, s[0:1]
	v_lshl_add_u64 v[8:9], v[8:9], 3, v[4:5]
	s_cbranch_vccnz .LBB40_21
; %bb.20:
	global_load_dwordx2 v[12:13], v[8:9], off
	s_waitcnt vmcnt(0)
	v_fmac_f64_e32 v[2:3], s[20:21], v[12:13]
.LBB40_21:
	global_store_dwordx2 v[8:9], v[2:3], off
.LBB40_22:
	s_or_b64 exec, exec, s[4:5]
	v_cmp_le_i32_e32 vcc, v6, v10
	s_and_b64 s[2:3], s[2:3], vcc
	s_and_saveexec_b64 s[4:5], s[2:3]
	s_cbranch_execz .LBB40_26
; %bb.23:
	v_mul_f64 v[0:1], s[22:23], v[0:1]
	s_and_b64 vcc, exec, s[0:1]
	v_lshl_add_u64 v[2:3], v[6:7], 3, v[4:5]
	s_cbranch_vccnz .LBB40_25
; %bb.24:
	global_load_dwordx2 v[4:5], v[2:3], off
	s_waitcnt vmcnt(0)
	v_fmac_f64_e32 v[0:1], s[20:21], v[4:5]
.LBB40_25:
	global_store_dwordx2 v[2:3], v[0:1], off
.LBB40_26:
	s_endpgm
	.section	.rodata,"a",@progbits
	.p2align	6, 0x0
	.amdhsa_kernel _ZL29rocblas_internal_gemmt_kernelIiLi16ELi32ELi8ELc84ELc84ELc85ELb0ELb0EdPKdS1_PdEviT_T9_T10_S3_lS5_S3_lS4_T11_S3_li
		.amdhsa_group_segment_fixed_size 4096
		.amdhsa_private_segment_fixed_size 0
		.amdhsa_kernarg_size 100
		.amdhsa_user_sgpr_count 2
		.amdhsa_user_sgpr_dispatch_ptr 0
		.amdhsa_user_sgpr_queue_ptr 0
		.amdhsa_user_sgpr_kernarg_segment_ptr 1
		.amdhsa_user_sgpr_dispatch_id 0
		.amdhsa_user_sgpr_kernarg_preload_length 0
		.amdhsa_user_sgpr_kernarg_preload_offset 0
		.amdhsa_user_sgpr_private_segment_size 0
		.amdhsa_uses_dynamic_stack 0
		.amdhsa_enable_private_segment 0
		.amdhsa_system_sgpr_workgroup_id_x 1
		.amdhsa_system_sgpr_workgroup_id_y 1
		.amdhsa_system_sgpr_workgroup_id_z 1
		.amdhsa_system_sgpr_workgroup_info 0
		.amdhsa_system_vgpr_workitem_id 1
		.amdhsa_next_free_vgpr 52
		.amdhsa_next_free_sgpr 28
		.amdhsa_accum_offset 52
		.amdhsa_reserve_vcc 1
		.amdhsa_float_round_mode_32 0
		.amdhsa_float_round_mode_16_64 0
		.amdhsa_float_denorm_mode_32 3
		.amdhsa_float_denorm_mode_16_64 3
		.amdhsa_dx10_clamp 1
		.amdhsa_ieee_mode 1
		.amdhsa_fp16_overflow 0
		.amdhsa_tg_split 0
		.amdhsa_exception_fp_ieee_invalid_op 0
		.amdhsa_exception_fp_denorm_src 0
		.amdhsa_exception_fp_ieee_div_zero 0
		.amdhsa_exception_fp_ieee_overflow 0
		.amdhsa_exception_fp_ieee_underflow 0
		.amdhsa_exception_fp_ieee_inexact 0
		.amdhsa_exception_int_div_zero 0
	.end_amdhsa_kernel
	.section	.text._ZL29rocblas_internal_gemmt_kernelIiLi16ELi32ELi8ELc84ELc84ELc85ELb0ELb0EdPKdS1_PdEviT_T9_T10_S3_lS5_S3_lS4_T11_S3_li,"axG",@progbits,_ZL29rocblas_internal_gemmt_kernelIiLi16ELi32ELi8ELc84ELc84ELc85ELb0ELb0EdPKdS1_PdEviT_T9_T10_S3_lS5_S3_lS4_T11_S3_li,comdat
.Lfunc_end40:
	.size	_ZL29rocblas_internal_gemmt_kernelIiLi16ELi32ELi8ELc84ELc84ELc85ELb0ELb0EdPKdS1_PdEviT_T9_T10_S3_lS5_S3_lS4_T11_S3_li, .Lfunc_end40-_ZL29rocblas_internal_gemmt_kernelIiLi16ELi32ELi8ELc84ELc84ELc85ELb0ELb0EdPKdS1_PdEviT_T9_T10_S3_lS5_S3_lS4_T11_S3_li
                                        ; -- End function
	.set _ZL29rocblas_internal_gemmt_kernelIiLi16ELi32ELi8ELc84ELc84ELc85ELb0ELb0EdPKdS1_PdEviT_T9_T10_S3_lS5_S3_lS4_T11_S3_li.num_vgpr, 52
	.set _ZL29rocblas_internal_gemmt_kernelIiLi16ELi32ELi8ELc84ELc84ELc85ELb0ELb0EdPKdS1_PdEviT_T9_T10_S3_lS5_S3_lS4_T11_S3_li.num_agpr, 0
	.set _ZL29rocblas_internal_gemmt_kernelIiLi16ELi32ELi8ELc84ELc84ELc85ELb0ELb0EdPKdS1_PdEviT_T9_T10_S3_lS5_S3_lS4_T11_S3_li.numbered_sgpr, 28
	.set _ZL29rocblas_internal_gemmt_kernelIiLi16ELi32ELi8ELc84ELc84ELc85ELb0ELb0EdPKdS1_PdEviT_T9_T10_S3_lS5_S3_lS4_T11_S3_li.num_named_barrier, 0
	.set _ZL29rocblas_internal_gemmt_kernelIiLi16ELi32ELi8ELc84ELc84ELc85ELb0ELb0EdPKdS1_PdEviT_T9_T10_S3_lS5_S3_lS4_T11_S3_li.private_seg_size, 0
	.set _ZL29rocblas_internal_gemmt_kernelIiLi16ELi32ELi8ELc84ELc84ELc85ELb0ELb0EdPKdS1_PdEviT_T9_T10_S3_lS5_S3_lS4_T11_S3_li.uses_vcc, 1
	.set _ZL29rocblas_internal_gemmt_kernelIiLi16ELi32ELi8ELc84ELc84ELc85ELb0ELb0EdPKdS1_PdEviT_T9_T10_S3_lS5_S3_lS4_T11_S3_li.uses_flat_scratch, 0
	.set _ZL29rocblas_internal_gemmt_kernelIiLi16ELi32ELi8ELc84ELc84ELc85ELb0ELb0EdPKdS1_PdEviT_T9_T10_S3_lS5_S3_lS4_T11_S3_li.has_dyn_sized_stack, 0
	.set _ZL29rocblas_internal_gemmt_kernelIiLi16ELi32ELi8ELc84ELc84ELc85ELb0ELb0EdPKdS1_PdEviT_T9_T10_S3_lS5_S3_lS4_T11_S3_li.has_recursion, 0
	.set _ZL29rocblas_internal_gemmt_kernelIiLi16ELi32ELi8ELc84ELc84ELc85ELb0ELb0EdPKdS1_PdEviT_T9_T10_S3_lS5_S3_lS4_T11_S3_li.has_indirect_call, 0
	.section	.AMDGPU.csdata,"",@progbits
; Kernel info:
; codeLenInByte = 1308
; TotalNumSgprs: 34
; NumVgprs: 52
; NumAgprs: 0
; TotalNumVgprs: 52
; ScratchSize: 0
; MemoryBound: 0
; FloatMode: 240
; IeeeMode: 1
; LDSByteSize: 4096 bytes/workgroup (compile time only)
; SGPRBlocks: 4
; VGPRBlocks: 6
; NumSGPRsForWavesPerEU: 34
; NumVGPRsForWavesPerEU: 52
; AccumOffset: 52
; Occupancy: 8
; WaveLimiterHint : 0
; COMPUTE_PGM_RSRC2:SCRATCH_EN: 0
; COMPUTE_PGM_RSRC2:USER_SGPR: 2
; COMPUTE_PGM_RSRC2:TRAP_HANDLER: 0
; COMPUTE_PGM_RSRC2:TGID_X_EN: 1
; COMPUTE_PGM_RSRC2:TGID_Y_EN: 1
; COMPUTE_PGM_RSRC2:TGID_Z_EN: 1
; COMPUTE_PGM_RSRC2:TIDIG_COMP_CNT: 1
; COMPUTE_PGM_RSRC3_GFX90A:ACCUM_OFFSET: 12
; COMPUTE_PGM_RSRC3_GFX90A:TG_SPLIT: 0
	.section	.text._ZL29rocblas_internal_gemmt_kernelIiLi16ELi32ELi8ELc84ELc67ELc85ELb0ELb0EdPKdS1_PdEviT_T9_T10_S3_lS5_S3_lS4_T11_S3_li,"axG",@progbits,_ZL29rocblas_internal_gemmt_kernelIiLi16ELi32ELi8ELc84ELc67ELc85ELb0ELb0EdPKdS1_PdEviT_T9_T10_S3_lS5_S3_lS4_T11_S3_li,comdat
	.globl	_ZL29rocblas_internal_gemmt_kernelIiLi16ELi32ELi8ELc84ELc67ELc85ELb0ELb0EdPKdS1_PdEviT_T9_T10_S3_lS5_S3_lS4_T11_S3_li ; -- Begin function _ZL29rocblas_internal_gemmt_kernelIiLi16ELi32ELi8ELc84ELc67ELc85ELb0ELb0EdPKdS1_PdEviT_T9_T10_S3_lS5_S3_lS4_T11_S3_li
	.p2align	8
	.type	_ZL29rocblas_internal_gemmt_kernelIiLi16ELi32ELi8ELc84ELc67ELc85ELb0ELb0EdPKdS1_PdEviT_T9_T10_S3_lS5_S3_lS4_T11_S3_li,@function
_ZL29rocblas_internal_gemmt_kernelIiLi16ELi32ELi8ELc84ELc67ELc85ELb0ELb0EdPKdS1_PdEviT_T9_T10_S3_lS5_S3_lS4_T11_S3_li: ; @_ZL29rocblas_internal_gemmt_kernelIiLi16ELi32ELi8ELc84ELc67ELc85ELb0ELb0EdPKdS1_PdEviT_T9_T10_S3_lS5_S3_lS4_T11_S3_li
; %bb.0:
	s_load_dwordx4 s[8:11], s[0:1], 0x38
	s_load_dwordx4 s[12:15], s[0:1], 0x8
	s_waitcnt lgkmcnt(0)
	s_load_dwordx2 s[20:21], s[10:11], 0x0
	s_load_dwordx2 s[24:25], s[0:1], 0x0
	;; [unrolled: 1-line block ×3, first 2 shown]
	s_waitcnt lgkmcnt(0)
	v_cmp_neq_f64_e64 s[6:7], s[20:21], 1.0
	s_and_b64 vcc, exec, s[6:7]
	s_cbranch_vccnz .LBB41_2
; %bb.1:
	s_cmp_lg_u32 s25, 0
	s_cselect_b64 s[6:7], -1, 0
	v_cmp_neq_f64_e64 s[10:11], s[22:23], 0
	s_and_b64 s[6:7], s[6:7], s[10:11]
.LBB41_2:
	s_andn2_b64 vcc, exec, s[6:7]
	s_cbranch_vccnz .LBB41_26
; %bb.3:
	s_load_dwordx2 s[10:11], s[0:1], 0x48
	s_lshl_b32 s5, s2, 5
	s_lshl_b32 s12, s3, 5
	s_cmp_lt_i32 s25, 1
	v_cmp_eq_f64_e64 s[2:3], s[22:23], 0
	s_cselect_b64 s[6:7], -1, 0
	s_or_b64 s[2:3], s[2:3], s[6:7]
	v_and_b32_e32 v13, 0x3ff, v0
	v_bfe_u32 v12, v0, 10, 10
	s_mov_b32 s13, 0
	v_mov_b64_e32 v[6:7], 0
	s_and_b64 vcc, exec, s[2:3]
	v_mov_b64_e32 v[4:5], 0
	v_mov_b64_e32 v[2:3], 0
	;; [unrolled: 1-line block ×3, first 2 shown]
	s_cbranch_vccnz .LBB41_10
; %bb.4:
	v_lshl_add_u32 v1, v12, 4, v13
	v_and_b32_e32 v3, 31, v1
	v_lshrrev_b32_e32 v15, 5, v1
	v_lshrrev_b32_e32 v2, 3, v1
	v_or_b32_e32 v1, s5, v3
	s_load_dword s26, s[0:1], 0x18
	s_load_dword s6, s[0:1], 0x30
	s_load_dwordx4 s[16:19], s[0:1], 0x20
	v_and_b32_e32 v14, 7, v13
	v_cmp_gt_i32_e32 vcc, s24, v1
	v_lshlrev_b32_e32 v1, 3, v3
	v_lshl_or_b32 v16, v15, 8, v1
	v_lshlrev_b32_e32 v1, 3, v14
	v_add_u32_e32 v0, s12, v2
	v_lshl_or_b32 v1, v2, 6, v1
	v_mov_b32_e32 v2, 0x800
	v_lshl_add_u32 v19, v12, 6, v2
	v_add_u32_e32 v2, s5, v3
	s_waitcnt lgkmcnt(0)
	v_mad_i64_i32 v[2:3], s[26:27], s26, v2, 0
	s_mul_i32 s17, s17, s4
	s_mul_hi_u32 s26, s16, s4
	s_add_i32 s17, s26, s17
	s_mul_i32 s16, s16, s4
	s_lshl_b64 s[16:17], s[16:17], 3
	v_lshl_add_u64 v[2:3], v[2:3], 3, s[16:17]
	v_lshlrev_b32_e32 v4, 3, v15
	v_mov_b32_e32 v5, 0
	v_lshl_add_u64 v[2:3], v[2:3], 0, v[4:5]
	v_lshl_add_u64 v[8:9], s[14:15], 0, v[2:3]
	s_mul_i32 s9, s9, s4
	s_mul_hi_u32 s14, s8, s4
	s_add_i32 s9, s14, s9
	v_mad_i64_i32 v[2:3], s[14:15], s6, v14, 0
	s_mul_i32 s8, s8, s4
	v_lshlrev_b64 v[2:3], 3, v[2:3]
	v_add_u32_e32 v17, 0x800, v1
	v_ashrrev_i32_e32 v1, 31, v0
	v_lshl_add_u64 v[2:3], s[8:9], 3, v[2:3]
	s_ashr_i32 s7, s6, 31
	v_cmp_gt_i32_e64 s[2:3], s24, v0
	v_lshl_add_u64 v[0:1], v[0:1], 3, v[2:3]
	v_lshlrev_b32_e32 v18, 3, v13
	v_lshl_add_u64 v[10:11], s[18:19], 0, v[0:1]
	s_lshl_b64 s[8:9], s[6:7], 6
	v_mov_b64_e32 v[0:1], 0
	v_mov_b64_e32 v[2:3], 0
	v_mov_b64_e32 v[4:5], 0
	v_mov_b64_e32 v[6:7], 0
	s_branch .LBB41_6
.LBB41_5:                               ;   in Loop: Header=BB41_6 Depth=1
	s_or_b64 exec, exec, s[6:7]
	s_waitcnt vmcnt(0)
	ds_write_b64 v17, v[20:21]
	s_waitcnt lgkmcnt(0)
	s_barrier
	ds_read2_b64 v[20:23], v18 offset1:16
	ds_read_b128 v[24:27], v19
	ds_read_b128 v[28:31], v19 offset:16
	ds_read_b128 v[32:35], v19 offset:32
	;; [unrolled: 1-line block ×4, first 2 shown]
	ds_read2_b64 v[44:47], v18 offset0:32 offset1:48
	s_waitcnt lgkmcnt(5)
	v_fmac_f64_e32 v[6:7], v[20:21], v[24:25]
	v_fmac_f64_e32 v[4:5], v[22:23], v[24:25]
	ds_read_b128 v[48:51], v19 offset:1040
	s_waitcnt lgkmcnt(2)
	v_fmac_f64_e32 v[2:3], v[20:21], v[40:41]
	v_fmac_f64_e32 v[0:1], v[22:23], v[40:41]
	ds_read2_b64 v[20:23], v18 offset0:64 offset1:80
	s_waitcnt lgkmcnt(2)
	v_fmac_f64_e32 v[6:7], v[44:45], v[26:27]
	v_fmac_f64_e32 v[4:5], v[46:47], v[26:27]
	ds_read2_b64 v[24:27], v18 offset0:96 offset1:112
	v_fmac_f64_e32 v[2:3], v[44:45], v[42:43]
	v_fmac_f64_e32 v[0:1], v[46:47], v[42:43]
	s_waitcnt lgkmcnt(1)
	v_fmac_f64_e32 v[6:7], v[20:21], v[28:29]
	v_fmac_f64_e32 v[4:5], v[22:23], v[28:29]
	ds_read_b128 v[40:43], v19 offset:1072
	v_fmac_f64_e32 v[2:3], v[20:21], v[48:49]
	v_fmac_f64_e32 v[0:1], v[22:23], v[48:49]
	s_waitcnt lgkmcnt(1)
	v_fmac_f64_e32 v[6:7], v[24:25], v[30:31]
	ds_read2_b64 v[20:23], v18 offset0:128 offset1:144
	v_fmac_f64_e32 v[4:5], v[26:27], v[30:31]
	v_fmac_f64_e32 v[2:3], v[24:25], v[50:51]
	v_fmac_f64_e32 v[0:1], v[26:27], v[50:51]
	ds_read_b128 v[24:27], v19 offset:1056
	ds_read2_b64 v[28:31], v18 offset0:160 offset1:176
	s_waitcnt lgkmcnt(2)
	v_fmac_f64_e32 v[6:7], v[20:21], v[32:33]
	v_fmac_f64_e32 v[4:5], v[22:23], v[32:33]
	s_add_i32 s13, s13, 8
	s_waitcnt lgkmcnt(1)
	v_fmac_f64_e32 v[2:3], v[20:21], v[24:25]
	v_fmac_f64_e32 v[0:1], v[22:23], v[24:25]
	ds_read2_b64 v[20:23], v18 offset0:192 offset1:208
	s_waitcnt lgkmcnt(1)
	v_fmac_f64_e32 v[2:3], v[28:29], v[26:27]
	v_fmac_f64_e32 v[0:1], v[30:31], v[26:27]
	ds_read2_b64 v[24:27], v18 offset0:224 offset1:240
	v_fmac_f64_e32 v[6:7], v[28:29], v[34:35]
	v_fmac_f64_e32 v[4:5], v[30:31], v[34:35]
	s_waitcnt lgkmcnt(1)
	v_fmac_f64_e32 v[6:7], v[20:21], v[36:37]
	v_fmac_f64_e32 v[4:5], v[22:23], v[36:37]
	;; [unrolled: 1-line block ×4, first 2 shown]
	s_waitcnt lgkmcnt(0)
	v_fmac_f64_e32 v[6:7], v[24:25], v[38:39]
	v_fmac_f64_e32 v[4:5], v[26:27], v[38:39]
	;; [unrolled: 1-line block ×4, first 2 shown]
	v_lshl_add_u64 v[8:9], v[8:9], 0, 64
	s_cmp_lt_i32 s13, s25
	v_lshl_add_u64 v[10:11], v[10:11], 0, s[8:9]
	s_barrier
	s_cbranch_scc0 .LBB41_10
.LBB41_6:                               ; =>This Inner Loop Header: Depth=1
	v_add_u32_e32 v20, s13, v15
	v_cmp_gt_i32_e64 s[6:7], s25, v20
	s_and_b64 s[14:15], vcc, s[6:7]
	v_mov_b64_e32 v[20:21], 0
	s_and_saveexec_b64 s[6:7], s[14:15]
	s_cbranch_execz .LBB41_8
; %bb.7:                                ;   in Loop: Header=BB41_6 Depth=1
	global_load_dwordx2 v[20:21], v[8:9], off
.LBB41_8:                               ;   in Loop: Header=BB41_6 Depth=1
	s_or_b64 exec, exec, s[6:7]
	s_waitcnt vmcnt(0)
	ds_write_b64 v16, v[20:21]
	v_add_u32_e32 v20, s13, v14
	v_cmp_gt_i32_e64 s[6:7], s25, v20
	s_and_b64 s[14:15], s[6:7], s[2:3]
	v_mov_b64_e32 v[20:21], 0
	s_and_saveexec_b64 s[6:7], s[14:15]
	s_cbranch_execz .LBB41_5
; %bb.9:                                ;   in Loop: Header=BB41_6 Depth=1
	global_load_dwordx2 v[20:21], v[10:11], off
	s_branch .LBB41_5
.LBB41_10:
	s_load_dwordx2 s[2:3], s[0:1], 0x58
	s_load_dword s8, s[0:1], 0x50
	v_add_u32_e32 v14, s12, v12
	v_add_u32_e32 v8, s5, v13
	v_cmp_le_i32_e32 vcc, v8, v14
	s_waitcnt lgkmcnt(0)
	s_mul_i32 s1, s3, s4
	s_mul_hi_u32 s3, s2, s4
	s_mul_i32 s0, s2, s4
	s_add_i32 s1, s3, s1
	s_lshl_b64 s[0:1], s[0:1], 3
	s_add_u32 s4, s10, s0
	s_addc_u32 s5, s11, s1
	v_mad_i64_i32 v[10:11], s[0:1], v14, s8, 0
	v_cmp_neq_f64_e64 s[0:1], s[20:21], 0
	v_cmp_gt_i32_e64 s[2:3], s24, v14
	v_lshl_add_u64 v[10:11], v[10:11], 3, s[4:5]
	v_cndmask_b32_e64 v12, 0, 1, s[0:1]
	s_and_b64 s[10:11], s[2:3], vcc
	v_ashrrev_i32_e32 v9, 31, v8
	v_cmp_ne_u32_e64 s[0:1], 1, v12
	s_and_saveexec_b64 s[6:7], s[10:11]
	s_cbranch_execz .LBB41_14
; %bb.11:
	v_mul_f64 v[6:7], s[22:23], v[6:7]
	s_and_b64 vcc, exec, s[0:1]
	v_lshl_add_u64 v[12:13], v[8:9], 3, v[10:11]
	s_cbranch_vccnz .LBB41_13
; %bb.12:
	global_load_dwordx2 v[16:17], v[12:13], off
	s_waitcnt vmcnt(0)
	v_fmac_f64_e32 v[6:7], s[20:21], v[16:17]
.LBB41_13:
	global_store_dwordx2 v[12:13], v[6:7], off
.LBB41_14:
	s_or_b64 exec, exec, s[6:7]
	v_add_u32_e32 v6, 16, v8
	v_cmp_le_i32_e32 vcc, v6, v14
	s_and_b64 s[6:7], s[2:3], vcc
	v_ashrrev_i32_e32 v7, 31, v6
	s_and_saveexec_b64 s[2:3], s[6:7]
	s_cbranch_execz .LBB41_18
; %bb.15:
	v_mul_f64 v[4:5], s[22:23], v[4:5]
	s_and_b64 vcc, exec, s[0:1]
	v_lshl_add_u64 v[10:11], v[6:7], 3, v[10:11]
	s_cbranch_vccnz .LBB41_17
; %bb.16:
	global_load_dwordx2 v[12:13], v[10:11], off
	s_waitcnt vmcnt(0)
	v_fmac_f64_e32 v[4:5], s[20:21], v[12:13]
.LBB41_17:
	global_store_dwordx2 v[10:11], v[4:5], off
.LBB41_18:
	s_or_b64 exec, exec, s[2:3]
	v_add_u32_e32 v10, 16, v14
	v_cmp_gt_i32_e64 s[2:3], s24, v10
	v_mad_i64_i32 v[4:5], s[6:7], v10, s8, 0
	v_cmp_le_i32_e32 vcc, v8, v10
	v_lshl_add_u64 v[4:5], v[4:5], 3, s[4:5]
	s_and_b64 s[6:7], s[2:3], vcc
	s_and_saveexec_b64 s[4:5], s[6:7]
	s_cbranch_execz .LBB41_22
; %bb.19:
	v_mul_f64 v[2:3], s[22:23], v[2:3]
	s_and_b64 vcc, exec, s[0:1]
	v_lshl_add_u64 v[8:9], v[8:9], 3, v[4:5]
	s_cbranch_vccnz .LBB41_21
; %bb.20:
	global_load_dwordx2 v[12:13], v[8:9], off
	s_waitcnt vmcnt(0)
	v_fmac_f64_e32 v[2:3], s[20:21], v[12:13]
.LBB41_21:
	global_store_dwordx2 v[8:9], v[2:3], off
.LBB41_22:
	s_or_b64 exec, exec, s[4:5]
	v_cmp_le_i32_e32 vcc, v6, v10
	s_and_b64 s[2:3], s[2:3], vcc
	s_and_saveexec_b64 s[4:5], s[2:3]
	s_cbranch_execz .LBB41_26
; %bb.23:
	v_mul_f64 v[0:1], s[22:23], v[0:1]
	s_and_b64 vcc, exec, s[0:1]
	v_lshl_add_u64 v[2:3], v[6:7], 3, v[4:5]
	s_cbranch_vccnz .LBB41_25
; %bb.24:
	global_load_dwordx2 v[4:5], v[2:3], off
	s_waitcnt vmcnt(0)
	v_fmac_f64_e32 v[0:1], s[20:21], v[4:5]
.LBB41_25:
	global_store_dwordx2 v[2:3], v[0:1], off
.LBB41_26:
	s_endpgm
	.section	.rodata,"a",@progbits
	.p2align	6, 0x0
	.amdhsa_kernel _ZL29rocblas_internal_gemmt_kernelIiLi16ELi32ELi8ELc84ELc67ELc85ELb0ELb0EdPKdS1_PdEviT_T9_T10_S3_lS5_S3_lS4_T11_S3_li
		.amdhsa_group_segment_fixed_size 4096
		.amdhsa_private_segment_fixed_size 0
		.amdhsa_kernarg_size 100
		.amdhsa_user_sgpr_count 2
		.amdhsa_user_sgpr_dispatch_ptr 0
		.amdhsa_user_sgpr_queue_ptr 0
		.amdhsa_user_sgpr_kernarg_segment_ptr 1
		.amdhsa_user_sgpr_dispatch_id 0
		.amdhsa_user_sgpr_kernarg_preload_length 0
		.amdhsa_user_sgpr_kernarg_preload_offset 0
		.amdhsa_user_sgpr_private_segment_size 0
		.amdhsa_uses_dynamic_stack 0
		.amdhsa_enable_private_segment 0
		.amdhsa_system_sgpr_workgroup_id_x 1
		.amdhsa_system_sgpr_workgroup_id_y 1
		.amdhsa_system_sgpr_workgroup_id_z 1
		.amdhsa_system_sgpr_workgroup_info 0
		.amdhsa_system_vgpr_workitem_id 1
		.amdhsa_next_free_vgpr 52
		.amdhsa_next_free_sgpr 28
		.amdhsa_accum_offset 52
		.amdhsa_reserve_vcc 1
		.amdhsa_float_round_mode_32 0
		.amdhsa_float_round_mode_16_64 0
		.amdhsa_float_denorm_mode_32 3
		.amdhsa_float_denorm_mode_16_64 3
		.amdhsa_dx10_clamp 1
		.amdhsa_ieee_mode 1
		.amdhsa_fp16_overflow 0
		.amdhsa_tg_split 0
		.amdhsa_exception_fp_ieee_invalid_op 0
		.amdhsa_exception_fp_denorm_src 0
		.amdhsa_exception_fp_ieee_div_zero 0
		.amdhsa_exception_fp_ieee_overflow 0
		.amdhsa_exception_fp_ieee_underflow 0
		.amdhsa_exception_fp_ieee_inexact 0
		.amdhsa_exception_int_div_zero 0
	.end_amdhsa_kernel
	.section	.text._ZL29rocblas_internal_gemmt_kernelIiLi16ELi32ELi8ELc84ELc67ELc85ELb0ELb0EdPKdS1_PdEviT_T9_T10_S3_lS5_S3_lS4_T11_S3_li,"axG",@progbits,_ZL29rocblas_internal_gemmt_kernelIiLi16ELi32ELi8ELc84ELc67ELc85ELb0ELb0EdPKdS1_PdEviT_T9_T10_S3_lS5_S3_lS4_T11_S3_li,comdat
.Lfunc_end41:
	.size	_ZL29rocblas_internal_gemmt_kernelIiLi16ELi32ELi8ELc84ELc67ELc85ELb0ELb0EdPKdS1_PdEviT_T9_T10_S3_lS5_S3_lS4_T11_S3_li, .Lfunc_end41-_ZL29rocblas_internal_gemmt_kernelIiLi16ELi32ELi8ELc84ELc67ELc85ELb0ELb0EdPKdS1_PdEviT_T9_T10_S3_lS5_S3_lS4_T11_S3_li
                                        ; -- End function
	.set _ZL29rocblas_internal_gemmt_kernelIiLi16ELi32ELi8ELc84ELc67ELc85ELb0ELb0EdPKdS1_PdEviT_T9_T10_S3_lS5_S3_lS4_T11_S3_li.num_vgpr, 52
	.set _ZL29rocblas_internal_gemmt_kernelIiLi16ELi32ELi8ELc84ELc67ELc85ELb0ELb0EdPKdS1_PdEviT_T9_T10_S3_lS5_S3_lS4_T11_S3_li.num_agpr, 0
	.set _ZL29rocblas_internal_gemmt_kernelIiLi16ELi32ELi8ELc84ELc67ELc85ELb0ELb0EdPKdS1_PdEviT_T9_T10_S3_lS5_S3_lS4_T11_S3_li.numbered_sgpr, 28
	.set _ZL29rocblas_internal_gemmt_kernelIiLi16ELi32ELi8ELc84ELc67ELc85ELb0ELb0EdPKdS1_PdEviT_T9_T10_S3_lS5_S3_lS4_T11_S3_li.num_named_barrier, 0
	.set _ZL29rocblas_internal_gemmt_kernelIiLi16ELi32ELi8ELc84ELc67ELc85ELb0ELb0EdPKdS1_PdEviT_T9_T10_S3_lS5_S3_lS4_T11_S3_li.private_seg_size, 0
	.set _ZL29rocblas_internal_gemmt_kernelIiLi16ELi32ELi8ELc84ELc67ELc85ELb0ELb0EdPKdS1_PdEviT_T9_T10_S3_lS5_S3_lS4_T11_S3_li.uses_vcc, 1
	.set _ZL29rocblas_internal_gemmt_kernelIiLi16ELi32ELi8ELc84ELc67ELc85ELb0ELb0EdPKdS1_PdEviT_T9_T10_S3_lS5_S3_lS4_T11_S3_li.uses_flat_scratch, 0
	.set _ZL29rocblas_internal_gemmt_kernelIiLi16ELi32ELi8ELc84ELc67ELc85ELb0ELb0EdPKdS1_PdEviT_T9_T10_S3_lS5_S3_lS4_T11_S3_li.has_dyn_sized_stack, 0
	.set _ZL29rocblas_internal_gemmt_kernelIiLi16ELi32ELi8ELc84ELc67ELc85ELb0ELb0EdPKdS1_PdEviT_T9_T10_S3_lS5_S3_lS4_T11_S3_li.has_recursion, 0
	.set _ZL29rocblas_internal_gemmt_kernelIiLi16ELi32ELi8ELc84ELc67ELc85ELb0ELb0EdPKdS1_PdEviT_T9_T10_S3_lS5_S3_lS4_T11_S3_li.has_indirect_call, 0
	.section	.AMDGPU.csdata,"",@progbits
; Kernel info:
; codeLenInByte = 1308
; TotalNumSgprs: 34
; NumVgprs: 52
; NumAgprs: 0
; TotalNumVgprs: 52
; ScratchSize: 0
; MemoryBound: 0
; FloatMode: 240
; IeeeMode: 1
; LDSByteSize: 4096 bytes/workgroup (compile time only)
; SGPRBlocks: 4
; VGPRBlocks: 6
; NumSGPRsForWavesPerEU: 34
; NumVGPRsForWavesPerEU: 52
; AccumOffset: 52
; Occupancy: 8
; WaveLimiterHint : 0
; COMPUTE_PGM_RSRC2:SCRATCH_EN: 0
; COMPUTE_PGM_RSRC2:USER_SGPR: 2
; COMPUTE_PGM_RSRC2:TRAP_HANDLER: 0
; COMPUTE_PGM_RSRC2:TGID_X_EN: 1
; COMPUTE_PGM_RSRC2:TGID_Y_EN: 1
; COMPUTE_PGM_RSRC2:TGID_Z_EN: 1
; COMPUTE_PGM_RSRC2:TIDIG_COMP_CNT: 1
; COMPUTE_PGM_RSRC3_GFX90A:ACCUM_OFFSET: 12
; COMPUTE_PGM_RSRC3_GFX90A:TG_SPLIT: 0
	.section	.text._ZL29rocblas_internal_gemmt_kernelIiLi16ELi32ELi8ELc67ELc78ELc85ELb0ELb0EdPKdS1_PdEviT_T9_T10_S3_lS5_S3_lS4_T11_S3_li,"axG",@progbits,_ZL29rocblas_internal_gemmt_kernelIiLi16ELi32ELi8ELc67ELc78ELc85ELb0ELb0EdPKdS1_PdEviT_T9_T10_S3_lS5_S3_lS4_T11_S3_li,comdat
	.globl	_ZL29rocblas_internal_gemmt_kernelIiLi16ELi32ELi8ELc67ELc78ELc85ELb0ELb0EdPKdS1_PdEviT_T9_T10_S3_lS5_S3_lS4_T11_S3_li ; -- Begin function _ZL29rocblas_internal_gemmt_kernelIiLi16ELi32ELi8ELc67ELc78ELc85ELb0ELb0EdPKdS1_PdEviT_T9_T10_S3_lS5_S3_lS4_T11_S3_li
	.p2align	8
	.type	_ZL29rocblas_internal_gemmt_kernelIiLi16ELi32ELi8ELc67ELc78ELc85ELb0ELb0EdPKdS1_PdEviT_T9_T10_S3_lS5_S3_lS4_T11_S3_li,@function
_ZL29rocblas_internal_gemmt_kernelIiLi16ELi32ELi8ELc67ELc78ELc85ELb0ELb0EdPKdS1_PdEviT_T9_T10_S3_lS5_S3_lS4_T11_S3_li: ; @_ZL29rocblas_internal_gemmt_kernelIiLi16ELi32ELi8ELc67ELc78ELc85ELb0ELb0EdPKdS1_PdEviT_T9_T10_S3_lS5_S3_lS4_T11_S3_li
; %bb.0:
	s_load_dwordx4 s[8:11], s[0:1], 0x38
	s_load_dwordx4 s[12:15], s[0:1], 0x8
	s_waitcnt lgkmcnt(0)
	s_load_dwordx2 s[20:21], s[10:11], 0x0
	s_load_dwordx2 s[24:25], s[0:1], 0x0
	;; [unrolled: 1-line block ×3, first 2 shown]
	s_waitcnt lgkmcnt(0)
	v_cmp_neq_f64_e64 s[6:7], s[20:21], 1.0
	s_and_b64 vcc, exec, s[6:7]
	s_cbranch_vccnz .LBB42_2
; %bb.1:
	s_cmp_lg_u32 s25, 0
	s_cselect_b64 s[6:7], -1, 0
	v_cmp_neq_f64_e64 s[10:11], s[22:23], 0
	s_and_b64 s[6:7], s[6:7], s[10:11]
.LBB42_2:
	s_andn2_b64 vcc, exec, s[6:7]
	s_cbranch_vccnz .LBB42_26
; %bb.3:
	s_load_dwordx2 s[10:11], s[0:1], 0x48
	s_lshl_b32 s5, s2, 5
	s_lshl_b32 s12, s3, 5
	s_cmp_lt_i32 s25, 1
	v_cmp_eq_f64_e64 s[2:3], s[22:23], 0
	s_cselect_b64 s[6:7], -1, 0
	s_or_b64 s[2:3], s[2:3], s[6:7]
	v_and_b32_e32 v13, 0x3ff, v0
	v_bfe_u32 v12, v0, 10, 10
	s_mov_b32 s13, 0
	v_mov_b64_e32 v[6:7], 0
	s_and_b64 vcc, exec, s[2:3]
	v_mov_b64_e32 v[4:5], 0
	v_mov_b64_e32 v[2:3], 0
	;; [unrolled: 1-line block ×3, first 2 shown]
	s_cbranch_vccnz .LBB42_10
; %bb.4:
	v_lshl_add_u32 v0, v12, 4, v13
	v_and_b32_e32 v2, 31, v0
	v_lshrrev_b32_e32 v15, 5, v0
	v_lshrrev_b32_e32 v1, 3, v0
	v_or_b32_e32 v0, s5, v2
	v_and_b32_e32 v14, 7, v13
	v_cmp_gt_i32_e32 vcc, s24, v0
	v_lshlrev_b32_e32 v0, 3, v2
	v_lshl_or_b32 v16, v15, 8, v0
	v_lshlrev_b32_e32 v0, 3, v14
	s_load_dword s6, s[0:1], 0x18
	s_load_dwordx4 s[16:19], s[0:1], 0x20
	s_load_dword s26, s[0:1], 0x30
	v_add_u32_e32 v6, s12, v1
	v_lshl_or_b32 v1, v1, 6, v0
	v_add_u32_e32 v17, 0x800, v1
	v_mov_b32_e32 v1, 0x800
	v_lshl_add_u32 v19, v12, 6, v1
	v_add_u32_e32 v1, s5, v2
	s_waitcnt lgkmcnt(0)
	v_mad_i64_i32 v[2:3], s[6:7], s6, v1, 0
	s_mul_i32 s6, s17, s4
	s_mul_hi_u32 s7, s16, s4
	s_add_i32 s7, s7, s6
	s_mul_i32 s6, s16, s4
	s_lshl_b64 s[6:7], s[6:7], 3
	v_lshl_add_u64 v[2:3], v[2:3], 3, s[6:7]
	v_lshlrev_b32_e32 v4, 3, v15
	v_mov_b32_e32 v5, 0
	v_lshl_add_u64 v[2:3], v[2:3], 0, v[4:5]
	v_lshl_add_u64 v[8:9], s[14:15], 0, v[2:3]
	v_mad_i64_i32 v[2:3], s[6:7], s26, v6, 0
	s_mul_i32 s6, s9, s4
	s_mul_hi_u32 s7, s8, s4
	s_add_i32 s7, s7, s6
	s_mul_i32 s6, s8, s4
	s_lshl_b64 s[6:7], s[6:7], 3
	v_lshl_add_u64 v[2:3], v[2:3], 3, s[6:7]
	v_mov_b32_e32 v1, v5
	v_lshl_add_u64 v[0:1], v[2:3], 0, v[0:1]
	v_cmp_gt_i32_e64 s[2:3], s24, v6
	v_lshlrev_b32_e32 v18, 3, v13
	v_lshl_add_u64 v[10:11], s[18:19], 0, v[0:1]
	v_mov_b64_e32 v[0:1], 0
	v_mov_b64_e32 v[2:3], 0
	;; [unrolled: 1-line block ×4, first 2 shown]
	s_branch .LBB42_6
.LBB42_5:                               ;   in Loop: Header=BB42_6 Depth=1
	s_or_b64 exec, exec, s[6:7]
	s_waitcnt vmcnt(0)
	ds_write_b64 v17, v[20:21]
	s_waitcnt lgkmcnt(0)
	s_barrier
	ds_read2_b64 v[20:23], v18 offset1:16
	ds_read_b128 v[24:27], v19
	ds_read_b128 v[28:31], v19 offset:16
	ds_read_b128 v[32:35], v19 offset:32
	;; [unrolled: 1-line block ×4, first 2 shown]
	ds_read2_b64 v[44:47], v18 offset0:32 offset1:48
	s_waitcnt lgkmcnt(5)
	v_fmac_f64_e32 v[6:7], v[20:21], v[24:25]
	v_fmac_f64_e32 v[4:5], v[22:23], v[24:25]
	ds_read_b128 v[48:51], v19 offset:1040
	s_waitcnt lgkmcnt(2)
	v_fmac_f64_e32 v[2:3], v[20:21], v[40:41]
	v_fmac_f64_e32 v[0:1], v[22:23], v[40:41]
	ds_read2_b64 v[20:23], v18 offset0:64 offset1:80
	s_waitcnt lgkmcnt(2)
	v_fmac_f64_e32 v[6:7], v[44:45], v[26:27]
	v_fmac_f64_e32 v[4:5], v[46:47], v[26:27]
	ds_read2_b64 v[24:27], v18 offset0:96 offset1:112
	v_fmac_f64_e32 v[2:3], v[44:45], v[42:43]
	v_fmac_f64_e32 v[0:1], v[46:47], v[42:43]
	s_waitcnt lgkmcnt(1)
	v_fmac_f64_e32 v[6:7], v[20:21], v[28:29]
	v_fmac_f64_e32 v[4:5], v[22:23], v[28:29]
	ds_read_b128 v[40:43], v19 offset:1072
	v_fmac_f64_e32 v[2:3], v[20:21], v[48:49]
	v_fmac_f64_e32 v[0:1], v[22:23], v[48:49]
	s_waitcnt lgkmcnt(1)
	v_fmac_f64_e32 v[6:7], v[24:25], v[30:31]
	ds_read2_b64 v[20:23], v18 offset0:128 offset1:144
	v_fmac_f64_e32 v[4:5], v[26:27], v[30:31]
	v_fmac_f64_e32 v[2:3], v[24:25], v[50:51]
	;; [unrolled: 1-line block ×3, first 2 shown]
	ds_read_b128 v[24:27], v19 offset:1056
	ds_read2_b64 v[28:31], v18 offset0:160 offset1:176
	s_waitcnt lgkmcnt(2)
	v_fmac_f64_e32 v[6:7], v[20:21], v[32:33]
	v_fmac_f64_e32 v[4:5], v[22:23], v[32:33]
	s_add_i32 s13, s13, 8
	s_waitcnt lgkmcnt(1)
	v_fmac_f64_e32 v[2:3], v[20:21], v[24:25]
	v_fmac_f64_e32 v[0:1], v[22:23], v[24:25]
	ds_read2_b64 v[20:23], v18 offset0:192 offset1:208
	s_waitcnt lgkmcnt(1)
	v_fmac_f64_e32 v[2:3], v[28:29], v[26:27]
	v_fmac_f64_e32 v[0:1], v[30:31], v[26:27]
	ds_read2_b64 v[24:27], v18 offset0:224 offset1:240
	v_fmac_f64_e32 v[6:7], v[28:29], v[34:35]
	v_fmac_f64_e32 v[4:5], v[30:31], v[34:35]
	s_waitcnt lgkmcnt(1)
	v_fmac_f64_e32 v[6:7], v[20:21], v[36:37]
	v_fmac_f64_e32 v[4:5], v[22:23], v[36:37]
	;; [unrolled: 1-line block ×4, first 2 shown]
	s_waitcnt lgkmcnt(0)
	v_fmac_f64_e32 v[6:7], v[24:25], v[38:39]
	v_fmac_f64_e32 v[4:5], v[26:27], v[38:39]
	;; [unrolled: 1-line block ×4, first 2 shown]
	v_lshl_add_u64 v[8:9], v[8:9], 0, 64
	s_cmp_lt_i32 s13, s25
	v_lshl_add_u64 v[10:11], v[10:11], 0, 64
	s_barrier
	s_cbranch_scc0 .LBB42_10
.LBB42_6:                               ; =>This Inner Loop Header: Depth=1
	v_add_u32_e32 v20, s13, v15
	v_cmp_gt_i32_e64 s[6:7], s25, v20
	s_and_b64 s[8:9], vcc, s[6:7]
	v_mov_b64_e32 v[20:21], 0
	s_and_saveexec_b64 s[6:7], s[8:9]
	s_cbranch_execz .LBB42_8
; %bb.7:                                ;   in Loop: Header=BB42_6 Depth=1
	global_load_dwordx2 v[20:21], v[8:9], off
.LBB42_8:                               ;   in Loop: Header=BB42_6 Depth=1
	s_or_b64 exec, exec, s[6:7]
	s_waitcnt vmcnt(0)
	ds_write_b64 v16, v[20:21]
	v_add_u32_e32 v20, s13, v14
	v_cmp_gt_i32_e64 s[6:7], s25, v20
	s_and_b64 s[8:9], s[6:7], s[2:3]
	v_mov_b64_e32 v[20:21], 0
	s_and_saveexec_b64 s[6:7], s[8:9]
	s_cbranch_execz .LBB42_5
; %bb.9:                                ;   in Loop: Header=BB42_6 Depth=1
	global_load_dwordx2 v[20:21], v[10:11], off
	s_branch .LBB42_5
.LBB42_10:
	s_load_dwordx2 s[2:3], s[0:1], 0x58
	s_load_dword s8, s[0:1], 0x50
	v_add_u32_e32 v14, s12, v12
	v_add_u32_e32 v8, s5, v13
	v_cmp_le_i32_e32 vcc, v8, v14
	s_waitcnt lgkmcnt(0)
	s_mul_i32 s1, s3, s4
	s_mul_hi_u32 s3, s2, s4
	s_mul_i32 s0, s2, s4
	s_add_i32 s1, s3, s1
	s_lshl_b64 s[0:1], s[0:1], 3
	s_add_u32 s4, s10, s0
	s_addc_u32 s5, s11, s1
	v_mad_i64_i32 v[10:11], s[0:1], v14, s8, 0
	v_cmp_neq_f64_e64 s[0:1], s[20:21], 0
	v_cmp_gt_i32_e64 s[2:3], s24, v14
	v_lshl_add_u64 v[10:11], v[10:11], 3, s[4:5]
	v_cndmask_b32_e64 v12, 0, 1, s[0:1]
	s_and_b64 s[10:11], s[2:3], vcc
	v_ashrrev_i32_e32 v9, 31, v8
	v_cmp_ne_u32_e64 s[0:1], 1, v12
	s_and_saveexec_b64 s[6:7], s[10:11]
	s_cbranch_execz .LBB42_14
; %bb.11:
	v_mul_f64 v[6:7], s[22:23], v[6:7]
	s_and_b64 vcc, exec, s[0:1]
	v_lshl_add_u64 v[12:13], v[8:9], 3, v[10:11]
	s_cbranch_vccnz .LBB42_13
; %bb.12:
	global_load_dwordx2 v[16:17], v[12:13], off
	s_waitcnt vmcnt(0)
	v_fmac_f64_e32 v[6:7], s[20:21], v[16:17]
.LBB42_13:
	global_store_dwordx2 v[12:13], v[6:7], off
.LBB42_14:
	s_or_b64 exec, exec, s[6:7]
	v_add_u32_e32 v6, 16, v8
	v_cmp_le_i32_e32 vcc, v6, v14
	s_and_b64 s[6:7], s[2:3], vcc
	v_ashrrev_i32_e32 v7, 31, v6
	s_and_saveexec_b64 s[2:3], s[6:7]
	s_cbranch_execz .LBB42_18
; %bb.15:
	v_mul_f64 v[4:5], s[22:23], v[4:5]
	s_and_b64 vcc, exec, s[0:1]
	v_lshl_add_u64 v[10:11], v[6:7], 3, v[10:11]
	s_cbranch_vccnz .LBB42_17
; %bb.16:
	global_load_dwordx2 v[12:13], v[10:11], off
	s_waitcnt vmcnt(0)
	v_fmac_f64_e32 v[4:5], s[20:21], v[12:13]
.LBB42_17:
	global_store_dwordx2 v[10:11], v[4:5], off
.LBB42_18:
	s_or_b64 exec, exec, s[2:3]
	v_add_u32_e32 v10, 16, v14
	v_cmp_gt_i32_e64 s[2:3], s24, v10
	v_mad_i64_i32 v[4:5], s[6:7], v10, s8, 0
	v_cmp_le_i32_e32 vcc, v8, v10
	v_lshl_add_u64 v[4:5], v[4:5], 3, s[4:5]
	s_and_b64 s[6:7], s[2:3], vcc
	s_and_saveexec_b64 s[4:5], s[6:7]
	s_cbranch_execz .LBB42_22
; %bb.19:
	v_mul_f64 v[2:3], s[22:23], v[2:3]
	s_and_b64 vcc, exec, s[0:1]
	v_lshl_add_u64 v[8:9], v[8:9], 3, v[4:5]
	s_cbranch_vccnz .LBB42_21
; %bb.20:
	global_load_dwordx2 v[12:13], v[8:9], off
	s_waitcnt vmcnt(0)
	v_fmac_f64_e32 v[2:3], s[20:21], v[12:13]
.LBB42_21:
	global_store_dwordx2 v[8:9], v[2:3], off
.LBB42_22:
	s_or_b64 exec, exec, s[4:5]
	v_cmp_le_i32_e32 vcc, v6, v10
	s_and_b64 s[2:3], s[2:3], vcc
	s_and_saveexec_b64 s[4:5], s[2:3]
	s_cbranch_execz .LBB42_26
; %bb.23:
	v_mul_f64 v[0:1], s[22:23], v[0:1]
	s_and_b64 vcc, exec, s[0:1]
	v_lshl_add_u64 v[2:3], v[6:7], 3, v[4:5]
	s_cbranch_vccnz .LBB42_25
; %bb.24:
	global_load_dwordx2 v[4:5], v[2:3], off
	s_waitcnt vmcnt(0)
	v_fmac_f64_e32 v[0:1], s[20:21], v[4:5]
.LBB42_25:
	global_store_dwordx2 v[2:3], v[0:1], off
.LBB42_26:
	s_endpgm
	.section	.rodata,"a",@progbits
	.p2align	6, 0x0
	.amdhsa_kernel _ZL29rocblas_internal_gemmt_kernelIiLi16ELi32ELi8ELc67ELc78ELc85ELb0ELb0EdPKdS1_PdEviT_T9_T10_S3_lS5_S3_lS4_T11_S3_li
		.amdhsa_group_segment_fixed_size 4096
		.amdhsa_private_segment_fixed_size 0
		.amdhsa_kernarg_size 100
		.amdhsa_user_sgpr_count 2
		.amdhsa_user_sgpr_dispatch_ptr 0
		.amdhsa_user_sgpr_queue_ptr 0
		.amdhsa_user_sgpr_kernarg_segment_ptr 1
		.amdhsa_user_sgpr_dispatch_id 0
		.amdhsa_user_sgpr_kernarg_preload_length 0
		.amdhsa_user_sgpr_kernarg_preload_offset 0
		.amdhsa_user_sgpr_private_segment_size 0
		.amdhsa_uses_dynamic_stack 0
		.amdhsa_enable_private_segment 0
		.amdhsa_system_sgpr_workgroup_id_x 1
		.amdhsa_system_sgpr_workgroup_id_y 1
		.amdhsa_system_sgpr_workgroup_id_z 1
		.amdhsa_system_sgpr_workgroup_info 0
		.amdhsa_system_vgpr_workitem_id 1
		.amdhsa_next_free_vgpr 52
		.amdhsa_next_free_sgpr 27
		.amdhsa_accum_offset 52
		.amdhsa_reserve_vcc 1
		.amdhsa_float_round_mode_32 0
		.amdhsa_float_round_mode_16_64 0
		.amdhsa_float_denorm_mode_32 3
		.amdhsa_float_denorm_mode_16_64 3
		.amdhsa_dx10_clamp 1
		.amdhsa_ieee_mode 1
		.amdhsa_fp16_overflow 0
		.amdhsa_tg_split 0
		.amdhsa_exception_fp_ieee_invalid_op 0
		.amdhsa_exception_fp_denorm_src 0
		.amdhsa_exception_fp_ieee_div_zero 0
		.amdhsa_exception_fp_ieee_overflow 0
		.amdhsa_exception_fp_ieee_underflow 0
		.amdhsa_exception_fp_ieee_inexact 0
		.amdhsa_exception_int_div_zero 0
	.end_amdhsa_kernel
	.section	.text._ZL29rocblas_internal_gemmt_kernelIiLi16ELi32ELi8ELc67ELc78ELc85ELb0ELb0EdPKdS1_PdEviT_T9_T10_S3_lS5_S3_lS4_T11_S3_li,"axG",@progbits,_ZL29rocblas_internal_gemmt_kernelIiLi16ELi32ELi8ELc67ELc78ELc85ELb0ELb0EdPKdS1_PdEviT_T9_T10_S3_lS5_S3_lS4_T11_S3_li,comdat
.Lfunc_end42:
	.size	_ZL29rocblas_internal_gemmt_kernelIiLi16ELi32ELi8ELc67ELc78ELc85ELb0ELb0EdPKdS1_PdEviT_T9_T10_S3_lS5_S3_lS4_T11_S3_li, .Lfunc_end42-_ZL29rocblas_internal_gemmt_kernelIiLi16ELi32ELi8ELc67ELc78ELc85ELb0ELb0EdPKdS1_PdEviT_T9_T10_S3_lS5_S3_lS4_T11_S3_li
                                        ; -- End function
	.set _ZL29rocblas_internal_gemmt_kernelIiLi16ELi32ELi8ELc67ELc78ELc85ELb0ELb0EdPKdS1_PdEviT_T9_T10_S3_lS5_S3_lS4_T11_S3_li.num_vgpr, 52
	.set _ZL29rocblas_internal_gemmt_kernelIiLi16ELi32ELi8ELc67ELc78ELc85ELb0ELb0EdPKdS1_PdEviT_T9_T10_S3_lS5_S3_lS4_T11_S3_li.num_agpr, 0
	.set _ZL29rocblas_internal_gemmt_kernelIiLi16ELi32ELi8ELc67ELc78ELc85ELb0ELb0EdPKdS1_PdEviT_T9_T10_S3_lS5_S3_lS4_T11_S3_li.numbered_sgpr, 27
	.set _ZL29rocblas_internal_gemmt_kernelIiLi16ELi32ELi8ELc67ELc78ELc85ELb0ELb0EdPKdS1_PdEviT_T9_T10_S3_lS5_S3_lS4_T11_S3_li.num_named_barrier, 0
	.set _ZL29rocblas_internal_gemmt_kernelIiLi16ELi32ELi8ELc67ELc78ELc85ELb0ELb0EdPKdS1_PdEviT_T9_T10_S3_lS5_S3_lS4_T11_S3_li.private_seg_size, 0
	.set _ZL29rocblas_internal_gemmt_kernelIiLi16ELi32ELi8ELc67ELc78ELc85ELb0ELb0EdPKdS1_PdEviT_T9_T10_S3_lS5_S3_lS4_T11_S3_li.uses_vcc, 1
	.set _ZL29rocblas_internal_gemmt_kernelIiLi16ELi32ELi8ELc67ELc78ELc85ELb0ELb0EdPKdS1_PdEviT_T9_T10_S3_lS5_S3_lS4_T11_S3_li.uses_flat_scratch, 0
	.set _ZL29rocblas_internal_gemmt_kernelIiLi16ELi32ELi8ELc67ELc78ELc85ELb0ELb0EdPKdS1_PdEviT_T9_T10_S3_lS5_S3_lS4_T11_S3_li.has_dyn_sized_stack, 0
	.set _ZL29rocblas_internal_gemmt_kernelIiLi16ELi32ELi8ELc67ELc78ELc85ELb0ELb0EdPKdS1_PdEviT_T9_T10_S3_lS5_S3_lS4_T11_S3_li.has_recursion, 0
	.set _ZL29rocblas_internal_gemmt_kernelIiLi16ELi32ELi8ELc67ELc78ELc85ELb0ELb0EdPKdS1_PdEviT_T9_T10_S3_lS5_S3_lS4_T11_S3_li.has_indirect_call, 0
	.section	.AMDGPU.csdata,"",@progbits
; Kernel info:
; codeLenInByte = 1296
; TotalNumSgprs: 33
; NumVgprs: 52
; NumAgprs: 0
; TotalNumVgprs: 52
; ScratchSize: 0
; MemoryBound: 0
; FloatMode: 240
; IeeeMode: 1
; LDSByteSize: 4096 bytes/workgroup (compile time only)
; SGPRBlocks: 4
; VGPRBlocks: 6
; NumSGPRsForWavesPerEU: 33
; NumVGPRsForWavesPerEU: 52
; AccumOffset: 52
; Occupancy: 8
; WaveLimiterHint : 0
; COMPUTE_PGM_RSRC2:SCRATCH_EN: 0
; COMPUTE_PGM_RSRC2:USER_SGPR: 2
; COMPUTE_PGM_RSRC2:TRAP_HANDLER: 0
; COMPUTE_PGM_RSRC2:TGID_X_EN: 1
; COMPUTE_PGM_RSRC2:TGID_Y_EN: 1
; COMPUTE_PGM_RSRC2:TGID_Z_EN: 1
; COMPUTE_PGM_RSRC2:TIDIG_COMP_CNT: 1
; COMPUTE_PGM_RSRC3_GFX90A:ACCUM_OFFSET: 12
; COMPUTE_PGM_RSRC3_GFX90A:TG_SPLIT: 0
	.section	.text._ZL29rocblas_internal_gemmt_kernelIiLi16ELi32ELi8ELc67ELc84ELc85ELb0ELb0EdPKdS1_PdEviT_T9_T10_S3_lS5_S3_lS4_T11_S3_li,"axG",@progbits,_ZL29rocblas_internal_gemmt_kernelIiLi16ELi32ELi8ELc67ELc84ELc85ELb0ELb0EdPKdS1_PdEviT_T9_T10_S3_lS5_S3_lS4_T11_S3_li,comdat
	.globl	_ZL29rocblas_internal_gemmt_kernelIiLi16ELi32ELi8ELc67ELc84ELc85ELb0ELb0EdPKdS1_PdEviT_T9_T10_S3_lS5_S3_lS4_T11_S3_li ; -- Begin function _ZL29rocblas_internal_gemmt_kernelIiLi16ELi32ELi8ELc67ELc84ELc85ELb0ELb0EdPKdS1_PdEviT_T9_T10_S3_lS5_S3_lS4_T11_S3_li
	.p2align	8
	.type	_ZL29rocblas_internal_gemmt_kernelIiLi16ELi32ELi8ELc67ELc84ELc85ELb0ELb0EdPKdS1_PdEviT_T9_T10_S3_lS5_S3_lS4_T11_S3_li,@function
_ZL29rocblas_internal_gemmt_kernelIiLi16ELi32ELi8ELc67ELc84ELc85ELb0ELb0EdPKdS1_PdEviT_T9_T10_S3_lS5_S3_lS4_T11_S3_li: ; @_ZL29rocblas_internal_gemmt_kernelIiLi16ELi32ELi8ELc67ELc84ELc85ELb0ELb0EdPKdS1_PdEviT_T9_T10_S3_lS5_S3_lS4_T11_S3_li
; %bb.0:
	s_load_dwordx4 s[8:11], s[0:1], 0x38
	s_load_dwordx4 s[12:15], s[0:1], 0x8
	s_waitcnt lgkmcnt(0)
	s_load_dwordx2 s[20:21], s[10:11], 0x0
	s_load_dwordx2 s[24:25], s[0:1], 0x0
	s_load_dwordx2 s[22:23], s[12:13], 0x0
	s_waitcnt lgkmcnt(0)
	v_cmp_neq_f64_e64 s[6:7], s[20:21], 1.0
	s_and_b64 vcc, exec, s[6:7]
	s_cbranch_vccnz .LBB43_2
; %bb.1:
	s_cmp_lg_u32 s25, 0
	s_cselect_b64 s[6:7], -1, 0
	v_cmp_neq_f64_e64 s[10:11], s[22:23], 0
	s_and_b64 s[6:7], s[6:7], s[10:11]
.LBB43_2:
	s_andn2_b64 vcc, exec, s[6:7]
	s_cbranch_vccnz .LBB43_26
; %bb.3:
	s_load_dwordx2 s[10:11], s[0:1], 0x48
	s_lshl_b32 s5, s2, 5
	s_lshl_b32 s12, s3, 5
	s_cmp_lt_i32 s25, 1
	v_cmp_eq_f64_e64 s[2:3], s[22:23], 0
	s_cselect_b64 s[6:7], -1, 0
	s_or_b64 s[2:3], s[2:3], s[6:7]
	v_and_b32_e32 v13, 0x3ff, v0
	v_bfe_u32 v12, v0, 10, 10
	s_mov_b32 s13, 0
	v_mov_b64_e32 v[6:7], 0
	s_and_b64 vcc, exec, s[2:3]
	v_mov_b64_e32 v[4:5], 0
	v_mov_b64_e32 v[2:3], 0
	;; [unrolled: 1-line block ×3, first 2 shown]
	s_cbranch_vccnz .LBB43_10
; %bb.4:
	v_lshl_add_u32 v1, v12, 4, v13
	v_and_b32_e32 v3, 31, v1
	v_lshrrev_b32_e32 v15, 5, v1
	v_lshrrev_b32_e32 v2, 3, v1
	v_or_b32_e32 v1, s5, v3
	s_load_dword s26, s[0:1], 0x18
	s_load_dword s6, s[0:1], 0x30
	s_load_dwordx4 s[16:19], s[0:1], 0x20
	v_and_b32_e32 v14, 7, v13
	v_cmp_gt_i32_e32 vcc, s24, v1
	v_lshlrev_b32_e32 v1, 3, v3
	v_lshl_or_b32 v16, v15, 8, v1
	v_lshlrev_b32_e32 v1, 3, v14
	v_add_u32_e32 v0, s12, v2
	v_lshl_or_b32 v1, v2, 6, v1
	v_mov_b32_e32 v2, 0x800
	v_lshl_add_u32 v19, v12, 6, v2
	v_add_u32_e32 v2, s5, v3
	s_waitcnt lgkmcnt(0)
	v_mad_i64_i32 v[2:3], s[26:27], s26, v2, 0
	s_mul_i32 s17, s17, s4
	s_mul_hi_u32 s26, s16, s4
	s_add_i32 s17, s26, s17
	s_mul_i32 s16, s16, s4
	s_lshl_b64 s[16:17], s[16:17], 3
	v_lshl_add_u64 v[2:3], v[2:3], 3, s[16:17]
	v_lshlrev_b32_e32 v4, 3, v15
	v_mov_b32_e32 v5, 0
	v_lshl_add_u64 v[2:3], v[2:3], 0, v[4:5]
	v_lshl_add_u64 v[8:9], s[14:15], 0, v[2:3]
	s_mul_i32 s9, s9, s4
	s_mul_hi_u32 s14, s8, s4
	s_add_i32 s9, s14, s9
	v_mad_i64_i32 v[2:3], s[14:15], s6, v14, 0
	s_mul_i32 s8, s8, s4
	v_lshlrev_b64 v[2:3], 3, v[2:3]
	v_add_u32_e32 v17, 0x800, v1
	v_ashrrev_i32_e32 v1, 31, v0
	v_lshl_add_u64 v[2:3], s[8:9], 3, v[2:3]
	s_ashr_i32 s7, s6, 31
	v_cmp_gt_i32_e64 s[2:3], s24, v0
	v_lshl_add_u64 v[0:1], v[0:1], 3, v[2:3]
	v_lshlrev_b32_e32 v18, 3, v13
	v_lshl_add_u64 v[10:11], s[18:19], 0, v[0:1]
	s_lshl_b64 s[8:9], s[6:7], 6
	v_mov_b64_e32 v[0:1], 0
	v_mov_b64_e32 v[2:3], 0
	;; [unrolled: 1-line block ×4, first 2 shown]
	s_branch .LBB43_6
.LBB43_5:                               ;   in Loop: Header=BB43_6 Depth=1
	s_or_b64 exec, exec, s[6:7]
	s_waitcnt vmcnt(0)
	ds_write_b64 v17, v[20:21]
	s_waitcnt lgkmcnt(0)
	s_barrier
	ds_read2_b64 v[20:23], v18 offset1:16
	ds_read_b128 v[24:27], v19
	ds_read_b128 v[28:31], v19 offset:16
	ds_read_b128 v[32:35], v19 offset:32
	;; [unrolled: 1-line block ×4, first 2 shown]
	ds_read2_b64 v[44:47], v18 offset0:32 offset1:48
	s_waitcnt lgkmcnt(5)
	v_fmac_f64_e32 v[6:7], v[20:21], v[24:25]
	v_fmac_f64_e32 v[4:5], v[22:23], v[24:25]
	ds_read_b128 v[48:51], v19 offset:1040
	s_waitcnt lgkmcnt(2)
	v_fmac_f64_e32 v[2:3], v[20:21], v[40:41]
	v_fmac_f64_e32 v[0:1], v[22:23], v[40:41]
	ds_read2_b64 v[20:23], v18 offset0:64 offset1:80
	s_waitcnt lgkmcnt(2)
	v_fmac_f64_e32 v[6:7], v[44:45], v[26:27]
	v_fmac_f64_e32 v[4:5], v[46:47], v[26:27]
	ds_read2_b64 v[24:27], v18 offset0:96 offset1:112
	v_fmac_f64_e32 v[2:3], v[44:45], v[42:43]
	v_fmac_f64_e32 v[0:1], v[46:47], v[42:43]
	s_waitcnt lgkmcnt(1)
	v_fmac_f64_e32 v[6:7], v[20:21], v[28:29]
	v_fmac_f64_e32 v[4:5], v[22:23], v[28:29]
	ds_read_b128 v[40:43], v19 offset:1072
	v_fmac_f64_e32 v[2:3], v[20:21], v[48:49]
	v_fmac_f64_e32 v[0:1], v[22:23], v[48:49]
	s_waitcnt lgkmcnt(1)
	v_fmac_f64_e32 v[6:7], v[24:25], v[30:31]
	ds_read2_b64 v[20:23], v18 offset0:128 offset1:144
	v_fmac_f64_e32 v[4:5], v[26:27], v[30:31]
	v_fmac_f64_e32 v[2:3], v[24:25], v[50:51]
	v_fmac_f64_e32 v[0:1], v[26:27], v[50:51]
	ds_read_b128 v[24:27], v19 offset:1056
	ds_read2_b64 v[28:31], v18 offset0:160 offset1:176
	s_waitcnt lgkmcnt(2)
	v_fmac_f64_e32 v[6:7], v[20:21], v[32:33]
	v_fmac_f64_e32 v[4:5], v[22:23], v[32:33]
	s_add_i32 s13, s13, 8
	s_waitcnt lgkmcnt(1)
	v_fmac_f64_e32 v[2:3], v[20:21], v[24:25]
	v_fmac_f64_e32 v[0:1], v[22:23], v[24:25]
	ds_read2_b64 v[20:23], v18 offset0:192 offset1:208
	s_waitcnt lgkmcnt(1)
	v_fmac_f64_e32 v[2:3], v[28:29], v[26:27]
	v_fmac_f64_e32 v[0:1], v[30:31], v[26:27]
	ds_read2_b64 v[24:27], v18 offset0:224 offset1:240
	v_fmac_f64_e32 v[6:7], v[28:29], v[34:35]
	v_fmac_f64_e32 v[4:5], v[30:31], v[34:35]
	s_waitcnt lgkmcnt(1)
	v_fmac_f64_e32 v[6:7], v[20:21], v[36:37]
	v_fmac_f64_e32 v[4:5], v[22:23], v[36:37]
	;; [unrolled: 1-line block ×4, first 2 shown]
	s_waitcnt lgkmcnt(0)
	v_fmac_f64_e32 v[6:7], v[24:25], v[38:39]
	v_fmac_f64_e32 v[4:5], v[26:27], v[38:39]
	;; [unrolled: 1-line block ×4, first 2 shown]
	v_lshl_add_u64 v[8:9], v[8:9], 0, 64
	s_cmp_lt_i32 s13, s25
	v_lshl_add_u64 v[10:11], v[10:11], 0, s[8:9]
	s_barrier
	s_cbranch_scc0 .LBB43_10
.LBB43_6:                               ; =>This Inner Loop Header: Depth=1
	v_add_u32_e32 v20, s13, v15
	v_cmp_gt_i32_e64 s[6:7], s25, v20
	s_and_b64 s[14:15], vcc, s[6:7]
	v_mov_b64_e32 v[20:21], 0
	s_and_saveexec_b64 s[6:7], s[14:15]
	s_cbranch_execz .LBB43_8
; %bb.7:                                ;   in Loop: Header=BB43_6 Depth=1
	global_load_dwordx2 v[20:21], v[8:9], off
.LBB43_8:                               ;   in Loop: Header=BB43_6 Depth=1
	s_or_b64 exec, exec, s[6:7]
	s_waitcnt vmcnt(0)
	ds_write_b64 v16, v[20:21]
	v_add_u32_e32 v20, s13, v14
	v_cmp_gt_i32_e64 s[6:7], s25, v20
	s_and_b64 s[14:15], s[6:7], s[2:3]
	v_mov_b64_e32 v[20:21], 0
	s_and_saveexec_b64 s[6:7], s[14:15]
	s_cbranch_execz .LBB43_5
; %bb.9:                                ;   in Loop: Header=BB43_6 Depth=1
	global_load_dwordx2 v[20:21], v[10:11], off
	s_branch .LBB43_5
.LBB43_10:
	s_load_dwordx2 s[2:3], s[0:1], 0x58
	s_load_dword s8, s[0:1], 0x50
	v_add_u32_e32 v14, s12, v12
	v_add_u32_e32 v8, s5, v13
	v_cmp_le_i32_e32 vcc, v8, v14
	s_waitcnt lgkmcnt(0)
	s_mul_i32 s1, s3, s4
	s_mul_hi_u32 s3, s2, s4
	s_mul_i32 s0, s2, s4
	s_add_i32 s1, s3, s1
	s_lshl_b64 s[0:1], s[0:1], 3
	s_add_u32 s4, s10, s0
	s_addc_u32 s5, s11, s1
	v_mad_i64_i32 v[10:11], s[0:1], v14, s8, 0
	v_cmp_neq_f64_e64 s[0:1], s[20:21], 0
	v_cmp_gt_i32_e64 s[2:3], s24, v14
	v_lshl_add_u64 v[10:11], v[10:11], 3, s[4:5]
	v_cndmask_b32_e64 v12, 0, 1, s[0:1]
	s_and_b64 s[10:11], s[2:3], vcc
	v_ashrrev_i32_e32 v9, 31, v8
	v_cmp_ne_u32_e64 s[0:1], 1, v12
	s_and_saveexec_b64 s[6:7], s[10:11]
	s_cbranch_execz .LBB43_14
; %bb.11:
	v_mul_f64 v[6:7], s[22:23], v[6:7]
	s_and_b64 vcc, exec, s[0:1]
	v_lshl_add_u64 v[12:13], v[8:9], 3, v[10:11]
	s_cbranch_vccnz .LBB43_13
; %bb.12:
	global_load_dwordx2 v[16:17], v[12:13], off
	s_waitcnt vmcnt(0)
	v_fmac_f64_e32 v[6:7], s[20:21], v[16:17]
.LBB43_13:
	global_store_dwordx2 v[12:13], v[6:7], off
.LBB43_14:
	s_or_b64 exec, exec, s[6:7]
	v_add_u32_e32 v6, 16, v8
	v_cmp_le_i32_e32 vcc, v6, v14
	s_and_b64 s[6:7], s[2:3], vcc
	v_ashrrev_i32_e32 v7, 31, v6
	s_and_saveexec_b64 s[2:3], s[6:7]
	s_cbranch_execz .LBB43_18
; %bb.15:
	v_mul_f64 v[4:5], s[22:23], v[4:5]
	s_and_b64 vcc, exec, s[0:1]
	v_lshl_add_u64 v[10:11], v[6:7], 3, v[10:11]
	s_cbranch_vccnz .LBB43_17
; %bb.16:
	global_load_dwordx2 v[12:13], v[10:11], off
	s_waitcnt vmcnt(0)
	v_fmac_f64_e32 v[4:5], s[20:21], v[12:13]
.LBB43_17:
	global_store_dwordx2 v[10:11], v[4:5], off
.LBB43_18:
	s_or_b64 exec, exec, s[2:3]
	v_add_u32_e32 v10, 16, v14
	v_cmp_gt_i32_e64 s[2:3], s24, v10
	v_mad_i64_i32 v[4:5], s[6:7], v10, s8, 0
	v_cmp_le_i32_e32 vcc, v8, v10
	v_lshl_add_u64 v[4:5], v[4:5], 3, s[4:5]
	s_and_b64 s[6:7], s[2:3], vcc
	s_and_saveexec_b64 s[4:5], s[6:7]
	s_cbranch_execz .LBB43_22
; %bb.19:
	v_mul_f64 v[2:3], s[22:23], v[2:3]
	s_and_b64 vcc, exec, s[0:1]
	v_lshl_add_u64 v[8:9], v[8:9], 3, v[4:5]
	s_cbranch_vccnz .LBB43_21
; %bb.20:
	global_load_dwordx2 v[12:13], v[8:9], off
	s_waitcnt vmcnt(0)
	v_fmac_f64_e32 v[2:3], s[20:21], v[12:13]
.LBB43_21:
	global_store_dwordx2 v[8:9], v[2:3], off
.LBB43_22:
	s_or_b64 exec, exec, s[4:5]
	v_cmp_le_i32_e32 vcc, v6, v10
	s_and_b64 s[2:3], s[2:3], vcc
	s_and_saveexec_b64 s[4:5], s[2:3]
	s_cbranch_execz .LBB43_26
; %bb.23:
	v_mul_f64 v[0:1], s[22:23], v[0:1]
	s_and_b64 vcc, exec, s[0:1]
	v_lshl_add_u64 v[2:3], v[6:7], 3, v[4:5]
	s_cbranch_vccnz .LBB43_25
; %bb.24:
	global_load_dwordx2 v[4:5], v[2:3], off
	s_waitcnt vmcnt(0)
	v_fmac_f64_e32 v[0:1], s[20:21], v[4:5]
.LBB43_25:
	global_store_dwordx2 v[2:3], v[0:1], off
.LBB43_26:
	s_endpgm
	.section	.rodata,"a",@progbits
	.p2align	6, 0x0
	.amdhsa_kernel _ZL29rocblas_internal_gemmt_kernelIiLi16ELi32ELi8ELc67ELc84ELc85ELb0ELb0EdPKdS1_PdEviT_T9_T10_S3_lS5_S3_lS4_T11_S3_li
		.amdhsa_group_segment_fixed_size 4096
		.amdhsa_private_segment_fixed_size 0
		.amdhsa_kernarg_size 100
		.amdhsa_user_sgpr_count 2
		.amdhsa_user_sgpr_dispatch_ptr 0
		.amdhsa_user_sgpr_queue_ptr 0
		.amdhsa_user_sgpr_kernarg_segment_ptr 1
		.amdhsa_user_sgpr_dispatch_id 0
		.amdhsa_user_sgpr_kernarg_preload_length 0
		.amdhsa_user_sgpr_kernarg_preload_offset 0
		.amdhsa_user_sgpr_private_segment_size 0
		.amdhsa_uses_dynamic_stack 0
		.amdhsa_enable_private_segment 0
		.amdhsa_system_sgpr_workgroup_id_x 1
		.amdhsa_system_sgpr_workgroup_id_y 1
		.amdhsa_system_sgpr_workgroup_id_z 1
		.amdhsa_system_sgpr_workgroup_info 0
		.amdhsa_system_vgpr_workitem_id 1
		.amdhsa_next_free_vgpr 52
		.amdhsa_next_free_sgpr 28
		.amdhsa_accum_offset 52
		.amdhsa_reserve_vcc 1
		.amdhsa_float_round_mode_32 0
		.amdhsa_float_round_mode_16_64 0
		.amdhsa_float_denorm_mode_32 3
		.amdhsa_float_denorm_mode_16_64 3
		.amdhsa_dx10_clamp 1
		.amdhsa_ieee_mode 1
		.amdhsa_fp16_overflow 0
		.amdhsa_tg_split 0
		.amdhsa_exception_fp_ieee_invalid_op 0
		.amdhsa_exception_fp_denorm_src 0
		.amdhsa_exception_fp_ieee_div_zero 0
		.amdhsa_exception_fp_ieee_overflow 0
		.amdhsa_exception_fp_ieee_underflow 0
		.amdhsa_exception_fp_ieee_inexact 0
		.amdhsa_exception_int_div_zero 0
	.end_amdhsa_kernel
	.section	.text._ZL29rocblas_internal_gemmt_kernelIiLi16ELi32ELi8ELc67ELc84ELc85ELb0ELb0EdPKdS1_PdEviT_T9_T10_S3_lS5_S3_lS4_T11_S3_li,"axG",@progbits,_ZL29rocblas_internal_gemmt_kernelIiLi16ELi32ELi8ELc67ELc84ELc85ELb0ELb0EdPKdS1_PdEviT_T9_T10_S3_lS5_S3_lS4_T11_S3_li,comdat
.Lfunc_end43:
	.size	_ZL29rocblas_internal_gemmt_kernelIiLi16ELi32ELi8ELc67ELc84ELc85ELb0ELb0EdPKdS1_PdEviT_T9_T10_S3_lS5_S3_lS4_T11_S3_li, .Lfunc_end43-_ZL29rocblas_internal_gemmt_kernelIiLi16ELi32ELi8ELc67ELc84ELc85ELb0ELb0EdPKdS1_PdEviT_T9_T10_S3_lS5_S3_lS4_T11_S3_li
                                        ; -- End function
	.set _ZL29rocblas_internal_gemmt_kernelIiLi16ELi32ELi8ELc67ELc84ELc85ELb0ELb0EdPKdS1_PdEviT_T9_T10_S3_lS5_S3_lS4_T11_S3_li.num_vgpr, 52
	.set _ZL29rocblas_internal_gemmt_kernelIiLi16ELi32ELi8ELc67ELc84ELc85ELb0ELb0EdPKdS1_PdEviT_T9_T10_S3_lS5_S3_lS4_T11_S3_li.num_agpr, 0
	.set _ZL29rocblas_internal_gemmt_kernelIiLi16ELi32ELi8ELc67ELc84ELc85ELb0ELb0EdPKdS1_PdEviT_T9_T10_S3_lS5_S3_lS4_T11_S3_li.numbered_sgpr, 28
	.set _ZL29rocblas_internal_gemmt_kernelIiLi16ELi32ELi8ELc67ELc84ELc85ELb0ELb0EdPKdS1_PdEviT_T9_T10_S3_lS5_S3_lS4_T11_S3_li.num_named_barrier, 0
	.set _ZL29rocblas_internal_gemmt_kernelIiLi16ELi32ELi8ELc67ELc84ELc85ELb0ELb0EdPKdS1_PdEviT_T9_T10_S3_lS5_S3_lS4_T11_S3_li.private_seg_size, 0
	.set _ZL29rocblas_internal_gemmt_kernelIiLi16ELi32ELi8ELc67ELc84ELc85ELb0ELb0EdPKdS1_PdEviT_T9_T10_S3_lS5_S3_lS4_T11_S3_li.uses_vcc, 1
	.set _ZL29rocblas_internal_gemmt_kernelIiLi16ELi32ELi8ELc67ELc84ELc85ELb0ELb0EdPKdS1_PdEviT_T9_T10_S3_lS5_S3_lS4_T11_S3_li.uses_flat_scratch, 0
	.set _ZL29rocblas_internal_gemmt_kernelIiLi16ELi32ELi8ELc67ELc84ELc85ELb0ELb0EdPKdS1_PdEviT_T9_T10_S3_lS5_S3_lS4_T11_S3_li.has_dyn_sized_stack, 0
	.set _ZL29rocblas_internal_gemmt_kernelIiLi16ELi32ELi8ELc67ELc84ELc85ELb0ELb0EdPKdS1_PdEviT_T9_T10_S3_lS5_S3_lS4_T11_S3_li.has_recursion, 0
	.set _ZL29rocblas_internal_gemmt_kernelIiLi16ELi32ELi8ELc67ELc84ELc85ELb0ELb0EdPKdS1_PdEviT_T9_T10_S3_lS5_S3_lS4_T11_S3_li.has_indirect_call, 0
	.section	.AMDGPU.csdata,"",@progbits
; Kernel info:
; codeLenInByte = 1308
; TotalNumSgprs: 34
; NumVgprs: 52
; NumAgprs: 0
; TotalNumVgprs: 52
; ScratchSize: 0
; MemoryBound: 0
; FloatMode: 240
; IeeeMode: 1
; LDSByteSize: 4096 bytes/workgroup (compile time only)
; SGPRBlocks: 4
; VGPRBlocks: 6
; NumSGPRsForWavesPerEU: 34
; NumVGPRsForWavesPerEU: 52
; AccumOffset: 52
; Occupancy: 8
; WaveLimiterHint : 0
; COMPUTE_PGM_RSRC2:SCRATCH_EN: 0
; COMPUTE_PGM_RSRC2:USER_SGPR: 2
; COMPUTE_PGM_RSRC2:TRAP_HANDLER: 0
; COMPUTE_PGM_RSRC2:TGID_X_EN: 1
; COMPUTE_PGM_RSRC2:TGID_Y_EN: 1
; COMPUTE_PGM_RSRC2:TGID_Z_EN: 1
; COMPUTE_PGM_RSRC2:TIDIG_COMP_CNT: 1
; COMPUTE_PGM_RSRC3_GFX90A:ACCUM_OFFSET: 12
; COMPUTE_PGM_RSRC3_GFX90A:TG_SPLIT: 0
	.section	.text._ZL29rocblas_internal_gemmt_kernelIiLi16ELi32ELi8ELc67ELc67ELc85ELb0ELb0EdPKdS1_PdEviT_T9_T10_S3_lS5_S3_lS4_T11_S3_li,"axG",@progbits,_ZL29rocblas_internal_gemmt_kernelIiLi16ELi32ELi8ELc67ELc67ELc85ELb0ELb0EdPKdS1_PdEviT_T9_T10_S3_lS5_S3_lS4_T11_S3_li,comdat
	.globl	_ZL29rocblas_internal_gemmt_kernelIiLi16ELi32ELi8ELc67ELc67ELc85ELb0ELb0EdPKdS1_PdEviT_T9_T10_S3_lS5_S3_lS4_T11_S3_li ; -- Begin function _ZL29rocblas_internal_gemmt_kernelIiLi16ELi32ELi8ELc67ELc67ELc85ELb0ELb0EdPKdS1_PdEviT_T9_T10_S3_lS5_S3_lS4_T11_S3_li
	.p2align	8
	.type	_ZL29rocblas_internal_gemmt_kernelIiLi16ELi32ELi8ELc67ELc67ELc85ELb0ELb0EdPKdS1_PdEviT_T9_T10_S3_lS5_S3_lS4_T11_S3_li,@function
_ZL29rocblas_internal_gemmt_kernelIiLi16ELi32ELi8ELc67ELc67ELc85ELb0ELb0EdPKdS1_PdEviT_T9_T10_S3_lS5_S3_lS4_T11_S3_li: ; @_ZL29rocblas_internal_gemmt_kernelIiLi16ELi32ELi8ELc67ELc67ELc85ELb0ELb0EdPKdS1_PdEviT_T9_T10_S3_lS5_S3_lS4_T11_S3_li
; %bb.0:
	s_load_dwordx4 s[8:11], s[0:1], 0x38
	s_load_dwordx4 s[12:15], s[0:1], 0x8
	s_waitcnt lgkmcnt(0)
	s_load_dwordx2 s[20:21], s[10:11], 0x0
	s_load_dwordx2 s[24:25], s[0:1], 0x0
	;; [unrolled: 1-line block ×3, first 2 shown]
	s_waitcnt lgkmcnt(0)
	v_cmp_neq_f64_e64 s[6:7], s[20:21], 1.0
	s_and_b64 vcc, exec, s[6:7]
	s_cbranch_vccnz .LBB44_2
; %bb.1:
	s_cmp_lg_u32 s25, 0
	s_cselect_b64 s[6:7], -1, 0
	v_cmp_neq_f64_e64 s[10:11], s[22:23], 0
	s_and_b64 s[6:7], s[6:7], s[10:11]
.LBB44_2:
	s_andn2_b64 vcc, exec, s[6:7]
	s_cbranch_vccnz .LBB44_26
; %bb.3:
	s_load_dwordx2 s[10:11], s[0:1], 0x48
	s_lshl_b32 s5, s2, 5
	s_lshl_b32 s12, s3, 5
	s_cmp_lt_i32 s25, 1
	v_cmp_eq_f64_e64 s[2:3], s[22:23], 0
	s_cselect_b64 s[6:7], -1, 0
	s_or_b64 s[2:3], s[2:3], s[6:7]
	v_and_b32_e32 v13, 0x3ff, v0
	v_bfe_u32 v12, v0, 10, 10
	s_mov_b32 s13, 0
	v_mov_b64_e32 v[6:7], 0
	s_and_b64 vcc, exec, s[2:3]
	v_mov_b64_e32 v[4:5], 0
	v_mov_b64_e32 v[2:3], 0
	;; [unrolled: 1-line block ×3, first 2 shown]
	s_cbranch_vccnz .LBB44_10
; %bb.4:
	v_lshl_add_u32 v1, v12, 4, v13
	v_and_b32_e32 v3, 31, v1
	v_lshrrev_b32_e32 v15, 5, v1
	v_lshrrev_b32_e32 v2, 3, v1
	v_or_b32_e32 v1, s5, v3
	s_load_dword s26, s[0:1], 0x18
	s_load_dword s6, s[0:1], 0x30
	s_load_dwordx4 s[16:19], s[0:1], 0x20
	v_and_b32_e32 v14, 7, v13
	v_cmp_gt_i32_e32 vcc, s24, v1
	v_lshlrev_b32_e32 v1, 3, v3
	v_lshl_or_b32 v16, v15, 8, v1
	v_lshlrev_b32_e32 v1, 3, v14
	v_add_u32_e32 v0, s12, v2
	v_lshl_or_b32 v1, v2, 6, v1
	v_mov_b32_e32 v2, 0x800
	v_lshl_add_u32 v19, v12, 6, v2
	v_add_u32_e32 v2, s5, v3
	s_waitcnt lgkmcnt(0)
	v_mad_i64_i32 v[2:3], s[26:27], s26, v2, 0
	s_mul_i32 s17, s17, s4
	s_mul_hi_u32 s26, s16, s4
	s_add_i32 s17, s26, s17
	s_mul_i32 s16, s16, s4
	s_lshl_b64 s[16:17], s[16:17], 3
	v_lshl_add_u64 v[2:3], v[2:3], 3, s[16:17]
	v_lshlrev_b32_e32 v4, 3, v15
	v_mov_b32_e32 v5, 0
	v_lshl_add_u64 v[2:3], v[2:3], 0, v[4:5]
	v_lshl_add_u64 v[8:9], s[14:15], 0, v[2:3]
	s_mul_i32 s9, s9, s4
	s_mul_hi_u32 s14, s8, s4
	s_add_i32 s9, s14, s9
	v_mad_i64_i32 v[2:3], s[14:15], s6, v14, 0
	s_mul_i32 s8, s8, s4
	v_lshlrev_b64 v[2:3], 3, v[2:3]
	v_add_u32_e32 v17, 0x800, v1
	v_ashrrev_i32_e32 v1, 31, v0
	v_lshl_add_u64 v[2:3], s[8:9], 3, v[2:3]
	s_ashr_i32 s7, s6, 31
	v_cmp_gt_i32_e64 s[2:3], s24, v0
	v_lshl_add_u64 v[0:1], v[0:1], 3, v[2:3]
	v_lshlrev_b32_e32 v18, 3, v13
	v_lshl_add_u64 v[10:11], s[18:19], 0, v[0:1]
	s_lshl_b64 s[8:9], s[6:7], 6
	v_mov_b64_e32 v[0:1], 0
	v_mov_b64_e32 v[2:3], 0
	;; [unrolled: 1-line block ×4, first 2 shown]
	s_branch .LBB44_6
.LBB44_5:                               ;   in Loop: Header=BB44_6 Depth=1
	s_or_b64 exec, exec, s[6:7]
	s_waitcnt vmcnt(0)
	ds_write_b64 v17, v[20:21]
	s_waitcnt lgkmcnt(0)
	s_barrier
	ds_read2_b64 v[20:23], v18 offset1:16
	ds_read_b128 v[24:27], v19
	ds_read_b128 v[28:31], v19 offset:16
	ds_read_b128 v[32:35], v19 offset:32
	;; [unrolled: 1-line block ×4, first 2 shown]
	ds_read2_b64 v[44:47], v18 offset0:32 offset1:48
	s_waitcnt lgkmcnt(5)
	v_fmac_f64_e32 v[6:7], v[20:21], v[24:25]
	v_fmac_f64_e32 v[4:5], v[22:23], v[24:25]
	ds_read_b128 v[48:51], v19 offset:1040
	s_waitcnt lgkmcnt(2)
	v_fmac_f64_e32 v[2:3], v[20:21], v[40:41]
	v_fmac_f64_e32 v[0:1], v[22:23], v[40:41]
	ds_read2_b64 v[20:23], v18 offset0:64 offset1:80
	s_waitcnt lgkmcnt(2)
	v_fmac_f64_e32 v[6:7], v[44:45], v[26:27]
	v_fmac_f64_e32 v[4:5], v[46:47], v[26:27]
	ds_read2_b64 v[24:27], v18 offset0:96 offset1:112
	v_fmac_f64_e32 v[2:3], v[44:45], v[42:43]
	v_fmac_f64_e32 v[0:1], v[46:47], v[42:43]
	s_waitcnt lgkmcnt(1)
	v_fmac_f64_e32 v[6:7], v[20:21], v[28:29]
	v_fmac_f64_e32 v[4:5], v[22:23], v[28:29]
	ds_read_b128 v[40:43], v19 offset:1072
	v_fmac_f64_e32 v[2:3], v[20:21], v[48:49]
	v_fmac_f64_e32 v[0:1], v[22:23], v[48:49]
	s_waitcnt lgkmcnt(1)
	v_fmac_f64_e32 v[6:7], v[24:25], v[30:31]
	ds_read2_b64 v[20:23], v18 offset0:128 offset1:144
	v_fmac_f64_e32 v[4:5], v[26:27], v[30:31]
	v_fmac_f64_e32 v[2:3], v[24:25], v[50:51]
	v_fmac_f64_e32 v[0:1], v[26:27], v[50:51]
	ds_read_b128 v[24:27], v19 offset:1056
	ds_read2_b64 v[28:31], v18 offset0:160 offset1:176
	s_waitcnt lgkmcnt(2)
	v_fmac_f64_e32 v[6:7], v[20:21], v[32:33]
	v_fmac_f64_e32 v[4:5], v[22:23], v[32:33]
	s_add_i32 s13, s13, 8
	s_waitcnt lgkmcnt(1)
	v_fmac_f64_e32 v[2:3], v[20:21], v[24:25]
	v_fmac_f64_e32 v[0:1], v[22:23], v[24:25]
	ds_read2_b64 v[20:23], v18 offset0:192 offset1:208
	s_waitcnt lgkmcnt(1)
	v_fmac_f64_e32 v[2:3], v[28:29], v[26:27]
	v_fmac_f64_e32 v[0:1], v[30:31], v[26:27]
	ds_read2_b64 v[24:27], v18 offset0:224 offset1:240
	v_fmac_f64_e32 v[6:7], v[28:29], v[34:35]
	v_fmac_f64_e32 v[4:5], v[30:31], v[34:35]
	s_waitcnt lgkmcnt(1)
	v_fmac_f64_e32 v[6:7], v[20:21], v[36:37]
	v_fmac_f64_e32 v[4:5], v[22:23], v[36:37]
	;; [unrolled: 1-line block ×4, first 2 shown]
	s_waitcnt lgkmcnt(0)
	v_fmac_f64_e32 v[6:7], v[24:25], v[38:39]
	v_fmac_f64_e32 v[4:5], v[26:27], v[38:39]
	;; [unrolled: 1-line block ×4, first 2 shown]
	v_lshl_add_u64 v[8:9], v[8:9], 0, 64
	s_cmp_lt_i32 s13, s25
	v_lshl_add_u64 v[10:11], v[10:11], 0, s[8:9]
	s_barrier
	s_cbranch_scc0 .LBB44_10
.LBB44_6:                               ; =>This Inner Loop Header: Depth=1
	v_add_u32_e32 v20, s13, v15
	v_cmp_gt_i32_e64 s[6:7], s25, v20
	s_and_b64 s[14:15], vcc, s[6:7]
	v_mov_b64_e32 v[20:21], 0
	s_and_saveexec_b64 s[6:7], s[14:15]
	s_cbranch_execz .LBB44_8
; %bb.7:                                ;   in Loop: Header=BB44_6 Depth=1
	global_load_dwordx2 v[20:21], v[8:9], off
.LBB44_8:                               ;   in Loop: Header=BB44_6 Depth=1
	s_or_b64 exec, exec, s[6:7]
	s_waitcnt vmcnt(0)
	ds_write_b64 v16, v[20:21]
	v_add_u32_e32 v20, s13, v14
	v_cmp_gt_i32_e64 s[6:7], s25, v20
	s_and_b64 s[14:15], s[6:7], s[2:3]
	v_mov_b64_e32 v[20:21], 0
	s_and_saveexec_b64 s[6:7], s[14:15]
	s_cbranch_execz .LBB44_5
; %bb.9:                                ;   in Loop: Header=BB44_6 Depth=1
	global_load_dwordx2 v[20:21], v[10:11], off
	s_branch .LBB44_5
.LBB44_10:
	s_load_dwordx2 s[2:3], s[0:1], 0x58
	s_load_dword s8, s[0:1], 0x50
	v_add_u32_e32 v14, s12, v12
	v_add_u32_e32 v8, s5, v13
	v_cmp_le_i32_e32 vcc, v8, v14
	s_waitcnt lgkmcnt(0)
	s_mul_i32 s1, s3, s4
	s_mul_hi_u32 s3, s2, s4
	s_mul_i32 s0, s2, s4
	s_add_i32 s1, s3, s1
	s_lshl_b64 s[0:1], s[0:1], 3
	s_add_u32 s4, s10, s0
	s_addc_u32 s5, s11, s1
	v_mad_i64_i32 v[10:11], s[0:1], v14, s8, 0
	v_cmp_neq_f64_e64 s[0:1], s[20:21], 0
	v_cmp_gt_i32_e64 s[2:3], s24, v14
	v_lshl_add_u64 v[10:11], v[10:11], 3, s[4:5]
	v_cndmask_b32_e64 v12, 0, 1, s[0:1]
	s_and_b64 s[10:11], s[2:3], vcc
	v_ashrrev_i32_e32 v9, 31, v8
	v_cmp_ne_u32_e64 s[0:1], 1, v12
	s_and_saveexec_b64 s[6:7], s[10:11]
	s_cbranch_execz .LBB44_14
; %bb.11:
	v_mul_f64 v[6:7], s[22:23], v[6:7]
	s_and_b64 vcc, exec, s[0:1]
	v_lshl_add_u64 v[12:13], v[8:9], 3, v[10:11]
	s_cbranch_vccnz .LBB44_13
; %bb.12:
	global_load_dwordx2 v[16:17], v[12:13], off
	s_waitcnt vmcnt(0)
	v_fmac_f64_e32 v[6:7], s[20:21], v[16:17]
.LBB44_13:
	global_store_dwordx2 v[12:13], v[6:7], off
.LBB44_14:
	s_or_b64 exec, exec, s[6:7]
	v_add_u32_e32 v6, 16, v8
	v_cmp_le_i32_e32 vcc, v6, v14
	s_and_b64 s[6:7], s[2:3], vcc
	v_ashrrev_i32_e32 v7, 31, v6
	s_and_saveexec_b64 s[2:3], s[6:7]
	s_cbranch_execz .LBB44_18
; %bb.15:
	v_mul_f64 v[4:5], s[22:23], v[4:5]
	s_and_b64 vcc, exec, s[0:1]
	v_lshl_add_u64 v[10:11], v[6:7], 3, v[10:11]
	s_cbranch_vccnz .LBB44_17
; %bb.16:
	global_load_dwordx2 v[12:13], v[10:11], off
	s_waitcnt vmcnt(0)
	v_fmac_f64_e32 v[4:5], s[20:21], v[12:13]
.LBB44_17:
	global_store_dwordx2 v[10:11], v[4:5], off
.LBB44_18:
	s_or_b64 exec, exec, s[2:3]
	v_add_u32_e32 v10, 16, v14
	v_cmp_gt_i32_e64 s[2:3], s24, v10
	v_mad_i64_i32 v[4:5], s[6:7], v10, s8, 0
	v_cmp_le_i32_e32 vcc, v8, v10
	v_lshl_add_u64 v[4:5], v[4:5], 3, s[4:5]
	s_and_b64 s[6:7], s[2:3], vcc
	s_and_saveexec_b64 s[4:5], s[6:7]
	s_cbranch_execz .LBB44_22
; %bb.19:
	v_mul_f64 v[2:3], s[22:23], v[2:3]
	s_and_b64 vcc, exec, s[0:1]
	v_lshl_add_u64 v[8:9], v[8:9], 3, v[4:5]
	s_cbranch_vccnz .LBB44_21
; %bb.20:
	global_load_dwordx2 v[12:13], v[8:9], off
	s_waitcnt vmcnt(0)
	v_fmac_f64_e32 v[2:3], s[20:21], v[12:13]
.LBB44_21:
	global_store_dwordx2 v[8:9], v[2:3], off
.LBB44_22:
	s_or_b64 exec, exec, s[4:5]
	v_cmp_le_i32_e32 vcc, v6, v10
	s_and_b64 s[2:3], s[2:3], vcc
	s_and_saveexec_b64 s[4:5], s[2:3]
	s_cbranch_execz .LBB44_26
; %bb.23:
	v_mul_f64 v[0:1], s[22:23], v[0:1]
	s_and_b64 vcc, exec, s[0:1]
	v_lshl_add_u64 v[2:3], v[6:7], 3, v[4:5]
	s_cbranch_vccnz .LBB44_25
; %bb.24:
	global_load_dwordx2 v[4:5], v[2:3], off
	s_waitcnt vmcnt(0)
	v_fmac_f64_e32 v[0:1], s[20:21], v[4:5]
.LBB44_25:
	global_store_dwordx2 v[2:3], v[0:1], off
.LBB44_26:
	s_endpgm
	.section	.rodata,"a",@progbits
	.p2align	6, 0x0
	.amdhsa_kernel _ZL29rocblas_internal_gemmt_kernelIiLi16ELi32ELi8ELc67ELc67ELc85ELb0ELb0EdPKdS1_PdEviT_T9_T10_S3_lS5_S3_lS4_T11_S3_li
		.amdhsa_group_segment_fixed_size 4096
		.amdhsa_private_segment_fixed_size 0
		.amdhsa_kernarg_size 100
		.amdhsa_user_sgpr_count 2
		.amdhsa_user_sgpr_dispatch_ptr 0
		.amdhsa_user_sgpr_queue_ptr 0
		.amdhsa_user_sgpr_kernarg_segment_ptr 1
		.amdhsa_user_sgpr_dispatch_id 0
		.amdhsa_user_sgpr_kernarg_preload_length 0
		.amdhsa_user_sgpr_kernarg_preload_offset 0
		.amdhsa_user_sgpr_private_segment_size 0
		.amdhsa_uses_dynamic_stack 0
		.amdhsa_enable_private_segment 0
		.amdhsa_system_sgpr_workgroup_id_x 1
		.amdhsa_system_sgpr_workgroup_id_y 1
		.amdhsa_system_sgpr_workgroup_id_z 1
		.amdhsa_system_sgpr_workgroup_info 0
		.amdhsa_system_vgpr_workitem_id 1
		.amdhsa_next_free_vgpr 52
		.amdhsa_next_free_sgpr 28
		.amdhsa_accum_offset 52
		.amdhsa_reserve_vcc 1
		.amdhsa_float_round_mode_32 0
		.amdhsa_float_round_mode_16_64 0
		.amdhsa_float_denorm_mode_32 3
		.amdhsa_float_denorm_mode_16_64 3
		.amdhsa_dx10_clamp 1
		.amdhsa_ieee_mode 1
		.amdhsa_fp16_overflow 0
		.amdhsa_tg_split 0
		.amdhsa_exception_fp_ieee_invalid_op 0
		.amdhsa_exception_fp_denorm_src 0
		.amdhsa_exception_fp_ieee_div_zero 0
		.amdhsa_exception_fp_ieee_overflow 0
		.amdhsa_exception_fp_ieee_underflow 0
		.amdhsa_exception_fp_ieee_inexact 0
		.amdhsa_exception_int_div_zero 0
	.end_amdhsa_kernel
	.section	.text._ZL29rocblas_internal_gemmt_kernelIiLi16ELi32ELi8ELc67ELc67ELc85ELb0ELb0EdPKdS1_PdEviT_T9_T10_S3_lS5_S3_lS4_T11_S3_li,"axG",@progbits,_ZL29rocblas_internal_gemmt_kernelIiLi16ELi32ELi8ELc67ELc67ELc85ELb0ELb0EdPKdS1_PdEviT_T9_T10_S3_lS5_S3_lS4_T11_S3_li,comdat
.Lfunc_end44:
	.size	_ZL29rocblas_internal_gemmt_kernelIiLi16ELi32ELi8ELc67ELc67ELc85ELb0ELb0EdPKdS1_PdEviT_T9_T10_S3_lS5_S3_lS4_T11_S3_li, .Lfunc_end44-_ZL29rocblas_internal_gemmt_kernelIiLi16ELi32ELi8ELc67ELc67ELc85ELb0ELb0EdPKdS1_PdEviT_T9_T10_S3_lS5_S3_lS4_T11_S3_li
                                        ; -- End function
	.set _ZL29rocblas_internal_gemmt_kernelIiLi16ELi32ELi8ELc67ELc67ELc85ELb0ELb0EdPKdS1_PdEviT_T9_T10_S3_lS5_S3_lS4_T11_S3_li.num_vgpr, 52
	.set _ZL29rocblas_internal_gemmt_kernelIiLi16ELi32ELi8ELc67ELc67ELc85ELb0ELb0EdPKdS1_PdEviT_T9_T10_S3_lS5_S3_lS4_T11_S3_li.num_agpr, 0
	.set _ZL29rocblas_internal_gemmt_kernelIiLi16ELi32ELi8ELc67ELc67ELc85ELb0ELb0EdPKdS1_PdEviT_T9_T10_S3_lS5_S3_lS4_T11_S3_li.numbered_sgpr, 28
	.set _ZL29rocblas_internal_gemmt_kernelIiLi16ELi32ELi8ELc67ELc67ELc85ELb0ELb0EdPKdS1_PdEviT_T9_T10_S3_lS5_S3_lS4_T11_S3_li.num_named_barrier, 0
	.set _ZL29rocblas_internal_gemmt_kernelIiLi16ELi32ELi8ELc67ELc67ELc85ELb0ELb0EdPKdS1_PdEviT_T9_T10_S3_lS5_S3_lS4_T11_S3_li.private_seg_size, 0
	.set _ZL29rocblas_internal_gemmt_kernelIiLi16ELi32ELi8ELc67ELc67ELc85ELb0ELb0EdPKdS1_PdEviT_T9_T10_S3_lS5_S3_lS4_T11_S3_li.uses_vcc, 1
	.set _ZL29rocblas_internal_gemmt_kernelIiLi16ELi32ELi8ELc67ELc67ELc85ELb0ELb0EdPKdS1_PdEviT_T9_T10_S3_lS5_S3_lS4_T11_S3_li.uses_flat_scratch, 0
	.set _ZL29rocblas_internal_gemmt_kernelIiLi16ELi32ELi8ELc67ELc67ELc85ELb0ELb0EdPKdS1_PdEviT_T9_T10_S3_lS5_S3_lS4_T11_S3_li.has_dyn_sized_stack, 0
	.set _ZL29rocblas_internal_gemmt_kernelIiLi16ELi32ELi8ELc67ELc67ELc85ELb0ELb0EdPKdS1_PdEviT_T9_T10_S3_lS5_S3_lS4_T11_S3_li.has_recursion, 0
	.set _ZL29rocblas_internal_gemmt_kernelIiLi16ELi32ELi8ELc67ELc67ELc85ELb0ELb0EdPKdS1_PdEviT_T9_T10_S3_lS5_S3_lS4_T11_S3_li.has_indirect_call, 0
	.section	.AMDGPU.csdata,"",@progbits
; Kernel info:
; codeLenInByte = 1308
; TotalNumSgprs: 34
; NumVgprs: 52
; NumAgprs: 0
; TotalNumVgprs: 52
; ScratchSize: 0
; MemoryBound: 0
; FloatMode: 240
; IeeeMode: 1
; LDSByteSize: 4096 bytes/workgroup (compile time only)
; SGPRBlocks: 4
; VGPRBlocks: 6
; NumSGPRsForWavesPerEU: 34
; NumVGPRsForWavesPerEU: 52
; AccumOffset: 52
; Occupancy: 8
; WaveLimiterHint : 0
; COMPUTE_PGM_RSRC2:SCRATCH_EN: 0
; COMPUTE_PGM_RSRC2:USER_SGPR: 2
; COMPUTE_PGM_RSRC2:TRAP_HANDLER: 0
; COMPUTE_PGM_RSRC2:TGID_X_EN: 1
; COMPUTE_PGM_RSRC2:TGID_Y_EN: 1
; COMPUTE_PGM_RSRC2:TGID_Z_EN: 1
; COMPUTE_PGM_RSRC2:TIDIG_COMP_CNT: 1
; COMPUTE_PGM_RSRC3_GFX90A:ACCUM_OFFSET: 12
; COMPUTE_PGM_RSRC3_GFX90A:TG_SPLIT: 0
	.section	.text._ZL29rocblas_internal_gemmt_kernelIiLi16ELi32ELi8ELc78ELc78ELc76ELb0ELb0EdPKdS1_PdEviT_T9_T10_S3_lS5_S3_lS4_T11_S3_li,"axG",@progbits,_ZL29rocblas_internal_gemmt_kernelIiLi16ELi32ELi8ELc78ELc78ELc76ELb0ELb0EdPKdS1_PdEviT_T9_T10_S3_lS5_S3_lS4_T11_S3_li,comdat
	.globl	_ZL29rocblas_internal_gemmt_kernelIiLi16ELi32ELi8ELc78ELc78ELc76ELb0ELb0EdPKdS1_PdEviT_T9_T10_S3_lS5_S3_lS4_T11_S3_li ; -- Begin function _ZL29rocblas_internal_gemmt_kernelIiLi16ELi32ELi8ELc78ELc78ELc76ELb0ELb0EdPKdS1_PdEviT_T9_T10_S3_lS5_S3_lS4_T11_S3_li
	.p2align	8
	.type	_ZL29rocblas_internal_gemmt_kernelIiLi16ELi32ELi8ELc78ELc78ELc76ELb0ELb0EdPKdS1_PdEviT_T9_T10_S3_lS5_S3_lS4_T11_S3_li,@function
_ZL29rocblas_internal_gemmt_kernelIiLi16ELi32ELi8ELc78ELc78ELc76ELb0ELb0EdPKdS1_PdEviT_T9_T10_S3_lS5_S3_lS4_T11_S3_li: ; @_ZL29rocblas_internal_gemmt_kernelIiLi16ELi32ELi8ELc78ELc78ELc76ELb0ELb0EdPKdS1_PdEviT_T9_T10_S3_lS5_S3_lS4_T11_S3_li
; %bb.0:
	s_load_dwordx4 s[8:11], s[0:1], 0x38
	s_load_dwordx4 s[12:15], s[0:1], 0x8
	s_waitcnt lgkmcnt(0)
	s_load_dwordx2 s[20:21], s[10:11], 0x0
	s_load_dwordx2 s[24:25], s[0:1], 0x0
	s_load_dwordx2 s[22:23], s[12:13], 0x0
	s_waitcnt lgkmcnt(0)
	v_cmp_neq_f64_e64 s[6:7], s[20:21], 1.0
	s_and_b64 vcc, exec, s[6:7]
	s_cbranch_vccnz .LBB45_2
; %bb.1:
	s_cmp_lg_u32 s25, 0
	s_cselect_b64 s[6:7], -1, 0
	v_cmp_neq_f64_e64 s[10:11], s[22:23], 0
	s_and_b64 s[6:7], s[6:7], s[10:11]
.LBB45_2:
	s_andn2_b64 vcc, exec, s[6:7]
	s_cbranch_vccnz .LBB45_26
; %bb.3:
	s_load_dwordx2 s[10:11], s[0:1], 0x48
	s_lshl_b32 s26, s2, 5
	s_lshl_b32 s5, s3, 5
	s_cmp_lt_i32 s25, 1
	v_cmp_eq_f64_e64 s[2:3], s[22:23], 0
	s_cselect_b64 s[6:7], -1, 0
	s_or_b64 s[2:3], s[2:3], s[6:7]
	v_and_b32_e32 v13, 0x3ff, v0
	v_bfe_u32 v12, v0, 10, 10
	s_mov_b32 s27, 0
	v_mov_b64_e32 v[6:7], 0
	s_and_b64 vcc, exec, s[2:3]
	v_mov_b64_e32 v[4:5], 0
	v_mov_b64_e32 v[2:3], 0
	;; [unrolled: 1-line block ×3, first 2 shown]
	s_cbranch_vccnz .LBB45_10
; %bb.4:
	s_load_dword s6, s[0:1], 0x18
	s_load_dwordx4 s[16:19], s[0:1], 0x20
	s_load_dword s28, s[0:1], 0x30
	v_lshl_add_u32 v0, v12, 4, v13
	v_lshrrev_b32_e32 v15, 5, v0
	v_and_b32_e32 v4, 31, v0
	s_waitcnt lgkmcnt(0)
	v_mad_i64_i32 v[2:3], s[12:13], v15, s6, 0
	s_mul_i32 s12, s17, s4
	s_mul_hi_u32 s13, s16, s4
	v_lshrrev_b32_e32 v1, 3, v0
	v_or_b32_e32 v0, s26, v4
	s_add_i32 s13, s13, s12
	s_mul_i32 s12, s16, s4
	v_cmp_gt_i32_e32 vcc, s24, v0
	v_lshlrev_b32_e32 v0, 3, v4
	s_lshl_b64 s[12:13], s[12:13], 3
	v_add_u32_e32 v4, s26, v4
	v_lshl_add_u64 v[2:3], v[2:3], 3, s[12:13]
	v_ashrrev_i32_e32 v5, 31, v4
	s_ashr_i32 s7, s6, 31
	v_add_u32_e32 v6, s5, v1
	v_lshl_add_u64 v[2:3], v[4:5], 3, v[2:3]
	v_and_b32_e32 v14, 7, v13
	v_lshl_add_u64 v[8:9], s[14:15], 0, v[2:3]
	s_lshl_b64 s[12:13], s[6:7], 6
	v_mad_i64_i32 v[2:3], s[6:7], s28, v6, 0
	v_lshl_or_b32 v16, v15, 8, v0
	v_lshlrev_b32_e32 v0, 3, v14
	s_mul_i32 s6, s9, s4
	s_mul_hi_u32 s7, s8, s4
	v_lshl_or_b32 v1, v1, 6, v0
	s_add_i32 s7, s7, s6
	s_mul_i32 s6, s8, s4
	v_add_u32_e32 v17, 0x800, v1
	v_mov_b32_e32 v1, 0x800
	s_lshl_b64 s[6:7], s[6:7], 3
	v_lshl_add_u32 v19, v12, 6, v1
	v_lshl_add_u64 v[2:3], v[2:3], 3, s[6:7]
	v_mov_b32_e32 v1, 0
	v_lshl_add_u64 v[0:1], v[2:3], 0, v[0:1]
	v_cmp_gt_i32_e64 s[2:3], s24, v6
	v_lshlrev_b32_e32 v18, 3, v13
	v_lshl_add_u64 v[10:11], s[18:19], 0, v[0:1]
	v_mov_b64_e32 v[0:1], 0
	v_mov_b64_e32 v[2:3], 0
	;; [unrolled: 1-line block ×4, first 2 shown]
	s_branch .LBB45_6
.LBB45_5:                               ;   in Loop: Header=BB45_6 Depth=1
	s_or_b64 exec, exec, s[6:7]
	s_waitcnt vmcnt(0)
	ds_write_b64 v17, v[20:21]
	s_waitcnt lgkmcnt(0)
	s_barrier
	ds_read2_b64 v[20:23], v18 offset1:16
	ds_read_b128 v[24:27], v19
	ds_read_b128 v[28:31], v19 offset:16
	ds_read_b128 v[32:35], v19 offset:32
	;; [unrolled: 1-line block ×4, first 2 shown]
	ds_read2_b64 v[44:47], v18 offset0:32 offset1:48
	s_waitcnt lgkmcnt(5)
	v_fmac_f64_e32 v[6:7], v[20:21], v[24:25]
	v_fmac_f64_e32 v[4:5], v[22:23], v[24:25]
	ds_read_b128 v[48:51], v19 offset:1040
	s_waitcnt lgkmcnt(2)
	v_fmac_f64_e32 v[2:3], v[20:21], v[40:41]
	v_fmac_f64_e32 v[0:1], v[22:23], v[40:41]
	ds_read2_b64 v[20:23], v18 offset0:64 offset1:80
	s_waitcnt lgkmcnt(2)
	v_fmac_f64_e32 v[6:7], v[44:45], v[26:27]
	v_fmac_f64_e32 v[4:5], v[46:47], v[26:27]
	ds_read2_b64 v[24:27], v18 offset0:96 offset1:112
	v_fmac_f64_e32 v[2:3], v[44:45], v[42:43]
	v_fmac_f64_e32 v[0:1], v[46:47], v[42:43]
	s_waitcnt lgkmcnt(1)
	v_fmac_f64_e32 v[6:7], v[20:21], v[28:29]
	v_fmac_f64_e32 v[4:5], v[22:23], v[28:29]
	ds_read_b128 v[40:43], v19 offset:1072
	v_fmac_f64_e32 v[2:3], v[20:21], v[48:49]
	v_fmac_f64_e32 v[0:1], v[22:23], v[48:49]
	s_waitcnt lgkmcnt(1)
	v_fmac_f64_e32 v[6:7], v[24:25], v[30:31]
	ds_read2_b64 v[20:23], v18 offset0:128 offset1:144
	v_fmac_f64_e32 v[4:5], v[26:27], v[30:31]
	v_fmac_f64_e32 v[2:3], v[24:25], v[50:51]
	;; [unrolled: 1-line block ×3, first 2 shown]
	ds_read_b128 v[24:27], v19 offset:1056
	ds_read2_b64 v[28:31], v18 offset0:160 offset1:176
	s_waitcnt lgkmcnt(2)
	v_fmac_f64_e32 v[6:7], v[20:21], v[32:33]
	v_fmac_f64_e32 v[4:5], v[22:23], v[32:33]
	s_add_i32 s27, s27, 8
	s_waitcnt lgkmcnt(1)
	v_fmac_f64_e32 v[2:3], v[20:21], v[24:25]
	v_fmac_f64_e32 v[0:1], v[22:23], v[24:25]
	ds_read2_b64 v[20:23], v18 offset0:192 offset1:208
	s_waitcnt lgkmcnt(1)
	v_fmac_f64_e32 v[2:3], v[28:29], v[26:27]
	v_fmac_f64_e32 v[0:1], v[30:31], v[26:27]
	ds_read2_b64 v[24:27], v18 offset0:224 offset1:240
	v_fmac_f64_e32 v[6:7], v[28:29], v[34:35]
	v_fmac_f64_e32 v[4:5], v[30:31], v[34:35]
	s_waitcnt lgkmcnt(1)
	v_fmac_f64_e32 v[6:7], v[20:21], v[36:37]
	v_fmac_f64_e32 v[4:5], v[22:23], v[36:37]
	;; [unrolled: 1-line block ×4, first 2 shown]
	s_waitcnt lgkmcnt(0)
	v_fmac_f64_e32 v[6:7], v[24:25], v[38:39]
	v_fmac_f64_e32 v[4:5], v[26:27], v[38:39]
	;; [unrolled: 1-line block ×4, first 2 shown]
	v_lshl_add_u64 v[8:9], v[8:9], 0, s[12:13]
	s_cmp_lt_i32 s27, s25
	v_lshl_add_u64 v[10:11], v[10:11], 0, 64
	s_barrier
	s_cbranch_scc0 .LBB45_10
.LBB45_6:                               ; =>This Inner Loop Header: Depth=1
	v_add_u32_e32 v20, s27, v15
	v_cmp_gt_i32_e64 s[6:7], s25, v20
	s_and_b64 s[8:9], vcc, s[6:7]
	v_mov_b64_e32 v[20:21], 0
	s_and_saveexec_b64 s[6:7], s[8:9]
	s_cbranch_execz .LBB45_8
; %bb.7:                                ;   in Loop: Header=BB45_6 Depth=1
	global_load_dwordx2 v[20:21], v[8:9], off
.LBB45_8:                               ;   in Loop: Header=BB45_6 Depth=1
	s_or_b64 exec, exec, s[6:7]
	s_waitcnt vmcnt(0)
	ds_write_b64 v16, v[20:21]
	v_add_u32_e32 v20, s27, v14
	v_cmp_gt_i32_e64 s[6:7], s25, v20
	s_and_b64 s[8:9], s[6:7], s[2:3]
	v_mov_b64_e32 v[20:21], 0
	s_and_saveexec_b64 s[6:7], s[8:9]
	s_cbranch_execz .LBB45_5
; %bb.9:                                ;   in Loop: Header=BB45_6 Depth=1
	global_load_dwordx2 v[20:21], v[10:11], off
	s_branch .LBB45_5
.LBB45_10:
	s_load_dwordx2 s[2:3], s[0:1], 0x58
	s_load_dword s12, s[0:1], 0x50
	v_add_u32_e32 v14, s5, v12
	v_add_u32_e32 v8, s26, v13
	v_cmp_le_i32_e32 vcc, v14, v8
	s_waitcnt lgkmcnt(0)
	s_mul_i32 s1, s3, s4
	s_mul_hi_u32 s3, s2, s4
	s_mul_i32 s0, s2, s4
	s_add_i32 s1, s3, s1
	s_lshl_b64 s[0:1], s[0:1], 3
	s_add_u32 s6, s10, s0
	s_addc_u32 s7, s11, s1
	v_mad_i64_i32 v[10:11], s[0:1], v14, s12, 0
	v_cmp_neq_f64_e64 s[0:1], s[20:21], 0
	v_cmp_gt_i32_e64 s[2:3], s24, v8
	v_lshl_add_u64 v[10:11], v[10:11], 3, s[6:7]
	v_cndmask_b32_e64 v12, 0, 1, s[0:1]
	s_and_b64 s[8:9], vcc, s[2:3]
	v_ashrrev_i32_e32 v9, 31, v8
	v_cmp_ne_u32_e64 s[0:1], 1, v12
	s_and_saveexec_b64 s[4:5], s[8:9]
	s_cbranch_execz .LBB45_14
; %bb.11:
	v_mul_f64 v[6:7], s[22:23], v[6:7]
	s_and_b64 vcc, exec, s[0:1]
	v_lshl_add_u64 v[12:13], v[8:9], 3, v[10:11]
	s_cbranch_vccnz .LBB45_13
; %bb.12:
	global_load_dwordx2 v[16:17], v[12:13], off
	s_waitcnt vmcnt(0)
	v_fmac_f64_e32 v[6:7], s[20:21], v[16:17]
.LBB45_13:
	global_store_dwordx2 v[12:13], v[6:7], off
.LBB45_14:
	s_or_b64 exec, exec, s[4:5]
	v_add_u32_e32 v6, 16, v8
	v_cmp_le_i32_e32 vcc, v14, v6
	v_cmp_gt_i32_e64 s[4:5], s24, v6
	s_and_b64 s[10:11], vcc, s[4:5]
	v_ashrrev_i32_e32 v7, 31, v6
	s_and_saveexec_b64 s[8:9], s[10:11]
	s_cbranch_execz .LBB45_18
; %bb.15:
	v_mul_f64 v[4:5], s[22:23], v[4:5]
	s_and_b64 vcc, exec, s[0:1]
	v_lshl_add_u64 v[10:11], v[6:7], 3, v[10:11]
	s_cbranch_vccnz .LBB45_17
; %bb.16:
	global_load_dwordx2 v[12:13], v[10:11], off
	s_waitcnt vmcnt(0)
	v_fmac_f64_e32 v[4:5], s[20:21], v[12:13]
.LBB45_17:
	global_store_dwordx2 v[10:11], v[4:5], off
.LBB45_18:
	s_or_b64 exec, exec, s[8:9]
	v_add_u32_e32 v10, 16, v14
	v_mad_i64_i32 v[4:5], s[8:9], v10, s12, 0
	v_cmp_le_i32_e32 vcc, v10, v8
	v_lshl_add_u64 v[4:5], v[4:5], 3, s[6:7]
	s_and_b64 s[6:7], vcc, s[2:3]
	s_and_saveexec_b64 s[2:3], s[6:7]
	s_cbranch_execz .LBB45_22
; %bb.19:
	v_mul_f64 v[2:3], s[22:23], v[2:3]
	s_and_b64 vcc, exec, s[0:1]
	v_lshl_add_u64 v[8:9], v[8:9], 3, v[4:5]
	s_cbranch_vccnz .LBB45_21
; %bb.20:
	global_load_dwordx2 v[12:13], v[8:9], off
	s_waitcnt vmcnt(0)
	v_fmac_f64_e32 v[2:3], s[20:21], v[12:13]
.LBB45_21:
	global_store_dwordx2 v[8:9], v[2:3], off
.LBB45_22:
	s_or_b64 exec, exec, s[2:3]
	v_cmp_le_i32_e32 vcc, v10, v6
	s_and_b64 s[2:3], vcc, s[4:5]
	s_and_saveexec_b64 s[4:5], s[2:3]
	s_cbranch_execz .LBB45_26
; %bb.23:
	v_mul_f64 v[0:1], s[22:23], v[0:1]
	s_and_b64 vcc, exec, s[0:1]
	v_lshl_add_u64 v[2:3], v[6:7], 3, v[4:5]
	s_cbranch_vccnz .LBB45_25
; %bb.24:
	global_load_dwordx2 v[4:5], v[2:3], off
	s_waitcnt vmcnt(0)
	v_fmac_f64_e32 v[0:1], s[20:21], v[4:5]
.LBB45_25:
	global_store_dwordx2 v[2:3], v[0:1], off
.LBB45_26:
	s_endpgm
	.section	.rodata,"a",@progbits
	.p2align	6, 0x0
	.amdhsa_kernel _ZL29rocblas_internal_gemmt_kernelIiLi16ELi32ELi8ELc78ELc78ELc76ELb0ELb0EdPKdS1_PdEviT_T9_T10_S3_lS5_S3_lS4_T11_S3_li
		.amdhsa_group_segment_fixed_size 4096
		.amdhsa_private_segment_fixed_size 0
		.amdhsa_kernarg_size 100
		.amdhsa_user_sgpr_count 2
		.amdhsa_user_sgpr_dispatch_ptr 0
		.amdhsa_user_sgpr_queue_ptr 0
		.amdhsa_user_sgpr_kernarg_segment_ptr 1
		.amdhsa_user_sgpr_dispatch_id 0
		.amdhsa_user_sgpr_kernarg_preload_length 0
		.amdhsa_user_sgpr_kernarg_preload_offset 0
		.amdhsa_user_sgpr_private_segment_size 0
		.amdhsa_uses_dynamic_stack 0
		.amdhsa_enable_private_segment 0
		.amdhsa_system_sgpr_workgroup_id_x 1
		.amdhsa_system_sgpr_workgroup_id_y 1
		.amdhsa_system_sgpr_workgroup_id_z 1
		.amdhsa_system_sgpr_workgroup_info 0
		.amdhsa_system_vgpr_workitem_id 1
		.amdhsa_next_free_vgpr 52
		.amdhsa_next_free_sgpr 29
		.amdhsa_accum_offset 52
		.amdhsa_reserve_vcc 1
		.amdhsa_float_round_mode_32 0
		.amdhsa_float_round_mode_16_64 0
		.amdhsa_float_denorm_mode_32 3
		.amdhsa_float_denorm_mode_16_64 3
		.amdhsa_dx10_clamp 1
		.amdhsa_ieee_mode 1
		.amdhsa_fp16_overflow 0
		.amdhsa_tg_split 0
		.amdhsa_exception_fp_ieee_invalid_op 0
		.amdhsa_exception_fp_denorm_src 0
		.amdhsa_exception_fp_ieee_div_zero 0
		.amdhsa_exception_fp_ieee_overflow 0
		.amdhsa_exception_fp_ieee_underflow 0
		.amdhsa_exception_fp_ieee_inexact 0
		.amdhsa_exception_int_div_zero 0
	.end_amdhsa_kernel
	.section	.text._ZL29rocblas_internal_gemmt_kernelIiLi16ELi32ELi8ELc78ELc78ELc76ELb0ELb0EdPKdS1_PdEviT_T9_T10_S3_lS5_S3_lS4_T11_S3_li,"axG",@progbits,_ZL29rocblas_internal_gemmt_kernelIiLi16ELi32ELi8ELc78ELc78ELc76ELb0ELb0EdPKdS1_PdEviT_T9_T10_S3_lS5_S3_lS4_T11_S3_li,comdat
.Lfunc_end45:
	.size	_ZL29rocblas_internal_gemmt_kernelIiLi16ELi32ELi8ELc78ELc78ELc76ELb0ELb0EdPKdS1_PdEviT_T9_T10_S3_lS5_S3_lS4_T11_S3_li, .Lfunc_end45-_ZL29rocblas_internal_gemmt_kernelIiLi16ELi32ELi8ELc78ELc78ELc76ELb0ELb0EdPKdS1_PdEviT_T9_T10_S3_lS5_S3_lS4_T11_S3_li
                                        ; -- End function
	.set _ZL29rocblas_internal_gemmt_kernelIiLi16ELi32ELi8ELc78ELc78ELc76ELb0ELb0EdPKdS1_PdEviT_T9_T10_S3_lS5_S3_lS4_T11_S3_li.num_vgpr, 52
	.set _ZL29rocblas_internal_gemmt_kernelIiLi16ELi32ELi8ELc78ELc78ELc76ELb0ELb0EdPKdS1_PdEviT_T9_T10_S3_lS5_S3_lS4_T11_S3_li.num_agpr, 0
	.set _ZL29rocblas_internal_gemmt_kernelIiLi16ELi32ELi8ELc78ELc78ELc76ELb0ELb0EdPKdS1_PdEviT_T9_T10_S3_lS5_S3_lS4_T11_S3_li.numbered_sgpr, 29
	.set _ZL29rocblas_internal_gemmt_kernelIiLi16ELi32ELi8ELc78ELc78ELc76ELb0ELb0EdPKdS1_PdEviT_T9_T10_S3_lS5_S3_lS4_T11_S3_li.num_named_barrier, 0
	.set _ZL29rocblas_internal_gemmt_kernelIiLi16ELi32ELi8ELc78ELc78ELc76ELb0ELb0EdPKdS1_PdEviT_T9_T10_S3_lS5_S3_lS4_T11_S3_li.private_seg_size, 0
	.set _ZL29rocblas_internal_gemmt_kernelIiLi16ELi32ELi8ELc78ELc78ELc76ELb0ELb0EdPKdS1_PdEviT_T9_T10_S3_lS5_S3_lS4_T11_S3_li.uses_vcc, 1
	.set _ZL29rocblas_internal_gemmt_kernelIiLi16ELi32ELi8ELc78ELc78ELc76ELb0ELb0EdPKdS1_PdEviT_T9_T10_S3_lS5_S3_lS4_T11_S3_li.uses_flat_scratch, 0
	.set _ZL29rocblas_internal_gemmt_kernelIiLi16ELi32ELi8ELc78ELc78ELc76ELb0ELb0EdPKdS1_PdEviT_T9_T10_S3_lS5_S3_lS4_T11_S3_li.has_dyn_sized_stack, 0
	.set _ZL29rocblas_internal_gemmt_kernelIiLi16ELi32ELi8ELc78ELc78ELc76ELb0ELb0EdPKdS1_PdEviT_T9_T10_S3_lS5_S3_lS4_T11_S3_li.has_recursion, 0
	.set _ZL29rocblas_internal_gemmt_kernelIiLi16ELi32ELi8ELc78ELc78ELc76ELb0ELb0EdPKdS1_PdEviT_T9_T10_S3_lS5_S3_lS4_T11_S3_li.has_indirect_call, 0
	.section	.AMDGPU.csdata,"",@progbits
; Kernel info:
; codeLenInByte = 1300
; TotalNumSgprs: 35
; NumVgprs: 52
; NumAgprs: 0
; TotalNumVgprs: 52
; ScratchSize: 0
; MemoryBound: 0
; FloatMode: 240
; IeeeMode: 1
; LDSByteSize: 4096 bytes/workgroup (compile time only)
; SGPRBlocks: 4
; VGPRBlocks: 6
; NumSGPRsForWavesPerEU: 35
; NumVGPRsForWavesPerEU: 52
; AccumOffset: 52
; Occupancy: 8
; WaveLimiterHint : 0
; COMPUTE_PGM_RSRC2:SCRATCH_EN: 0
; COMPUTE_PGM_RSRC2:USER_SGPR: 2
; COMPUTE_PGM_RSRC2:TRAP_HANDLER: 0
; COMPUTE_PGM_RSRC2:TGID_X_EN: 1
; COMPUTE_PGM_RSRC2:TGID_Y_EN: 1
; COMPUTE_PGM_RSRC2:TGID_Z_EN: 1
; COMPUTE_PGM_RSRC2:TIDIG_COMP_CNT: 1
; COMPUTE_PGM_RSRC3_GFX90A:ACCUM_OFFSET: 12
; COMPUTE_PGM_RSRC3_GFX90A:TG_SPLIT: 0
	.section	.text._ZL29rocblas_internal_gemmt_kernelIiLi16ELi32ELi8ELc78ELc84ELc76ELb0ELb0EdPKdS1_PdEviT_T9_T10_S3_lS5_S3_lS4_T11_S3_li,"axG",@progbits,_ZL29rocblas_internal_gemmt_kernelIiLi16ELi32ELi8ELc78ELc84ELc76ELb0ELb0EdPKdS1_PdEviT_T9_T10_S3_lS5_S3_lS4_T11_S3_li,comdat
	.globl	_ZL29rocblas_internal_gemmt_kernelIiLi16ELi32ELi8ELc78ELc84ELc76ELb0ELb0EdPKdS1_PdEviT_T9_T10_S3_lS5_S3_lS4_T11_S3_li ; -- Begin function _ZL29rocblas_internal_gemmt_kernelIiLi16ELi32ELi8ELc78ELc84ELc76ELb0ELb0EdPKdS1_PdEviT_T9_T10_S3_lS5_S3_lS4_T11_S3_li
	.p2align	8
	.type	_ZL29rocblas_internal_gemmt_kernelIiLi16ELi32ELi8ELc78ELc84ELc76ELb0ELb0EdPKdS1_PdEviT_T9_T10_S3_lS5_S3_lS4_T11_S3_li,@function
_ZL29rocblas_internal_gemmt_kernelIiLi16ELi32ELi8ELc78ELc84ELc76ELb0ELb0EdPKdS1_PdEviT_T9_T10_S3_lS5_S3_lS4_T11_S3_li: ; @_ZL29rocblas_internal_gemmt_kernelIiLi16ELi32ELi8ELc78ELc84ELc76ELb0ELb0EdPKdS1_PdEviT_T9_T10_S3_lS5_S3_lS4_T11_S3_li
; %bb.0:
	s_load_dwordx4 s[8:11], s[0:1], 0x38
	s_load_dwordx4 s[12:15], s[0:1], 0x8
	s_waitcnt lgkmcnt(0)
	s_load_dwordx2 s[20:21], s[10:11], 0x0
	s_load_dwordx2 s[24:25], s[0:1], 0x0
	;; [unrolled: 1-line block ×3, first 2 shown]
	s_waitcnt lgkmcnt(0)
	v_cmp_neq_f64_e64 s[6:7], s[20:21], 1.0
	s_and_b64 vcc, exec, s[6:7]
	s_cbranch_vccnz .LBB46_2
; %bb.1:
	s_cmp_lg_u32 s25, 0
	s_cselect_b64 s[6:7], -1, 0
	v_cmp_neq_f64_e64 s[10:11], s[22:23], 0
	s_and_b64 s[6:7], s[6:7], s[10:11]
.LBB46_2:
	s_andn2_b64 vcc, exec, s[6:7]
	s_cbranch_vccnz .LBB46_26
; %bb.3:
	s_load_dwordx2 s[10:11], s[0:1], 0x48
	s_lshl_b32 s26, s2, 5
	s_lshl_b32 s5, s3, 5
	s_cmp_lt_i32 s25, 1
	v_cmp_eq_f64_e64 s[2:3], s[22:23], 0
	s_cselect_b64 s[6:7], -1, 0
	s_or_b64 s[2:3], s[2:3], s[6:7]
	v_and_b32_e32 v13, 0x3ff, v0
	v_bfe_u32 v12, v0, 10, 10
	s_mov_b32 s27, 0
	v_mov_b64_e32 v[6:7], 0
	s_and_b64 vcc, exec, s[2:3]
	v_mov_b64_e32 v[4:5], 0
	v_mov_b64_e32 v[2:3], 0
	;; [unrolled: 1-line block ×3, first 2 shown]
	s_cbranch_vccnz .LBB46_10
; %bb.4:
	v_lshl_add_u32 v1, v12, 4, v13
	v_and_b32_e32 v4, 31, v1
	v_lshrrev_b32_e32 v15, 5, v1
	v_lshrrev_b32_e32 v2, 3, v1
	v_or_b32_e32 v1, s26, v4
	s_load_dword s6, s[0:1], 0x18
	s_load_dwordx4 s[16:19], s[0:1], 0x20
	s_load_dword s28, s[0:1], 0x30
	v_and_b32_e32 v14, 7, v13
	v_cmp_gt_i32_e32 vcc, s24, v1
	v_lshlrev_b32_e32 v1, 3, v4
	v_lshl_or_b32 v16, v15, 8, v1
	v_lshlrev_b32_e32 v1, 3, v14
	v_add_u32_e32 v0, s5, v2
	v_lshl_or_b32 v1, v2, 6, v1
	v_mov_b32_e32 v2, 0x800
	v_lshl_add_u32 v19, v12, 6, v2
	s_waitcnt lgkmcnt(0)
	v_mad_i64_i32 v[2:3], s[12:13], v15, s6, 0
	s_mul_i32 s12, s17, s4
	s_mul_hi_u32 s13, s16, s4
	s_add_i32 s13, s13, s12
	s_mul_i32 s12, s16, s4
	s_lshl_b64 s[12:13], s[12:13], 3
	v_add_u32_e32 v4, s26, v4
	s_ashr_i32 s7, s6, 31
	v_lshl_add_u64 v[2:3], v[2:3], 3, s[12:13]
	v_ashrrev_i32_e32 v5, 31, v4
	v_lshl_add_u64 v[2:3], v[4:5], 3, v[2:3]
	s_lshl_b64 s[12:13], s[6:7], 6
	s_mul_i32 s6, s9, s4
	s_mul_hi_u32 s7, s8, s4
	v_lshl_add_u64 v[8:9], s[14:15], 0, v[2:3]
	s_add_i32 s7, s7, s6
	s_mul_i32 s6, s8, s4
	v_mad_i64_i32 v[2:3], s[8:9], s28, v14, 0
	v_lshlrev_b64 v[2:3], 3, v[2:3]
	v_add_u32_e32 v17, 0x800, v1
	v_ashrrev_i32_e32 v1, 31, v0
	v_lshl_add_u64 v[2:3], s[6:7], 3, v[2:3]
	s_ashr_i32 s29, s28, 31
	v_cmp_gt_i32_e64 s[2:3], s24, v0
	v_lshl_add_u64 v[0:1], v[0:1], 3, v[2:3]
	v_lshlrev_b32_e32 v18, 3, v13
	v_lshl_add_u64 v[10:11], s[18:19], 0, v[0:1]
	s_lshl_b64 s[8:9], s[28:29], 6
	v_mov_b64_e32 v[0:1], 0
	v_mov_b64_e32 v[2:3], 0
	;; [unrolled: 1-line block ×4, first 2 shown]
	s_branch .LBB46_6
.LBB46_5:                               ;   in Loop: Header=BB46_6 Depth=1
	s_or_b64 exec, exec, s[6:7]
	s_waitcnt vmcnt(0)
	ds_write_b64 v17, v[20:21]
	s_waitcnt lgkmcnt(0)
	s_barrier
	ds_read2_b64 v[20:23], v18 offset1:16
	ds_read_b128 v[24:27], v19
	ds_read_b128 v[28:31], v19 offset:16
	ds_read_b128 v[32:35], v19 offset:32
	;; [unrolled: 1-line block ×4, first 2 shown]
	ds_read2_b64 v[44:47], v18 offset0:32 offset1:48
	s_waitcnt lgkmcnt(5)
	v_fmac_f64_e32 v[6:7], v[20:21], v[24:25]
	v_fmac_f64_e32 v[4:5], v[22:23], v[24:25]
	ds_read_b128 v[48:51], v19 offset:1040
	s_waitcnt lgkmcnt(2)
	v_fmac_f64_e32 v[2:3], v[20:21], v[40:41]
	v_fmac_f64_e32 v[0:1], v[22:23], v[40:41]
	ds_read2_b64 v[20:23], v18 offset0:64 offset1:80
	s_waitcnt lgkmcnt(2)
	v_fmac_f64_e32 v[6:7], v[44:45], v[26:27]
	v_fmac_f64_e32 v[4:5], v[46:47], v[26:27]
	ds_read2_b64 v[24:27], v18 offset0:96 offset1:112
	v_fmac_f64_e32 v[2:3], v[44:45], v[42:43]
	v_fmac_f64_e32 v[0:1], v[46:47], v[42:43]
	s_waitcnt lgkmcnt(1)
	v_fmac_f64_e32 v[6:7], v[20:21], v[28:29]
	v_fmac_f64_e32 v[4:5], v[22:23], v[28:29]
	ds_read_b128 v[40:43], v19 offset:1072
	v_fmac_f64_e32 v[2:3], v[20:21], v[48:49]
	v_fmac_f64_e32 v[0:1], v[22:23], v[48:49]
	s_waitcnt lgkmcnt(1)
	v_fmac_f64_e32 v[6:7], v[24:25], v[30:31]
	ds_read2_b64 v[20:23], v18 offset0:128 offset1:144
	v_fmac_f64_e32 v[4:5], v[26:27], v[30:31]
	v_fmac_f64_e32 v[2:3], v[24:25], v[50:51]
	;; [unrolled: 1-line block ×3, first 2 shown]
	ds_read_b128 v[24:27], v19 offset:1056
	ds_read2_b64 v[28:31], v18 offset0:160 offset1:176
	s_waitcnt lgkmcnt(2)
	v_fmac_f64_e32 v[6:7], v[20:21], v[32:33]
	v_fmac_f64_e32 v[4:5], v[22:23], v[32:33]
	s_add_i32 s27, s27, 8
	s_waitcnt lgkmcnt(1)
	v_fmac_f64_e32 v[2:3], v[20:21], v[24:25]
	v_fmac_f64_e32 v[0:1], v[22:23], v[24:25]
	ds_read2_b64 v[20:23], v18 offset0:192 offset1:208
	s_waitcnt lgkmcnt(1)
	v_fmac_f64_e32 v[2:3], v[28:29], v[26:27]
	v_fmac_f64_e32 v[0:1], v[30:31], v[26:27]
	ds_read2_b64 v[24:27], v18 offset0:224 offset1:240
	v_fmac_f64_e32 v[6:7], v[28:29], v[34:35]
	v_fmac_f64_e32 v[4:5], v[30:31], v[34:35]
	s_waitcnt lgkmcnt(1)
	v_fmac_f64_e32 v[6:7], v[20:21], v[36:37]
	v_fmac_f64_e32 v[4:5], v[22:23], v[36:37]
	;; [unrolled: 1-line block ×4, first 2 shown]
	s_waitcnt lgkmcnt(0)
	v_fmac_f64_e32 v[6:7], v[24:25], v[38:39]
	v_fmac_f64_e32 v[4:5], v[26:27], v[38:39]
	;; [unrolled: 1-line block ×4, first 2 shown]
	v_lshl_add_u64 v[8:9], v[8:9], 0, s[12:13]
	s_cmp_lt_i32 s27, s25
	v_lshl_add_u64 v[10:11], v[10:11], 0, s[8:9]
	s_barrier
	s_cbranch_scc0 .LBB46_10
.LBB46_6:                               ; =>This Inner Loop Header: Depth=1
	v_add_u32_e32 v20, s27, v15
	v_cmp_gt_i32_e64 s[6:7], s25, v20
	s_and_b64 s[14:15], vcc, s[6:7]
	v_mov_b64_e32 v[20:21], 0
	s_and_saveexec_b64 s[6:7], s[14:15]
	s_cbranch_execz .LBB46_8
; %bb.7:                                ;   in Loop: Header=BB46_6 Depth=1
	global_load_dwordx2 v[20:21], v[8:9], off
.LBB46_8:                               ;   in Loop: Header=BB46_6 Depth=1
	s_or_b64 exec, exec, s[6:7]
	s_waitcnt vmcnt(0)
	ds_write_b64 v16, v[20:21]
	v_add_u32_e32 v20, s27, v14
	v_cmp_gt_i32_e64 s[6:7], s25, v20
	s_and_b64 s[14:15], s[6:7], s[2:3]
	v_mov_b64_e32 v[20:21], 0
	s_and_saveexec_b64 s[6:7], s[14:15]
	s_cbranch_execz .LBB46_5
; %bb.9:                                ;   in Loop: Header=BB46_6 Depth=1
	global_load_dwordx2 v[20:21], v[10:11], off
	s_branch .LBB46_5
.LBB46_10:
	s_load_dwordx2 s[2:3], s[0:1], 0x58
	s_load_dword s12, s[0:1], 0x50
	v_add_u32_e32 v14, s5, v12
	v_add_u32_e32 v8, s26, v13
	v_cmp_le_i32_e32 vcc, v14, v8
	s_waitcnt lgkmcnt(0)
	s_mul_i32 s1, s3, s4
	s_mul_hi_u32 s3, s2, s4
	s_mul_i32 s0, s2, s4
	s_add_i32 s1, s3, s1
	s_lshl_b64 s[0:1], s[0:1], 3
	s_add_u32 s6, s10, s0
	s_addc_u32 s7, s11, s1
	v_mad_i64_i32 v[10:11], s[0:1], v14, s12, 0
	v_cmp_neq_f64_e64 s[0:1], s[20:21], 0
	v_cmp_gt_i32_e64 s[2:3], s24, v8
	v_lshl_add_u64 v[10:11], v[10:11], 3, s[6:7]
	v_cndmask_b32_e64 v12, 0, 1, s[0:1]
	s_and_b64 s[8:9], vcc, s[2:3]
	v_ashrrev_i32_e32 v9, 31, v8
	v_cmp_ne_u32_e64 s[0:1], 1, v12
	s_and_saveexec_b64 s[4:5], s[8:9]
	s_cbranch_execz .LBB46_14
; %bb.11:
	v_mul_f64 v[6:7], s[22:23], v[6:7]
	s_and_b64 vcc, exec, s[0:1]
	v_lshl_add_u64 v[12:13], v[8:9], 3, v[10:11]
	s_cbranch_vccnz .LBB46_13
; %bb.12:
	global_load_dwordx2 v[16:17], v[12:13], off
	s_waitcnt vmcnt(0)
	v_fmac_f64_e32 v[6:7], s[20:21], v[16:17]
.LBB46_13:
	global_store_dwordx2 v[12:13], v[6:7], off
.LBB46_14:
	s_or_b64 exec, exec, s[4:5]
	v_add_u32_e32 v6, 16, v8
	v_cmp_le_i32_e32 vcc, v14, v6
	v_cmp_gt_i32_e64 s[4:5], s24, v6
	s_and_b64 s[10:11], vcc, s[4:5]
	v_ashrrev_i32_e32 v7, 31, v6
	s_and_saveexec_b64 s[8:9], s[10:11]
	s_cbranch_execz .LBB46_18
; %bb.15:
	v_mul_f64 v[4:5], s[22:23], v[4:5]
	s_and_b64 vcc, exec, s[0:1]
	v_lshl_add_u64 v[10:11], v[6:7], 3, v[10:11]
	s_cbranch_vccnz .LBB46_17
; %bb.16:
	global_load_dwordx2 v[12:13], v[10:11], off
	s_waitcnt vmcnt(0)
	v_fmac_f64_e32 v[4:5], s[20:21], v[12:13]
.LBB46_17:
	global_store_dwordx2 v[10:11], v[4:5], off
.LBB46_18:
	s_or_b64 exec, exec, s[8:9]
	v_add_u32_e32 v10, 16, v14
	v_mad_i64_i32 v[4:5], s[8:9], v10, s12, 0
	v_cmp_le_i32_e32 vcc, v10, v8
	v_lshl_add_u64 v[4:5], v[4:5], 3, s[6:7]
	s_and_b64 s[6:7], vcc, s[2:3]
	s_and_saveexec_b64 s[2:3], s[6:7]
	s_cbranch_execz .LBB46_22
; %bb.19:
	v_mul_f64 v[2:3], s[22:23], v[2:3]
	s_and_b64 vcc, exec, s[0:1]
	v_lshl_add_u64 v[8:9], v[8:9], 3, v[4:5]
	s_cbranch_vccnz .LBB46_21
; %bb.20:
	global_load_dwordx2 v[12:13], v[8:9], off
	s_waitcnt vmcnt(0)
	v_fmac_f64_e32 v[2:3], s[20:21], v[12:13]
.LBB46_21:
	global_store_dwordx2 v[8:9], v[2:3], off
.LBB46_22:
	s_or_b64 exec, exec, s[2:3]
	v_cmp_le_i32_e32 vcc, v10, v6
	s_and_b64 s[2:3], vcc, s[4:5]
	s_and_saveexec_b64 s[4:5], s[2:3]
	s_cbranch_execz .LBB46_26
; %bb.23:
	v_mul_f64 v[0:1], s[22:23], v[0:1]
	s_and_b64 vcc, exec, s[0:1]
	v_lshl_add_u64 v[2:3], v[6:7], 3, v[4:5]
	s_cbranch_vccnz .LBB46_25
; %bb.24:
	global_load_dwordx2 v[4:5], v[2:3], off
	s_waitcnt vmcnt(0)
	v_fmac_f64_e32 v[0:1], s[20:21], v[4:5]
.LBB46_25:
	global_store_dwordx2 v[2:3], v[0:1], off
.LBB46_26:
	s_endpgm
	.section	.rodata,"a",@progbits
	.p2align	6, 0x0
	.amdhsa_kernel _ZL29rocblas_internal_gemmt_kernelIiLi16ELi32ELi8ELc78ELc84ELc76ELb0ELb0EdPKdS1_PdEviT_T9_T10_S3_lS5_S3_lS4_T11_S3_li
		.amdhsa_group_segment_fixed_size 4096
		.amdhsa_private_segment_fixed_size 0
		.amdhsa_kernarg_size 100
		.amdhsa_user_sgpr_count 2
		.amdhsa_user_sgpr_dispatch_ptr 0
		.amdhsa_user_sgpr_queue_ptr 0
		.amdhsa_user_sgpr_kernarg_segment_ptr 1
		.amdhsa_user_sgpr_dispatch_id 0
		.amdhsa_user_sgpr_kernarg_preload_length 0
		.amdhsa_user_sgpr_kernarg_preload_offset 0
		.amdhsa_user_sgpr_private_segment_size 0
		.amdhsa_uses_dynamic_stack 0
		.amdhsa_enable_private_segment 0
		.amdhsa_system_sgpr_workgroup_id_x 1
		.amdhsa_system_sgpr_workgroup_id_y 1
		.amdhsa_system_sgpr_workgroup_id_z 1
		.amdhsa_system_sgpr_workgroup_info 0
		.amdhsa_system_vgpr_workitem_id 1
		.amdhsa_next_free_vgpr 52
		.amdhsa_next_free_sgpr 30
		.amdhsa_accum_offset 52
		.amdhsa_reserve_vcc 1
		.amdhsa_float_round_mode_32 0
		.amdhsa_float_round_mode_16_64 0
		.amdhsa_float_denorm_mode_32 3
		.amdhsa_float_denorm_mode_16_64 3
		.amdhsa_dx10_clamp 1
		.amdhsa_ieee_mode 1
		.amdhsa_fp16_overflow 0
		.amdhsa_tg_split 0
		.amdhsa_exception_fp_ieee_invalid_op 0
		.amdhsa_exception_fp_denorm_src 0
		.amdhsa_exception_fp_ieee_div_zero 0
		.amdhsa_exception_fp_ieee_overflow 0
		.amdhsa_exception_fp_ieee_underflow 0
		.amdhsa_exception_fp_ieee_inexact 0
		.amdhsa_exception_int_div_zero 0
	.end_amdhsa_kernel
	.section	.text._ZL29rocblas_internal_gemmt_kernelIiLi16ELi32ELi8ELc78ELc84ELc76ELb0ELb0EdPKdS1_PdEviT_T9_T10_S3_lS5_S3_lS4_T11_S3_li,"axG",@progbits,_ZL29rocblas_internal_gemmt_kernelIiLi16ELi32ELi8ELc78ELc84ELc76ELb0ELb0EdPKdS1_PdEviT_T9_T10_S3_lS5_S3_lS4_T11_S3_li,comdat
.Lfunc_end46:
	.size	_ZL29rocblas_internal_gemmt_kernelIiLi16ELi32ELi8ELc78ELc84ELc76ELb0ELb0EdPKdS1_PdEviT_T9_T10_S3_lS5_S3_lS4_T11_S3_li, .Lfunc_end46-_ZL29rocblas_internal_gemmt_kernelIiLi16ELi32ELi8ELc78ELc84ELc76ELb0ELb0EdPKdS1_PdEviT_T9_T10_S3_lS5_S3_lS4_T11_S3_li
                                        ; -- End function
	.set _ZL29rocblas_internal_gemmt_kernelIiLi16ELi32ELi8ELc78ELc84ELc76ELb0ELb0EdPKdS1_PdEviT_T9_T10_S3_lS5_S3_lS4_T11_S3_li.num_vgpr, 52
	.set _ZL29rocblas_internal_gemmt_kernelIiLi16ELi32ELi8ELc78ELc84ELc76ELb0ELb0EdPKdS1_PdEviT_T9_T10_S3_lS5_S3_lS4_T11_S3_li.num_agpr, 0
	.set _ZL29rocblas_internal_gemmt_kernelIiLi16ELi32ELi8ELc78ELc84ELc76ELb0ELb0EdPKdS1_PdEviT_T9_T10_S3_lS5_S3_lS4_T11_S3_li.numbered_sgpr, 30
	.set _ZL29rocblas_internal_gemmt_kernelIiLi16ELi32ELi8ELc78ELc84ELc76ELb0ELb0EdPKdS1_PdEviT_T9_T10_S3_lS5_S3_lS4_T11_S3_li.num_named_barrier, 0
	.set _ZL29rocblas_internal_gemmt_kernelIiLi16ELi32ELi8ELc78ELc84ELc76ELb0ELb0EdPKdS1_PdEviT_T9_T10_S3_lS5_S3_lS4_T11_S3_li.private_seg_size, 0
	.set _ZL29rocblas_internal_gemmt_kernelIiLi16ELi32ELi8ELc78ELc84ELc76ELb0ELb0EdPKdS1_PdEviT_T9_T10_S3_lS5_S3_lS4_T11_S3_li.uses_vcc, 1
	.set _ZL29rocblas_internal_gemmt_kernelIiLi16ELi32ELi8ELc78ELc84ELc76ELb0ELb0EdPKdS1_PdEviT_T9_T10_S3_lS5_S3_lS4_T11_S3_li.uses_flat_scratch, 0
	.set _ZL29rocblas_internal_gemmt_kernelIiLi16ELi32ELi8ELc78ELc84ELc76ELb0ELb0EdPKdS1_PdEviT_T9_T10_S3_lS5_S3_lS4_T11_S3_li.has_dyn_sized_stack, 0
	.set _ZL29rocblas_internal_gemmt_kernelIiLi16ELi32ELi8ELc78ELc84ELc76ELb0ELb0EdPKdS1_PdEviT_T9_T10_S3_lS5_S3_lS4_T11_S3_li.has_recursion, 0
	.set _ZL29rocblas_internal_gemmt_kernelIiLi16ELi32ELi8ELc78ELc84ELc76ELb0ELb0EdPKdS1_PdEviT_T9_T10_S3_lS5_S3_lS4_T11_S3_li.has_indirect_call, 0
	.section	.AMDGPU.csdata,"",@progbits
; Kernel info:
; codeLenInByte = 1312
; TotalNumSgprs: 36
; NumVgprs: 52
; NumAgprs: 0
; TotalNumVgprs: 52
; ScratchSize: 0
; MemoryBound: 0
; FloatMode: 240
; IeeeMode: 1
; LDSByteSize: 4096 bytes/workgroup (compile time only)
; SGPRBlocks: 4
; VGPRBlocks: 6
; NumSGPRsForWavesPerEU: 36
; NumVGPRsForWavesPerEU: 52
; AccumOffset: 52
; Occupancy: 8
; WaveLimiterHint : 0
; COMPUTE_PGM_RSRC2:SCRATCH_EN: 0
; COMPUTE_PGM_RSRC2:USER_SGPR: 2
; COMPUTE_PGM_RSRC2:TRAP_HANDLER: 0
; COMPUTE_PGM_RSRC2:TGID_X_EN: 1
; COMPUTE_PGM_RSRC2:TGID_Y_EN: 1
; COMPUTE_PGM_RSRC2:TGID_Z_EN: 1
; COMPUTE_PGM_RSRC2:TIDIG_COMP_CNT: 1
; COMPUTE_PGM_RSRC3_GFX90A:ACCUM_OFFSET: 12
; COMPUTE_PGM_RSRC3_GFX90A:TG_SPLIT: 0
	.section	.text._ZL29rocblas_internal_gemmt_kernelIiLi16ELi32ELi8ELc78ELc67ELc76ELb0ELb0EdPKdS1_PdEviT_T9_T10_S3_lS5_S3_lS4_T11_S3_li,"axG",@progbits,_ZL29rocblas_internal_gemmt_kernelIiLi16ELi32ELi8ELc78ELc67ELc76ELb0ELb0EdPKdS1_PdEviT_T9_T10_S3_lS5_S3_lS4_T11_S3_li,comdat
	.globl	_ZL29rocblas_internal_gemmt_kernelIiLi16ELi32ELi8ELc78ELc67ELc76ELb0ELb0EdPKdS1_PdEviT_T9_T10_S3_lS5_S3_lS4_T11_S3_li ; -- Begin function _ZL29rocblas_internal_gemmt_kernelIiLi16ELi32ELi8ELc78ELc67ELc76ELb0ELb0EdPKdS1_PdEviT_T9_T10_S3_lS5_S3_lS4_T11_S3_li
	.p2align	8
	.type	_ZL29rocblas_internal_gemmt_kernelIiLi16ELi32ELi8ELc78ELc67ELc76ELb0ELb0EdPKdS1_PdEviT_T9_T10_S3_lS5_S3_lS4_T11_S3_li,@function
_ZL29rocblas_internal_gemmt_kernelIiLi16ELi32ELi8ELc78ELc67ELc76ELb0ELb0EdPKdS1_PdEviT_T9_T10_S3_lS5_S3_lS4_T11_S3_li: ; @_ZL29rocblas_internal_gemmt_kernelIiLi16ELi32ELi8ELc78ELc67ELc76ELb0ELb0EdPKdS1_PdEviT_T9_T10_S3_lS5_S3_lS4_T11_S3_li
; %bb.0:
	s_load_dwordx4 s[8:11], s[0:1], 0x38
	s_load_dwordx4 s[12:15], s[0:1], 0x8
	s_waitcnt lgkmcnt(0)
	s_load_dwordx2 s[20:21], s[10:11], 0x0
	s_load_dwordx2 s[24:25], s[0:1], 0x0
	;; [unrolled: 1-line block ×3, first 2 shown]
	s_waitcnt lgkmcnt(0)
	v_cmp_neq_f64_e64 s[6:7], s[20:21], 1.0
	s_and_b64 vcc, exec, s[6:7]
	s_cbranch_vccnz .LBB47_2
; %bb.1:
	s_cmp_lg_u32 s25, 0
	s_cselect_b64 s[6:7], -1, 0
	v_cmp_neq_f64_e64 s[10:11], s[22:23], 0
	s_and_b64 s[6:7], s[6:7], s[10:11]
.LBB47_2:
	s_andn2_b64 vcc, exec, s[6:7]
	s_cbranch_vccnz .LBB47_26
; %bb.3:
	s_load_dwordx2 s[10:11], s[0:1], 0x48
	s_lshl_b32 s26, s2, 5
	s_lshl_b32 s5, s3, 5
	s_cmp_lt_i32 s25, 1
	v_cmp_eq_f64_e64 s[2:3], s[22:23], 0
	s_cselect_b64 s[6:7], -1, 0
	s_or_b64 s[2:3], s[2:3], s[6:7]
	v_and_b32_e32 v13, 0x3ff, v0
	v_bfe_u32 v12, v0, 10, 10
	s_mov_b32 s27, 0
	v_mov_b64_e32 v[6:7], 0
	s_and_b64 vcc, exec, s[2:3]
	v_mov_b64_e32 v[4:5], 0
	v_mov_b64_e32 v[2:3], 0
	;; [unrolled: 1-line block ×3, first 2 shown]
	s_cbranch_vccnz .LBB47_10
; %bb.4:
	v_lshl_add_u32 v1, v12, 4, v13
	v_and_b32_e32 v4, 31, v1
	v_lshrrev_b32_e32 v15, 5, v1
	v_lshrrev_b32_e32 v2, 3, v1
	v_or_b32_e32 v1, s26, v4
	s_load_dword s6, s[0:1], 0x18
	s_load_dwordx4 s[16:19], s[0:1], 0x20
	s_load_dword s28, s[0:1], 0x30
	v_and_b32_e32 v14, 7, v13
	v_cmp_gt_i32_e32 vcc, s24, v1
	v_lshlrev_b32_e32 v1, 3, v4
	v_lshl_or_b32 v16, v15, 8, v1
	v_lshlrev_b32_e32 v1, 3, v14
	v_add_u32_e32 v0, s5, v2
	v_lshl_or_b32 v1, v2, 6, v1
	v_mov_b32_e32 v2, 0x800
	v_lshl_add_u32 v19, v12, 6, v2
	s_waitcnt lgkmcnt(0)
	v_mad_i64_i32 v[2:3], s[12:13], v15, s6, 0
	s_mul_i32 s12, s17, s4
	s_mul_hi_u32 s13, s16, s4
	s_add_i32 s13, s13, s12
	s_mul_i32 s12, s16, s4
	s_lshl_b64 s[12:13], s[12:13], 3
	v_add_u32_e32 v4, s26, v4
	s_ashr_i32 s7, s6, 31
	v_lshl_add_u64 v[2:3], v[2:3], 3, s[12:13]
	v_ashrrev_i32_e32 v5, 31, v4
	v_lshl_add_u64 v[2:3], v[4:5], 3, v[2:3]
	s_lshl_b64 s[12:13], s[6:7], 6
	s_mul_i32 s6, s9, s4
	s_mul_hi_u32 s7, s8, s4
	v_lshl_add_u64 v[8:9], s[14:15], 0, v[2:3]
	s_add_i32 s7, s7, s6
	s_mul_i32 s6, s8, s4
	v_mad_i64_i32 v[2:3], s[8:9], s28, v14, 0
	v_lshlrev_b64 v[2:3], 3, v[2:3]
	v_add_u32_e32 v17, 0x800, v1
	v_ashrrev_i32_e32 v1, 31, v0
	v_lshl_add_u64 v[2:3], s[6:7], 3, v[2:3]
	s_ashr_i32 s29, s28, 31
	v_cmp_gt_i32_e64 s[2:3], s24, v0
	v_lshl_add_u64 v[0:1], v[0:1], 3, v[2:3]
	v_lshlrev_b32_e32 v18, 3, v13
	v_lshl_add_u64 v[10:11], s[18:19], 0, v[0:1]
	s_lshl_b64 s[8:9], s[28:29], 6
	v_mov_b64_e32 v[0:1], 0
	v_mov_b64_e32 v[2:3], 0
	;; [unrolled: 1-line block ×4, first 2 shown]
	s_branch .LBB47_6
.LBB47_5:                               ;   in Loop: Header=BB47_6 Depth=1
	s_or_b64 exec, exec, s[6:7]
	s_waitcnt vmcnt(0)
	ds_write_b64 v17, v[20:21]
	s_waitcnt lgkmcnt(0)
	s_barrier
	ds_read2_b64 v[20:23], v18 offset1:16
	ds_read_b128 v[24:27], v19
	ds_read_b128 v[28:31], v19 offset:16
	ds_read_b128 v[32:35], v19 offset:32
	;; [unrolled: 1-line block ×4, first 2 shown]
	ds_read2_b64 v[44:47], v18 offset0:32 offset1:48
	s_waitcnt lgkmcnt(5)
	v_fmac_f64_e32 v[6:7], v[20:21], v[24:25]
	v_fmac_f64_e32 v[4:5], v[22:23], v[24:25]
	ds_read_b128 v[48:51], v19 offset:1040
	s_waitcnt lgkmcnt(2)
	v_fmac_f64_e32 v[2:3], v[20:21], v[40:41]
	v_fmac_f64_e32 v[0:1], v[22:23], v[40:41]
	ds_read2_b64 v[20:23], v18 offset0:64 offset1:80
	s_waitcnt lgkmcnt(2)
	v_fmac_f64_e32 v[6:7], v[44:45], v[26:27]
	v_fmac_f64_e32 v[4:5], v[46:47], v[26:27]
	ds_read2_b64 v[24:27], v18 offset0:96 offset1:112
	v_fmac_f64_e32 v[2:3], v[44:45], v[42:43]
	v_fmac_f64_e32 v[0:1], v[46:47], v[42:43]
	s_waitcnt lgkmcnt(1)
	v_fmac_f64_e32 v[6:7], v[20:21], v[28:29]
	v_fmac_f64_e32 v[4:5], v[22:23], v[28:29]
	ds_read_b128 v[40:43], v19 offset:1072
	v_fmac_f64_e32 v[2:3], v[20:21], v[48:49]
	v_fmac_f64_e32 v[0:1], v[22:23], v[48:49]
	s_waitcnt lgkmcnt(1)
	v_fmac_f64_e32 v[6:7], v[24:25], v[30:31]
	ds_read2_b64 v[20:23], v18 offset0:128 offset1:144
	v_fmac_f64_e32 v[4:5], v[26:27], v[30:31]
	v_fmac_f64_e32 v[2:3], v[24:25], v[50:51]
	;; [unrolled: 1-line block ×3, first 2 shown]
	ds_read_b128 v[24:27], v19 offset:1056
	ds_read2_b64 v[28:31], v18 offset0:160 offset1:176
	s_waitcnt lgkmcnt(2)
	v_fmac_f64_e32 v[6:7], v[20:21], v[32:33]
	v_fmac_f64_e32 v[4:5], v[22:23], v[32:33]
	s_add_i32 s27, s27, 8
	s_waitcnt lgkmcnt(1)
	v_fmac_f64_e32 v[2:3], v[20:21], v[24:25]
	v_fmac_f64_e32 v[0:1], v[22:23], v[24:25]
	ds_read2_b64 v[20:23], v18 offset0:192 offset1:208
	s_waitcnt lgkmcnt(1)
	v_fmac_f64_e32 v[2:3], v[28:29], v[26:27]
	v_fmac_f64_e32 v[0:1], v[30:31], v[26:27]
	ds_read2_b64 v[24:27], v18 offset0:224 offset1:240
	v_fmac_f64_e32 v[6:7], v[28:29], v[34:35]
	v_fmac_f64_e32 v[4:5], v[30:31], v[34:35]
	s_waitcnt lgkmcnt(1)
	v_fmac_f64_e32 v[6:7], v[20:21], v[36:37]
	v_fmac_f64_e32 v[4:5], v[22:23], v[36:37]
	;; [unrolled: 1-line block ×4, first 2 shown]
	s_waitcnt lgkmcnt(0)
	v_fmac_f64_e32 v[6:7], v[24:25], v[38:39]
	v_fmac_f64_e32 v[4:5], v[26:27], v[38:39]
	;; [unrolled: 1-line block ×4, first 2 shown]
	v_lshl_add_u64 v[8:9], v[8:9], 0, s[12:13]
	s_cmp_lt_i32 s27, s25
	v_lshl_add_u64 v[10:11], v[10:11], 0, s[8:9]
	s_barrier
	s_cbranch_scc0 .LBB47_10
.LBB47_6:                               ; =>This Inner Loop Header: Depth=1
	v_add_u32_e32 v20, s27, v15
	v_cmp_gt_i32_e64 s[6:7], s25, v20
	s_and_b64 s[14:15], vcc, s[6:7]
	v_mov_b64_e32 v[20:21], 0
	s_and_saveexec_b64 s[6:7], s[14:15]
	s_cbranch_execz .LBB47_8
; %bb.7:                                ;   in Loop: Header=BB47_6 Depth=1
	global_load_dwordx2 v[20:21], v[8:9], off
.LBB47_8:                               ;   in Loop: Header=BB47_6 Depth=1
	s_or_b64 exec, exec, s[6:7]
	s_waitcnt vmcnt(0)
	ds_write_b64 v16, v[20:21]
	v_add_u32_e32 v20, s27, v14
	v_cmp_gt_i32_e64 s[6:7], s25, v20
	s_and_b64 s[14:15], s[6:7], s[2:3]
	v_mov_b64_e32 v[20:21], 0
	s_and_saveexec_b64 s[6:7], s[14:15]
	s_cbranch_execz .LBB47_5
; %bb.9:                                ;   in Loop: Header=BB47_6 Depth=1
	global_load_dwordx2 v[20:21], v[10:11], off
	s_branch .LBB47_5
.LBB47_10:
	s_load_dwordx2 s[2:3], s[0:1], 0x58
	s_load_dword s12, s[0:1], 0x50
	v_add_u32_e32 v14, s5, v12
	v_add_u32_e32 v8, s26, v13
	v_cmp_le_i32_e32 vcc, v14, v8
	s_waitcnt lgkmcnt(0)
	s_mul_i32 s1, s3, s4
	s_mul_hi_u32 s3, s2, s4
	s_mul_i32 s0, s2, s4
	s_add_i32 s1, s3, s1
	s_lshl_b64 s[0:1], s[0:1], 3
	s_add_u32 s6, s10, s0
	s_addc_u32 s7, s11, s1
	v_mad_i64_i32 v[10:11], s[0:1], v14, s12, 0
	v_cmp_neq_f64_e64 s[0:1], s[20:21], 0
	v_cmp_gt_i32_e64 s[2:3], s24, v8
	v_lshl_add_u64 v[10:11], v[10:11], 3, s[6:7]
	v_cndmask_b32_e64 v12, 0, 1, s[0:1]
	s_and_b64 s[8:9], vcc, s[2:3]
	v_ashrrev_i32_e32 v9, 31, v8
	v_cmp_ne_u32_e64 s[0:1], 1, v12
	s_and_saveexec_b64 s[4:5], s[8:9]
	s_cbranch_execz .LBB47_14
; %bb.11:
	v_mul_f64 v[6:7], s[22:23], v[6:7]
	s_and_b64 vcc, exec, s[0:1]
	v_lshl_add_u64 v[12:13], v[8:9], 3, v[10:11]
	s_cbranch_vccnz .LBB47_13
; %bb.12:
	global_load_dwordx2 v[16:17], v[12:13], off
	s_waitcnt vmcnt(0)
	v_fmac_f64_e32 v[6:7], s[20:21], v[16:17]
.LBB47_13:
	global_store_dwordx2 v[12:13], v[6:7], off
.LBB47_14:
	s_or_b64 exec, exec, s[4:5]
	v_add_u32_e32 v6, 16, v8
	v_cmp_le_i32_e32 vcc, v14, v6
	v_cmp_gt_i32_e64 s[4:5], s24, v6
	s_and_b64 s[10:11], vcc, s[4:5]
	v_ashrrev_i32_e32 v7, 31, v6
	s_and_saveexec_b64 s[8:9], s[10:11]
	s_cbranch_execz .LBB47_18
; %bb.15:
	v_mul_f64 v[4:5], s[22:23], v[4:5]
	s_and_b64 vcc, exec, s[0:1]
	v_lshl_add_u64 v[10:11], v[6:7], 3, v[10:11]
	s_cbranch_vccnz .LBB47_17
; %bb.16:
	global_load_dwordx2 v[12:13], v[10:11], off
	s_waitcnt vmcnt(0)
	v_fmac_f64_e32 v[4:5], s[20:21], v[12:13]
.LBB47_17:
	global_store_dwordx2 v[10:11], v[4:5], off
.LBB47_18:
	s_or_b64 exec, exec, s[8:9]
	v_add_u32_e32 v10, 16, v14
	v_mad_i64_i32 v[4:5], s[8:9], v10, s12, 0
	v_cmp_le_i32_e32 vcc, v10, v8
	v_lshl_add_u64 v[4:5], v[4:5], 3, s[6:7]
	s_and_b64 s[6:7], vcc, s[2:3]
	s_and_saveexec_b64 s[2:3], s[6:7]
	s_cbranch_execz .LBB47_22
; %bb.19:
	v_mul_f64 v[2:3], s[22:23], v[2:3]
	s_and_b64 vcc, exec, s[0:1]
	v_lshl_add_u64 v[8:9], v[8:9], 3, v[4:5]
	s_cbranch_vccnz .LBB47_21
; %bb.20:
	global_load_dwordx2 v[12:13], v[8:9], off
	s_waitcnt vmcnt(0)
	v_fmac_f64_e32 v[2:3], s[20:21], v[12:13]
.LBB47_21:
	global_store_dwordx2 v[8:9], v[2:3], off
.LBB47_22:
	s_or_b64 exec, exec, s[2:3]
	v_cmp_le_i32_e32 vcc, v10, v6
	s_and_b64 s[2:3], vcc, s[4:5]
	s_and_saveexec_b64 s[4:5], s[2:3]
	s_cbranch_execz .LBB47_26
; %bb.23:
	v_mul_f64 v[0:1], s[22:23], v[0:1]
	s_and_b64 vcc, exec, s[0:1]
	v_lshl_add_u64 v[2:3], v[6:7], 3, v[4:5]
	s_cbranch_vccnz .LBB47_25
; %bb.24:
	global_load_dwordx2 v[4:5], v[2:3], off
	s_waitcnt vmcnt(0)
	v_fmac_f64_e32 v[0:1], s[20:21], v[4:5]
.LBB47_25:
	global_store_dwordx2 v[2:3], v[0:1], off
.LBB47_26:
	s_endpgm
	.section	.rodata,"a",@progbits
	.p2align	6, 0x0
	.amdhsa_kernel _ZL29rocblas_internal_gemmt_kernelIiLi16ELi32ELi8ELc78ELc67ELc76ELb0ELb0EdPKdS1_PdEviT_T9_T10_S3_lS5_S3_lS4_T11_S3_li
		.amdhsa_group_segment_fixed_size 4096
		.amdhsa_private_segment_fixed_size 0
		.amdhsa_kernarg_size 100
		.amdhsa_user_sgpr_count 2
		.amdhsa_user_sgpr_dispatch_ptr 0
		.amdhsa_user_sgpr_queue_ptr 0
		.amdhsa_user_sgpr_kernarg_segment_ptr 1
		.amdhsa_user_sgpr_dispatch_id 0
		.amdhsa_user_sgpr_kernarg_preload_length 0
		.amdhsa_user_sgpr_kernarg_preload_offset 0
		.amdhsa_user_sgpr_private_segment_size 0
		.amdhsa_uses_dynamic_stack 0
		.amdhsa_enable_private_segment 0
		.amdhsa_system_sgpr_workgroup_id_x 1
		.amdhsa_system_sgpr_workgroup_id_y 1
		.amdhsa_system_sgpr_workgroup_id_z 1
		.amdhsa_system_sgpr_workgroup_info 0
		.amdhsa_system_vgpr_workitem_id 1
		.amdhsa_next_free_vgpr 52
		.amdhsa_next_free_sgpr 30
		.amdhsa_accum_offset 52
		.amdhsa_reserve_vcc 1
		.amdhsa_float_round_mode_32 0
		.amdhsa_float_round_mode_16_64 0
		.amdhsa_float_denorm_mode_32 3
		.amdhsa_float_denorm_mode_16_64 3
		.amdhsa_dx10_clamp 1
		.amdhsa_ieee_mode 1
		.amdhsa_fp16_overflow 0
		.amdhsa_tg_split 0
		.amdhsa_exception_fp_ieee_invalid_op 0
		.amdhsa_exception_fp_denorm_src 0
		.amdhsa_exception_fp_ieee_div_zero 0
		.amdhsa_exception_fp_ieee_overflow 0
		.amdhsa_exception_fp_ieee_underflow 0
		.amdhsa_exception_fp_ieee_inexact 0
		.amdhsa_exception_int_div_zero 0
	.end_amdhsa_kernel
	.section	.text._ZL29rocblas_internal_gemmt_kernelIiLi16ELi32ELi8ELc78ELc67ELc76ELb0ELb0EdPKdS1_PdEviT_T9_T10_S3_lS5_S3_lS4_T11_S3_li,"axG",@progbits,_ZL29rocblas_internal_gemmt_kernelIiLi16ELi32ELi8ELc78ELc67ELc76ELb0ELb0EdPKdS1_PdEviT_T9_T10_S3_lS5_S3_lS4_T11_S3_li,comdat
.Lfunc_end47:
	.size	_ZL29rocblas_internal_gemmt_kernelIiLi16ELi32ELi8ELc78ELc67ELc76ELb0ELb0EdPKdS1_PdEviT_T9_T10_S3_lS5_S3_lS4_T11_S3_li, .Lfunc_end47-_ZL29rocblas_internal_gemmt_kernelIiLi16ELi32ELi8ELc78ELc67ELc76ELb0ELb0EdPKdS1_PdEviT_T9_T10_S3_lS5_S3_lS4_T11_S3_li
                                        ; -- End function
	.set _ZL29rocblas_internal_gemmt_kernelIiLi16ELi32ELi8ELc78ELc67ELc76ELb0ELb0EdPKdS1_PdEviT_T9_T10_S3_lS5_S3_lS4_T11_S3_li.num_vgpr, 52
	.set _ZL29rocblas_internal_gemmt_kernelIiLi16ELi32ELi8ELc78ELc67ELc76ELb0ELb0EdPKdS1_PdEviT_T9_T10_S3_lS5_S3_lS4_T11_S3_li.num_agpr, 0
	.set _ZL29rocblas_internal_gemmt_kernelIiLi16ELi32ELi8ELc78ELc67ELc76ELb0ELb0EdPKdS1_PdEviT_T9_T10_S3_lS5_S3_lS4_T11_S3_li.numbered_sgpr, 30
	.set _ZL29rocblas_internal_gemmt_kernelIiLi16ELi32ELi8ELc78ELc67ELc76ELb0ELb0EdPKdS1_PdEviT_T9_T10_S3_lS5_S3_lS4_T11_S3_li.num_named_barrier, 0
	.set _ZL29rocblas_internal_gemmt_kernelIiLi16ELi32ELi8ELc78ELc67ELc76ELb0ELb0EdPKdS1_PdEviT_T9_T10_S3_lS5_S3_lS4_T11_S3_li.private_seg_size, 0
	.set _ZL29rocblas_internal_gemmt_kernelIiLi16ELi32ELi8ELc78ELc67ELc76ELb0ELb0EdPKdS1_PdEviT_T9_T10_S3_lS5_S3_lS4_T11_S3_li.uses_vcc, 1
	.set _ZL29rocblas_internal_gemmt_kernelIiLi16ELi32ELi8ELc78ELc67ELc76ELb0ELb0EdPKdS1_PdEviT_T9_T10_S3_lS5_S3_lS4_T11_S3_li.uses_flat_scratch, 0
	.set _ZL29rocblas_internal_gemmt_kernelIiLi16ELi32ELi8ELc78ELc67ELc76ELb0ELb0EdPKdS1_PdEviT_T9_T10_S3_lS5_S3_lS4_T11_S3_li.has_dyn_sized_stack, 0
	.set _ZL29rocblas_internal_gemmt_kernelIiLi16ELi32ELi8ELc78ELc67ELc76ELb0ELb0EdPKdS1_PdEviT_T9_T10_S3_lS5_S3_lS4_T11_S3_li.has_recursion, 0
	.set _ZL29rocblas_internal_gemmt_kernelIiLi16ELi32ELi8ELc78ELc67ELc76ELb0ELb0EdPKdS1_PdEviT_T9_T10_S3_lS5_S3_lS4_T11_S3_li.has_indirect_call, 0
	.section	.AMDGPU.csdata,"",@progbits
; Kernel info:
; codeLenInByte = 1312
; TotalNumSgprs: 36
; NumVgprs: 52
; NumAgprs: 0
; TotalNumVgprs: 52
; ScratchSize: 0
; MemoryBound: 0
; FloatMode: 240
; IeeeMode: 1
; LDSByteSize: 4096 bytes/workgroup (compile time only)
; SGPRBlocks: 4
; VGPRBlocks: 6
; NumSGPRsForWavesPerEU: 36
; NumVGPRsForWavesPerEU: 52
; AccumOffset: 52
; Occupancy: 8
; WaveLimiterHint : 0
; COMPUTE_PGM_RSRC2:SCRATCH_EN: 0
; COMPUTE_PGM_RSRC2:USER_SGPR: 2
; COMPUTE_PGM_RSRC2:TRAP_HANDLER: 0
; COMPUTE_PGM_RSRC2:TGID_X_EN: 1
; COMPUTE_PGM_RSRC2:TGID_Y_EN: 1
; COMPUTE_PGM_RSRC2:TGID_Z_EN: 1
; COMPUTE_PGM_RSRC2:TIDIG_COMP_CNT: 1
; COMPUTE_PGM_RSRC3_GFX90A:ACCUM_OFFSET: 12
; COMPUTE_PGM_RSRC3_GFX90A:TG_SPLIT: 0
	.section	.text._ZL29rocblas_internal_gemmt_kernelIiLi16ELi32ELi8ELc84ELc78ELc76ELb0ELb0EdPKdS1_PdEviT_T9_T10_S3_lS5_S3_lS4_T11_S3_li,"axG",@progbits,_ZL29rocblas_internal_gemmt_kernelIiLi16ELi32ELi8ELc84ELc78ELc76ELb0ELb0EdPKdS1_PdEviT_T9_T10_S3_lS5_S3_lS4_T11_S3_li,comdat
	.globl	_ZL29rocblas_internal_gemmt_kernelIiLi16ELi32ELi8ELc84ELc78ELc76ELb0ELb0EdPKdS1_PdEviT_T9_T10_S3_lS5_S3_lS4_T11_S3_li ; -- Begin function _ZL29rocblas_internal_gemmt_kernelIiLi16ELi32ELi8ELc84ELc78ELc76ELb0ELb0EdPKdS1_PdEviT_T9_T10_S3_lS5_S3_lS4_T11_S3_li
	.p2align	8
	.type	_ZL29rocblas_internal_gemmt_kernelIiLi16ELi32ELi8ELc84ELc78ELc76ELb0ELb0EdPKdS1_PdEviT_T9_T10_S3_lS5_S3_lS4_T11_S3_li,@function
_ZL29rocblas_internal_gemmt_kernelIiLi16ELi32ELi8ELc84ELc78ELc76ELb0ELb0EdPKdS1_PdEviT_T9_T10_S3_lS5_S3_lS4_T11_S3_li: ; @_ZL29rocblas_internal_gemmt_kernelIiLi16ELi32ELi8ELc84ELc78ELc76ELb0ELb0EdPKdS1_PdEviT_T9_T10_S3_lS5_S3_lS4_T11_S3_li
; %bb.0:
	s_load_dwordx4 s[8:11], s[0:1], 0x38
	s_load_dwordx4 s[12:15], s[0:1], 0x8
	s_waitcnt lgkmcnt(0)
	s_load_dwordx2 s[20:21], s[10:11], 0x0
	s_load_dwordx2 s[24:25], s[0:1], 0x0
	s_load_dwordx2 s[22:23], s[12:13], 0x0
	s_waitcnt lgkmcnt(0)
	v_cmp_neq_f64_e64 s[6:7], s[20:21], 1.0
	s_and_b64 vcc, exec, s[6:7]
	s_cbranch_vccnz .LBB48_2
; %bb.1:
	s_cmp_lg_u32 s25, 0
	s_cselect_b64 s[6:7], -1, 0
	v_cmp_neq_f64_e64 s[10:11], s[22:23], 0
	s_and_b64 s[6:7], s[6:7], s[10:11]
.LBB48_2:
	s_andn2_b64 vcc, exec, s[6:7]
	s_cbranch_vccnz .LBB48_26
; %bb.3:
	s_load_dwordx2 s[10:11], s[0:1], 0x48
	s_lshl_b32 s12, s2, 5
	s_lshl_b32 s5, s3, 5
	s_cmp_lt_i32 s25, 1
	v_cmp_eq_f64_e64 s[2:3], s[22:23], 0
	s_cselect_b64 s[6:7], -1, 0
	s_or_b64 s[2:3], s[2:3], s[6:7]
	v_and_b32_e32 v13, 0x3ff, v0
	v_bfe_u32 v12, v0, 10, 10
	s_mov_b32 s13, 0
	v_mov_b64_e32 v[6:7], 0
	s_and_b64 vcc, exec, s[2:3]
	v_mov_b64_e32 v[4:5], 0
	v_mov_b64_e32 v[2:3], 0
	;; [unrolled: 1-line block ×3, first 2 shown]
	s_cbranch_vccnz .LBB48_10
; %bb.4:
	v_lshl_add_u32 v0, v12, 4, v13
	v_and_b32_e32 v2, 31, v0
	v_lshrrev_b32_e32 v15, 5, v0
	v_lshrrev_b32_e32 v1, 3, v0
	v_or_b32_e32 v0, s12, v2
	v_and_b32_e32 v14, 7, v13
	v_cmp_gt_i32_e32 vcc, s24, v0
	v_lshlrev_b32_e32 v0, 3, v2
	v_lshl_or_b32 v16, v15, 8, v0
	v_lshlrev_b32_e32 v0, 3, v14
	s_load_dword s6, s[0:1], 0x18
	s_load_dwordx4 s[16:19], s[0:1], 0x20
	s_load_dword s26, s[0:1], 0x30
	v_add_u32_e32 v6, s5, v1
	v_lshl_or_b32 v1, v1, 6, v0
	v_add_u32_e32 v17, 0x800, v1
	v_mov_b32_e32 v1, 0x800
	v_lshl_add_u32 v19, v12, 6, v1
	v_add_u32_e32 v1, s12, v2
	s_waitcnt lgkmcnt(0)
	v_mad_i64_i32 v[2:3], s[6:7], s6, v1, 0
	s_mul_i32 s6, s17, s4
	s_mul_hi_u32 s7, s16, s4
	s_add_i32 s7, s7, s6
	s_mul_i32 s6, s16, s4
	s_lshl_b64 s[6:7], s[6:7], 3
	v_lshl_add_u64 v[2:3], v[2:3], 3, s[6:7]
	v_lshlrev_b32_e32 v4, 3, v15
	v_mov_b32_e32 v5, 0
	v_lshl_add_u64 v[2:3], v[2:3], 0, v[4:5]
	v_lshl_add_u64 v[8:9], s[14:15], 0, v[2:3]
	v_mad_i64_i32 v[2:3], s[6:7], s26, v6, 0
	s_mul_i32 s6, s9, s4
	s_mul_hi_u32 s7, s8, s4
	s_add_i32 s7, s7, s6
	s_mul_i32 s6, s8, s4
	s_lshl_b64 s[6:7], s[6:7], 3
	v_lshl_add_u64 v[2:3], v[2:3], 3, s[6:7]
	v_mov_b32_e32 v1, v5
	v_lshl_add_u64 v[0:1], v[2:3], 0, v[0:1]
	v_cmp_gt_i32_e64 s[2:3], s24, v6
	v_lshlrev_b32_e32 v18, 3, v13
	v_lshl_add_u64 v[10:11], s[18:19], 0, v[0:1]
	v_mov_b64_e32 v[0:1], 0
	v_mov_b64_e32 v[2:3], 0
	v_mov_b64_e32 v[4:5], 0
	v_mov_b64_e32 v[6:7], 0
	s_branch .LBB48_6
.LBB48_5:                               ;   in Loop: Header=BB48_6 Depth=1
	s_or_b64 exec, exec, s[6:7]
	s_waitcnt vmcnt(0)
	ds_write_b64 v17, v[20:21]
	s_waitcnt lgkmcnt(0)
	s_barrier
	ds_read2_b64 v[20:23], v18 offset1:16
	ds_read_b128 v[24:27], v19
	ds_read_b128 v[28:31], v19 offset:16
	ds_read_b128 v[32:35], v19 offset:32
	;; [unrolled: 1-line block ×4, first 2 shown]
	ds_read2_b64 v[44:47], v18 offset0:32 offset1:48
	s_waitcnt lgkmcnt(5)
	v_fmac_f64_e32 v[6:7], v[20:21], v[24:25]
	v_fmac_f64_e32 v[4:5], v[22:23], v[24:25]
	ds_read_b128 v[48:51], v19 offset:1040
	s_waitcnt lgkmcnt(2)
	v_fmac_f64_e32 v[2:3], v[20:21], v[40:41]
	v_fmac_f64_e32 v[0:1], v[22:23], v[40:41]
	ds_read2_b64 v[20:23], v18 offset0:64 offset1:80
	s_waitcnt lgkmcnt(2)
	v_fmac_f64_e32 v[6:7], v[44:45], v[26:27]
	v_fmac_f64_e32 v[4:5], v[46:47], v[26:27]
	ds_read2_b64 v[24:27], v18 offset0:96 offset1:112
	v_fmac_f64_e32 v[2:3], v[44:45], v[42:43]
	v_fmac_f64_e32 v[0:1], v[46:47], v[42:43]
	s_waitcnt lgkmcnt(1)
	v_fmac_f64_e32 v[6:7], v[20:21], v[28:29]
	v_fmac_f64_e32 v[4:5], v[22:23], v[28:29]
	ds_read_b128 v[40:43], v19 offset:1072
	v_fmac_f64_e32 v[2:3], v[20:21], v[48:49]
	v_fmac_f64_e32 v[0:1], v[22:23], v[48:49]
	s_waitcnt lgkmcnt(1)
	v_fmac_f64_e32 v[6:7], v[24:25], v[30:31]
	ds_read2_b64 v[20:23], v18 offset0:128 offset1:144
	v_fmac_f64_e32 v[4:5], v[26:27], v[30:31]
	v_fmac_f64_e32 v[2:3], v[24:25], v[50:51]
	;; [unrolled: 1-line block ×3, first 2 shown]
	ds_read_b128 v[24:27], v19 offset:1056
	ds_read2_b64 v[28:31], v18 offset0:160 offset1:176
	s_waitcnt lgkmcnt(2)
	v_fmac_f64_e32 v[6:7], v[20:21], v[32:33]
	v_fmac_f64_e32 v[4:5], v[22:23], v[32:33]
	s_add_i32 s13, s13, 8
	s_waitcnt lgkmcnt(1)
	v_fmac_f64_e32 v[2:3], v[20:21], v[24:25]
	v_fmac_f64_e32 v[0:1], v[22:23], v[24:25]
	ds_read2_b64 v[20:23], v18 offset0:192 offset1:208
	s_waitcnt lgkmcnt(1)
	v_fmac_f64_e32 v[2:3], v[28:29], v[26:27]
	v_fmac_f64_e32 v[0:1], v[30:31], v[26:27]
	ds_read2_b64 v[24:27], v18 offset0:224 offset1:240
	v_fmac_f64_e32 v[6:7], v[28:29], v[34:35]
	v_fmac_f64_e32 v[4:5], v[30:31], v[34:35]
	s_waitcnt lgkmcnt(1)
	v_fmac_f64_e32 v[6:7], v[20:21], v[36:37]
	v_fmac_f64_e32 v[4:5], v[22:23], v[36:37]
	;; [unrolled: 1-line block ×4, first 2 shown]
	s_waitcnt lgkmcnt(0)
	v_fmac_f64_e32 v[6:7], v[24:25], v[38:39]
	v_fmac_f64_e32 v[4:5], v[26:27], v[38:39]
	;; [unrolled: 1-line block ×4, first 2 shown]
	v_lshl_add_u64 v[8:9], v[8:9], 0, 64
	s_cmp_lt_i32 s13, s25
	v_lshl_add_u64 v[10:11], v[10:11], 0, 64
	s_barrier
	s_cbranch_scc0 .LBB48_10
.LBB48_6:                               ; =>This Inner Loop Header: Depth=1
	v_add_u32_e32 v20, s13, v15
	v_cmp_gt_i32_e64 s[6:7], s25, v20
	s_and_b64 s[8:9], vcc, s[6:7]
	v_mov_b64_e32 v[20:21], 0
	s_and_saveexec_b64 s[6:7], s[8:9]
	s_cbranch_execz .LBB48_8
; %bb.7:                                ;   in Loop: Header=BB48_6 Depth=1
	global_load_dwordx2 v[20:21], v[8:9], off
.LBB48_8:                               ;   in Loop: Header=BB48_6 Depth=1
	s_or_b64 exec, exec, s[6:7]
	s_waitcnt vmcnt(0)
	ds_write_b64 v16, v[20:21]
	v_add_u32_e32 v20, s13, v14
	v_cmp_gt_i32_e64 s[6:7], s25, v20
	s_and_b64 s[8:9], s[6:7], s[2:3]
	v_mov_b64_e32 v[20:21], 0
	s_and_saveexec_b64 s[6:7], s[8:9]
	s_cbranch_execz .LBB48_5
; %bb.9:                                ;   in Loop: Header=BB48_6 Depth=1
	global_load_dwordx2 v[20:21], v[10:11], off
	s_branch .LBB48_5
.LBB48_10:
	s_load_dwordx2 s[2:3], s[0:1], 0x58
	s_load_dword s13, s[0:1], 0x50
	v_add_u32_e32 v14, s5, v12
	v_add_u32_e32 v8, s12, v13
	v_cmp_le_i32_e32 vcc, v14, v8
	s_waitcnt lgkmcnt(0)
	s_mul_i32 s1, s3, s4
	s_mul_hi_u32 s3, s2, s4
	s_mul_i32 s0, s2, s4
	s_add_i32 s1, s3, s1
	s_lshl_b64 s[0:1], s[0:1], 3
	s_add_u32 s6, s10, s0
	s_addc_u32 s7, s11, s1
	v_mad_i64_i32 v[10:11], s[0:1], v14, s13, 0
	v_cmp_neq_f64_e64 s[0:1], s[20:21], 0
	v_cmp_gt_i32_e64 s[2:3], s24, v8
	v_lshl_add_u64 v[10:11], v[10:11], 3, s[6:7]
	v_cndmask_b32_e64 v12, 0, 1, s[0:1]
	s_and_b64 s[8:9], vcc, s[2:3]
	v_ashrrev_i32_e32 v9, 31, v8
	v_cmp_ne_u32_e64 s[0:1], 1, v12
	s_and_saveexec_b64 s[4:5], s[8:9]
	s_cbranch_execz .LBB48_14
; %bb.11:
	v_mul_f64 v[6:7], s[22:23], v[6:7]
	s_and_b64 vcc, exec, s[0:1]
	v_lshl_add_u64 v[12:13], v[8:9], 3, v[10:11]
	s_cbranch_vccnz .LBB48_13
; %bb.12:
	global_load_dwordx2 v[16:17], v[12:13], off
	s_waitcnt vmcnt(0)
	v_fmac_f64_e32 v[6:7], s[20:21], v[16:17]
.LBB48_13:
	global_store_dwordx2 v[12:13], v[6:7], off
.LBB48_14:
	s_or_b64 exec, exec, s[4:5]
	v_add_u32_e32 v6, 16, v8
	v_cmp_le_i32_e32 vcc, v14, v6
	v_cmp_gt_i32_e64 s[4:5], s24, v6
	s_and_b64 s[10:11], vcc, s[4:5]
	v_ashrrev_i32_e32 v7, 31, v6
	s_and_saveexec_b64 s[8:9], s[10:11]
	s_cbranch_execz .LBB48_18
; %bb.15:
	v_mul_f64 v[4:5], s[22:23], v[4:5]
	s_and_b64 vcc, exec, s[0:1]
	v_lshl_add_u64 v[10:11], v[6:7], 3, v[10:11]
	s_cbranch_vccnz .LBB48_17
; %bb.16:
	global_load_dwordx2 v[12:13], v[10:11], off
	s_waitcnt vmcnt(0)
	v_fmac_f64_e32 v[4:5], s[20:21], v[12:13]
.LBB48_17:
	global_store_dwordx2 v[10:11], v[4:5], off
.LBB48_18:
	s_or_b64 exec, exec, s[8:9]
	v_add_u32_e32 v10, 16, v14
	v_mad_i64_i32 v[4:5], s[8:9], v10, s13, 0
	v_cmp_le_i32_e32 vcc, v10, v8
	v_lshl_add_u64 v[4:5], v[4:5], 3, s[6:7]
	s_and_b64 s[6:7], vcc, s[2:3]
	s_and_saveexec_b64 s[2:3], s[6:7]
	s_cbranch_execz .LBB48_22
; %bb.19:
	v_mul_f64 v[2:3], s[22:23], v[2:3]
	s_and_b64 vcc, exec, s[0:1]
	v_lshl_add_u64 v[8:9], v[8:9], 3, v[4:5]
	s_cbranch_vccnz .LBB48_21
; %bb.20:
	global_load_dwordx2 v[12:13], v[8:9], off
	s_waitcnt vmcnt(0)
	v_fmac_f64_e32 v[2:3], s[20:21], v[12:13]
.LBB48_21:
	global_store_dwordx2 v[8:9], v[2:3], off
.LBB48_22:
	s_or_b64 exec, exec, s[2:3]
	v_cmp_le_i32_e32 vcc, v10, v6
	s_and_b64 s[2:3], vcc, s[4:5]
	s_and_saveexec_b64 s[4:5], s[2:3]
	s_cbranch_execz .LBB48_26
; %bb.23:
	v_mul_f64 v[0:1], s[22:23], v[0:1]
	s_and_b64 vcc, exec, s[0:1]
	v_lshl_add_u64 v[2:3], v[6:7], 3, v[4:5]
	s_cbranch_vccnz .LBB48_25
; %bb.24:
	global_load_dwordx2 v[4:5], v[2:3], off
	s_waitcnt vmcnt(0)
	v_fmac_f64_e32 v[0:1], s[20:21], v[4:5]
.LBB48_25:
	global_store_dwordx2 v[2:3], v[0:1], off
.LBB48_26:
	s_endpgm
	.section	.rodata,"a",@progbits
	.p2align	6, 0x0
	.amdhsa_kernel _ZL29rocblas_internal_gemmt_kernelIiLi16ELi32ELi8ELc84ELc78ELc76ELb0ELb0EdPKdS1_PdEviT_T9_T10_S3_lS5_S3_lS4_T11_S3_li
		.amdhsa_group_segment_fixed_size 4096
		.amdhsa_private_segment_fixed_size 0
		.amdhsa_kernarg_size 100
		.amdhsa_user_sgpr_count 2
		.amdhsa_user_sgpr_dispatch_ptr 0
		.amdhsa_user_sgpr_queue_ptr 0
		.amdhsa_user_sgpr_kernarg_segment_ptr 1
		.amdhsa_user_sgpr_dispatch_id 0
		.amdhsa_user_sgpr_kernarg_preload_length 0
		.amdhsa_user_sgpr_kernarg_preload_offset 0
		.amdhsa_user_sgpr_private_segment_size 0
		.amdhsa_uses_dynamic_stack 0
		.amdhsa_enable_private_segment 0
		.amdhsa_system_sgpr_workgroup_id_x 1
		.amdhsa_system_sgpr_workgroup_id_y 1
		.amdhsa_system_sgpr_workgroup_id_z 1
		.amdhsa_system_sgpr_workgroup_info 0
		.amdhsa_system_vgpr_workitem_id 1
		.amdhsa_next_free_vgpr 52
		.amdhsa_next_free_sgpr 27
		.amdhsa_accum_offset 52
		.amdhsa_reserve_vcc 1
		.amdhsa_float_round_mode_32 0
		.amdhsa_float_round_mode_16_64 0
		.amdhsa_float_denorm_mode_32 3
		.amdhsa_float_denorm_mode_16_64 3
		.amdhsa_dx10_clamp 1
		.amdhsa_ieee_mode 1
		.amdhsa_fp16_overflow 0
		.amdhsa_tg_split 0
		.amdhsa_exception_fp_ieee_invalid_op 0
		.amdhsa_exception_fp_denorm_src 0
		.amdhsa_exception_fp_ieee_div_zero 0
		.amdhsa_exception_fp_ieee_overflow 0
		.amdhsa_exception_fp_ieee_underflow 0
		.amdhsa_exception_fp_ieee_inexact 0
		.amdhsa_exception_int_div_zero 0
	.end_amdhsa_kernel
	.section	.text._ZL29rocblas_internal_gemmt_kernelIiLi16ELi32ELi8ELc84ELc78ELc76ELb0ELb0EdPKdS1_PdEviT_T9_T10_S3_lS5_S3_lS4_T11_S3_li,"axG",@progbits,_ZL29rocblas_internal_gemmt_kernelIiLi16ELi32ELi8ELc84ELc78ELc76ELb0ELb0EdPKdS1_PdEviT_T9_T10_S3_lS5_S3_lS4_T11_S3_li,comdat
.Lfunc_end48:
	.size	_ZL29rocblas_internal_gemmt_kernelIiLi16ELi32ELi8ELc84ELc78ELc76ELb0ELb0EdPKdS1_PdEviT_T9_T10_S3_lS5_S3_lS4_T11_S3_li, .Lfunc_end48-_ZL29rocblas_internal_gemmt_kernelIiLi16ELi32ELi8ELc84ELc78ELc76ELb0ELb0EdPKdS1_PdEviT_T9_T10_S3_lS5_S3_lS4_T11_S3_li
                                        ; -- End function
	.set _ZL29rocblas_internal_gemmt_kernelIiLi16ELi32ELi8ELc84ELc78ELc76ELb0ELb0EdPKdS1_PdEviT_T9_T10_S3_lS5_S3_lS4_T11_S3_li.num_vgpr, 52
	.set _ZL29rocblas_internal_gemmt_kernelIiLi16ELi32ELi8ELc84ELc78ELc76ELb0ELb0EdPKdS1_PdEviT_T9_T10_S3_lS5_S3_lS4_T11_S3_li.num_agpr, 0
	.set _ZL29rocblas_internal_gemmt_kernelIiLi16ELi32ELi8ELc84ELc78ELc76ELb0ELb0EdPKdS1_PdEviT_T9_T10_S3_lS5_S3_lS4_T11_S3_li.numbered_sgpr, 27
	.set _ZL29rocblas_internal_gemmt_kernelIiLi16ELi32ELi8ELc84ELc78ELc76ELb0ELb0EdPKdS1_PdEviT_T9_T10_S3_lS5_S3_lS4_T11_S3_li.num_named_barrier, 0
	.set _ZL29rocblas_internal_gemmt_kernelIiLi16ELi32ELi8ELc84ELc78ELc76ELb0ELb0EdPKdS1_PdEviT_T9_T10_S3_lS5_S3_lS4_T11_S3_li.private_seg_size, 0
	.set _ZL29rocblas_internal_gemmt_kernelIiLi16ELi32ELi8ELc84ELc78ELc76ELb0ELb0EdPKdS1_PdEviT_T9_T10_S3_lS5_S3_lS4_T11_S3_li.uses_vcc, 1
	.set _ZL29rocblas_internal_gemmt_kernelIiLi16ELi32ELi8ELc84ELc78ELc76ELb0ELb0EdPKdS1_PdEviT_T9_T10_S3_lS5_S3_lS4_T11_S3_li.uses_flat_scratch, 0
	.set _ZL29rocblas_internal_gemmt_kernelIiLi16ELi32ELi8ELc84ELc78ELc76ELb0ELb0EdPKdS1_PdEviT_T9_T10_S3_lS5_S3_lS4_T11_S3_li.has_dyn_sized_stack, 0
	.set _ZL29rocblas_internal_gemmt_kernelIiLi16ELi32ELi8ELc84ELc78ELc76ELb0ELb0EdPKdS1_PdEviT_T9_T10_S3_lS5_S3_lS4_T11_S3_li.has_recursion, 0
	.set _ZL29rocblas_internal_gemmt_kernelIiLi16ELi32ELi8ELc84ELc78ELc76ELb0ELb0EdPKdS1_PdEviT_T9_T10_S3_lS5_S3_lS4_T11_S3_li.has_indirect_call, 0
	.section	.AMDGPU.csdata,"",@progbits
; Kernel info:
; codeLenInByte = 1296
; TotalNumSgprs: 33
; NumVgprs: 52
; NumAgprs: 0
; TotalNumVgprs: 52
; ScratchSize: 0
; MemoryBound: 0
; FloatMode: 240
; IeeeMode: 1
; LDSByteSize: 4096 bytes/workgroup (compile time only)
; SGPRBlocks: 4
; VGPRBlocks: 6
; NumSGPRsForWavesPerEU: 33
; NumVGPRsForWavesPerEU: 52
; AccumOffset: 52
; Occupancy: 8
; WaveLimiterHint : 0
; COMPUTE_PGM_RSRC2:SCRATCH_EN: 0
; COMPUTE_PGM_RSRC2:USER_SGPR: 2
; COMPUTE_PGM_RSRC2:TRAP_HANDLER: 0
; COMPUTE_PGM_RSRC2:TGID_X_EN: 1
; COMPUTE_PGM_RSRC2:TGID_Y_EN: 1
; COMPUTE_PGM_RSRC2:TGID_Z_EN: 1
; COMPUTE_PGM_RSRC2:TIDIG_COMP_CNT: 1
; COMPUTE_PGM_RSRC3_GFX90A:ACCUM_OFFSET: 12
; COMPUTE_PGM_RSRC3_GFX90A:TG_SPLIT: 0
	.section	.text._ZL29rocblas_internal_gemmt_kernelIiLi16ELi32ELi8ELc84ELc84ELc76ELb0ELb0EdPKdS1_PdEviT_T9_T10_S3_lS5_S3_lS4_T11_S3_li,"axG",@progbits,_ZL29rocblas_internal_gemmt_kernelIiLi16ELi32ELi8ELc84ELc84ELc76ELb0ELb0EdPKdS1_PdEviT_T9_T10_S3_lS5_S3_lS4_T11_S3_li,comdat
	.globl	_ZL29rocblas_internal_gemmt_kernelIiLi16ELi32ELi8ELc84ELc84ELc76ELb0ELb0EdPKdS1_PdEviT_T9_T10_S3_lS5_S3_lS4_T11_S3_li ; -- Begin function _ZL29rocblas_internal_gemmt_kernelIiLi16ELi32ELi8ELc84ELc84ELc76ELb0ELb0EdPKdS1_PdEviT_T9_T10_S3_lS5_S3_lS4_T11_S3_li
	.p2align	8
	.type	_ZL29rocblas_internal_gemmt_kernelIiLi16ELi32ELi8ELc84ELc84ELc76ELb0ELb0EdPKdS1_PdEviT_T9_T10_S3_lS5_S3_lS4_T11_S3_li,@function
_ZL29rocblas_internal_gemmt_kernelIiLi16ELi32ELi8ELc84ELc84ELc76ELb0ELb0EdPKdS1_PdEviT_T9_T10_S3_lS5_S3_lS4_T11_S3_li: ; @_ZL29rocblas_internal_gemmt_kernelIiLi16ELi32ELi8ELc84ELc84ELc76ELb0ELb0EdPKdS1_PdEviT_T9_T10_S3_lS5_S3_lS4_T11_S3_li
; %bb.0:
	s_load_dwordx4 s[8:11], s[0:1], 0x38
	s_load_dwordx4 s[12:15], s[0:1], 0x8
	s_waitcnt lgkmcnt(0)
	s_load_dwordx2 s[20:21], s[10:11], 0x0
	s_load_dwordx2 s[24:25], s[0:1], 0x0
	;; [unrolled: 1-line block ×3, first 2 shown]
	s_waitcnt lgkmcnt(0)
	v_cmp_neq_f64_e64 s[6:7], s[20:21], 1.0
	s_and_b64 vcc, exec, s[6:7]
	s_cbranch_vccnz .LBB49_2
; %bb.1:
	s_cmp_lg_u32 s25, 0
	s_cselect_b64 s[6:7], -1, 0
	v_cmp_neq_f64_e64 s[10:11], s[22:23], 0
	s_and_b64 s[6:7], s[6:7], s[10:11]
.LBB49_2:
	s_andn2_b64 vcc, exec, s[6:7]
	s_cbranch_vccnz .LBB49_26
; %bb.3:
	s_load_dwordx2 s[10:11], s[0:1], 0x48
	s_lshl_b32 s12, s2, 5
	s_lshl_b32 s5, s3, 5
	s_cmp_lt_i32 s25, 1
	v_cmp_eq_f64_e64 s[2:3], s[22:23], 0
	s_cselect_b64 s[6:7], -1, 0
	s_or_b64 s[2:3], s[2:3], s[6:7]
	v_and_b32_e32 v13, 0x3ff, v0
	v_bfe_u32 v12, v0, 10, 10
	s_mov_b32 s13, 0
	v_mov_b64_e32 v[6:7], 0
	s_and_b64 vcc, exec, s[2:3]
	v_mov_b64_e32 v[4:5], 0
	v_mov_b64_e32 v[2:3], 0
	;; [unrolled: 1-line block ×3, first 2 shown]
	s_cbranch_vccnz .LBB49_10
; %bb.4:
	v_lshl_add_u32 v1, v12, 4, v13
	v_and_b32_e32 v3, 31, v1
	v_lshrrev_b32_e32 v15, 5, v1
	v_lshrrev_b32_e32 v2, 3, v1
	v_or_b32_e32 v1, s12, v3
	s_load_dword s26, s[0:1], 0x18
	s_load_dword s6, s[0:1], 0x30
	s_load_dwordx4 s[16:19], s[0:1], 0x20
	v_and_b32_e32 v14, 7, v13
	v_cmp_gt_i32_e32 vcc, s24, v1
	v_lshlrev_b32_e32 v1, 3, v3
	v_lshl_or_b32 v16, v15, 8, v1
	v_lshlrev_b32_e32 v1, 3, v14
	v_add_u32_e32 v0, s5, v2
	v_lshl_or_b32 v1, v2, 6, v1
	v_mov_b32_e32 v2, 0x800
	v_lshl_add_u32 v19, v12, 6, v2
	v_add_u32_e32 v2, s12, v3
	s_waitcnt lgkmcnt(0)
	v_mad_i64_i32 v[2:3], s[26:27], s26, v2, 0
	s_mul_i32 s17, s17, s4
	s_mul_hi_u32 s26, s16, s4
	s_add_i32 s17, s26, s17
	s_mul_i32 s16, s16, s4
	s_lshl_b64 s[16:17], s[16:17], 3
	v_lshl_add_u64 v[2:3], v[2:3], 3, s[16:17]
	v_lshlrev_b32_e32 v4, 3, v15
	v_mov_b32_e32 v5, 0
	v_lshl_add_u64 v[2:3], v[2:3], 0, v[4:5]
	v_lshl_add_u64 v[8:9], s[14:15], 0, v[2:3]
	s_mul_i32 s9, s9, s4
	s_mul_hi_u32 s14, s8, s4
	s_add_i32 s9, s14, s9
	v_mad_i64_i32 v[2:3], s[14:15], s6, v14, 0
	s_mul_i32 s8, s8, s4
	v_lshlrev_b64 v[2:3], 3, v[2:3]
	v_add_u32_e32 v17, 0x800, v1
	v_ashrrev_i32_e32 v1, 31, v0
	v_lshl_add_u64 v[2:3], s[8:9], 3, v[2:3]
	s_ashr_i32 s7, s6, 31
	v_cmp_gt_i32_e64 s[2:3], s24, v0
	v_lshl_add_u64 v[0:1], v[0:1], 3, v[2:3]
	v_lshlrev_b32_e32 v18, 3, v13
	v_lshl_add_u64 v[10:11], s[18:19], 0, v[0:1]
	s_lshl_b64 s[8:9], s[6:7], 6
	v_mov_b64_e32 v[0:1], 0
	v_mov_b64_e32 v[2:3], 0
	;; [unrolled: 1-line block ×4, first 2 shown]
	s_branch .LBB49_6
.LBB49_5:                               ;   in Loop: Header=BB49_6 Depth=1
	s_or_b64 exec, exec, s[6:7]
	s_waitcnt vmcnt(0)
	ds_write_b64 v17, v[20:21]
	s_waitcnt lgkmcnt(0)
	s_barrier
	ds_read2_b64 v[20:23], v18 offset1:16
	ds_read_b128 v[24:27], v19
	ds_read_b128 v[28:31], v19 offset:16
	ds_read_b128 v[32:35], v19 offset:32
	ds_read_b128 v[36:39], v19 offset:48
	ds_read_b128 v[40:43], v19 offset:1024
	ds_read2_b64 v[44:47], v18 offset0:32 offset1:48
	s_waitcnt lgkmcnt(5)
	v_fmac_f64_e32 v[6:7], v[20:21], v[24:25]
	v_fmac_f64_e32 v[4:5], v[22:23], v[24:25]
	ds_read_b128 v[48:51], v19 offset:1040
	s_waitcnt lgkmcnt(2)
	v_fmac_f64_e32 v[2:3], v[20:21], v[40:41]
	v_fmac_f64_e32 v[0:1], v[22:23], v[40:41]
	ds_read2_b64 v[20:23], v18 offset0:64 offset1:80
	s_waitcnt lgkmcnt(2)
	v_fmac_f64_e32 v[6:7], v[44:45], v[26:27]
	v_fmac_f64_e32 v[4:5], v[46:47], v[26:27]
	ds_read2_b64 v[24:27], v18 offset0:96 offset1:112
	v_fmac_f64_e32 v[2:3], v[44:45], v[42:43]
	v_fmac_f64_e32 v[0:1], v[46:47], v[42:43]
	s_waitcnt lgkmcnt(1)
	v_fmac_f64_e32 v[6:7], v[20:21], v[28:29]
	v_fmac_f64_e32 v[4:5], v[22:23], v[28:29]
	ds_read_b128 v[40:43], v19 offset:1072
	v_fmac_f64_e32 v[2:3], v[20:21], v[48:49]
	v_fmac_f64_e32 v[0:1], v[22:23], v[48:49]
	s_waitcnt lgkmcnt(1)
	v_fmac_f64_e32 v[6:7], v[24:25], v[30:31]
	ds_read2_b64 v[20:23], v18 offset0:128 offset1:144
	v_fmac_f64_e32 v[4:5], v[26:27], v[30:31]
	v_fmac_f64_e32 v[2:3], v[24:25], v[50:51]
	;; [unrolled: 1-line block ×3, first 2 shown]
	ds_read_b128 v[24:27], v19 offset:1056
	ds_read2_b64 v[28:31], v18 offset0:160 offset1:176
	s_waitcnt lgkmcnt(2)
	v_fmac_f64_e32 v[6:7], v[20:21], v[32:33]
	v_fmac_f64_e32 v[4:5], v[22:23], v[32:33]
	s_add_i32 s13, s13, 8
	s_waitcnt lgkmcnt(1)
	v_fmac_f64_e32 v[2:3], v[20:21], v[24:25]
	v_fmac_f64_e32 v[0:1], v[22:23], v[24:25]
	ds_read2_b64 v[20:23], v18 offset0:192 offset1:208
	s_waitcnt lgkmcnt(1)
	v_fmac_f64_e32 v[2:3], v[28:29], v[26:27]
	v_fmac_f64_e32 v[0:1], v[30:31], v[26:27]
	ds_read2_b64 v[24:27], v18 offset0:224 offset1:240
	v_fmac_f64_e32 v[6:7], v[28:29], v[34:35]
	v_fmac_f64_e32 v[4:5], v[30:31], v[34:35]
	s_waitcnt lgkmcnt(1)
	v_fmac_f64_e32 v[6:7], v[20:21], v[36:37]
	v_fmac_f64_e32 v[4:5], v[22:23], v[36:37]
	;; [unrolled: 1-line block ×4, first 2 shown]
	s_waitcnt lgkmcnt(0)
	v_fmac_f64_e32 v[6:7], v[24:25], v[38:39]
	v_fmac_f64_e32 v[4:5], v[26:27], v[38:39]
	;; [unrolled: 1-line block ×4, first 2 shown]
	v_lshl_add_u64 v[8:9], v[8:9], 0, 64
	s_cmp_lt_i32 s13, s25
	v_lshl_add_u64 v[10:11], v[10:11], 0, s[8:9]
	s_barrier
	s_cbranch_scc0 .LBB49_10
.LBB49_6:                               ; =>This Inner Loop Header: Depth=1
	v_add_u32_e32 v20, s13, v15
	v_cmp_gt_i32_e64 s[6:7], s25, v20
	s_and_b64 s[14:15], vcc, s[6:7]
	v_mov_b64_e32 v[20:21], 0
	s_and_saveexec_b64 s[6:7], s[14:15]
	s_cbranch_execz .LBB49_8
; %bb.7:                                ;   in Loop: Header=BB49_6 Depth=1
	global_load_dwordx2 v[20:21], v[8:9], off
.LBB49_8:                               ;   in Loop: Header=BB49_6 Depth=1
	s_or_b64 exec, exec, s[6:7]
	s_waitcnt vmcnt(0)
	ds_write_b64 v16, v[20:21]
	v_add_u32_e32 v20, s13, v14
	v_cmp_gt_i32_e64 s[6:7], s25, v20
	s_and_b64 s[14:15], s[6:7], s[2:3]
	v_mov_b64_e32 v[20:21], 0
	s_and_saveexec_b64 s[6:7], s[14:15]
	s_cbranch_execz .LBB49_5
; %bb.9:                                ;   in Loop: Header=BB49_6 Depth=1
	global_load_dwordx2 v[20:21], v[10:11], off
	s_branch .LBB49_5
.LBB49_10:
	s_load_dwordx2 s[2:3], s[0:1], 0x58
	s_load_dword s13, s[0:1], 0x50
	v_add_u32_e32 v14, s5, v12
	v_add_u32_e32 v8, s12, v13
	v_cmp_le_i32_e32 vcc, v14, v8
	s_waitcnt lgkmcnt(0)
	s_mul_i32 s1, s3, s4
	s_mul_hi_u32 s3, s2, s4
	s_mul_i32 s0, s2, s4
	s_add_i32 s1, s3, s1
	s_lshl_b64 s[0:1], s[0:1], 3
	s_add_u32 s6, s10, s0
	s_addc_u32 s7, s11, s1
	v_mad_i64_i32 v[10:11], s[0:1], v14, s13, 0
	v_cmp_neq_f64_e64 s[0:1], s[20:21], 0
	v_cmp_gt_i32_e64 s[2:3], s24, v8
	v_lshl_add_u64 v[10:11], v[10:11], 3, s[6:7]
	v_cndmask_b32_e64 v12, 0, 1, s[0:1]
	s_and_b64 s[8:9], vcc, s[2:3]
	v_ashrrev_i32_e32 v9, 31, v8
	v_cmp_ne_u32_e64 s[0:1], 1, v12
	s_and_saveexec_b64 s[4:5], s[8:9]
	s_cbranch_execz .LBB49_14
; %bb.11:
	v_mul_f64 v[6:7], s[22:23], v[6:7]
	s_and_b64 vcc, exec, s[0:1]
	v_lshl_add_u64 v[12:13], v[8:9], 3, v[10:11]
	s_cbranch_vccnz .LBB49_13
; %bb.12:
	global_load_dwordx2 v[16:17], v[12:13], off
	s_waitcnt vmcnt(0)
	v_fmac_f64_e32 v[6:7], s[20:21], v[16:17]
.LBB49_13:
	global_store_dwordx2 v[12:13], v[6:7], off
.LBB49_14:
	s_or_b64 exec, exec, s[4:5]
	v_add_u32_e32 v6, 16, v8
	v_cmp_le_i32_e32 vcc, v14, v6
	v_cmp_gt_i32_e64 s[4:5], s24, v6
	s_and_b64 s[10:11], vcc, s[4:5]
	v_ashrrev_i32_e32 v7, 31, v6
	s_and_saveexec_b64 s[8:9], s[10:11]
	s_cbranch_execz .LBB49_18
; %bb.15:
	v_mul_f64 v[4:5], s[22:23], v[4:5]
	s_and_b64 vcc, exec, s[0:1]
	v_lshl_add_u64 v[10:11], v[6:7], 3, v[10:11]
	s_cbranch_vccnz .LBB49_17
; %bb.16:
	global_load_dwordx2 v[12:13], v[10:11], off
	s_waitcnt vmcnt(0)
	v_fmac_f64_e32 v[4:5], s[20:21], v[12:13]
.LBB49_17:
	global_store_dwordx2 v[10:11], v[4:5], off
.LBB49_18:
	s_or_b64 exec, exec, s[8:9]
	v_add_u32_e32 v10, 16, v14
	v_mad_i64_i32 v[4:5], s[8:9], v10, s13, 0
	v_cmp_le_i32_e32 vcc, v10, v8
	v_lshl_add_u64 v[4:5], v[4:5], 3, s[6:7]
	s_and_b64 s[6:7], vcc, s[2:3]
	s_and_saveexec_b64 s[2:3], s[6:7]
	s_cbranch_execz .LBB49_22
; %bb.19:
	v_mul_f64 v[2:3], s[22:23], v[2:3]
	s_and_b64 vcc, exec, s[0:1]
	v_lshl_add_u64 v[8:9], v[8:9], 3, v[4:5]
	s_cbranch_vccnz .LBB49_21
; %bb.20:
	global_load_dwordx2 v[12:13], v[8:9], off
	s_waitcnt vmcnt(0)
	v_fmac_f64_e32 v[2:3], s[20:21], v[12:13]
.LBB49_21:
	global_store_dwordx2 v[8:9], v[2:3], off
.LBB49_22:
	s_or_b64 exec, exec, s[2:3]
	v_cmp_le_i32_e32 vcc, v10, v6
	s_and_b64 s[2:3], vcc, s[4:5]
	s_and_saveexec_b64 s[4:5], s[2:3]
	s_cbranch_execz .LBB49_26
; %bb.23:
	v_mul_f64 v[0:1], s[22:23], v[0:1]
	s_and_b64 vcc, exec, s[0:1]
	v_lshl_add_u64 v[2:3], v[6:7], 3, v[4:5]
	s_cbranch_vccnz .LBB49_25
; %bb.24:
	global_load_dwordx2 v[4:5], v[2:3], off
	s_waitcnt vmcnt(0)
	v_fmac_f64_e32 v[0:1], s[20:21], v[4:5]
.LBB49_25:
	global_store_dwordx2 v[2:3], v[0:1], off
.LBB49_26:
	s_endpgm
	.section	.rodata,"a",@progbits
	.p2align	6, 0x0
	.amdhsa_kernel _ZL29rocblas_internal_gemmt_kernelIiLi16ELi32ELi8ELc84ELc84ELc76ELb0ELb0EdPKdS1_PdEviT_T9_T10_S3_lS5_S3_lS4_T11_S3_li
		.amdhsa_group_segment_fixed_size 4096
		.amdhsa_private_segment_fixed_size 0
		.amdhsa_kernarg_size 100
		.amdhsa_user_sgpr_count 2
		.amdhsa_user_sgpr_dispatch_ptr 0
		.amdhsa_user_sgpr_queue_ptr 0
		.amdhsa_user_sgpr_kernarg_segment_ptr 1
		.amdhsa_user_sgpr_dispatch_id 0
		.amdhsa_user_sgpr_kernarg_preload_length 0
		.amdhsa_user_sgpr_kernarg_preload_offset 0
		.amdhsa_user_sgpr_private_segment_size 0
		.amdhsa_uses_dynamic_stack 0
		.amdhsa_enable_private_segment 0
		.amdhsa_system_sgpr_workgroup_id_x 1
		.amdhsa_system_sgpr_workgroup_id_y 1
		.amdhsa_system_sgpr_workgroup_id_z 1
		.amdhsa_system_sgpr_workgroup_info 0
		.amdhsa_system_vgpr_workitem_id 1
		.amdhsa_next_free_vgpr 52
		.amdhsa_next_free_sgpr 28
		.amdhsa_accum_offset 52
		.amdhsa_reserve_vcc 1
		.amdhsa_float_round_mode_32 0
		.amdhsa_float_round_mode_16_64 0
		.amdhsa_float_denorm_mode_32 3
		.amdhsa_float_denorm_mode_16_64 3
		.amdhsa_dx10_clamp 1
		.amdhsa_ieee_mode 1
		.amdhsa_fp16_overflow 0
		.amdhsa_tg_split 0
		.amdhsa_exception_fp_ieee_invalid_op 0
		.amdhsa_exception_fp_denorm_src 0
		.amdhsa_exception_fp_ieee_div_zero 0
		.amdhsa_exception_fp_ieee_overflow 0
		.amdhsa_exception_fp_ieee_underflow 0
		.amdhsa_exception_fp_ieee_inexact 0
		.amdhsa_exception_int_div_zero 0
	.end_amdhsa_kernel
	.section	.text._ZL29rocblas_internal_gemmt_kernelIiLi16ELi32ELi8ELc84ELc84ELc76ELb0ELb0EdPKdS1_PdEviT_T9_T10_S3_lS5_S3_lS4_T11_S3_li,"axG",@progbits,_ZL29rocblas_internal_gemmt_kernelIiLi16ELi32ELi8ELc84ELc84ELc76ELb0ELb0EdPKdS1_PdEviT_T9_T10_S3_lS5_S3_lS4_T11_S3_li,comdat
.Lfunc_end49:
	.size	_ZL29rocblas_internal_gemmt_kernelIiLi16ELi32ELi8ELc84ELc84ELc76ELb0ELb0EdPKdS1_PdEviT_T9_T10_S3_lS5_S3_lS4_T11_S3_li, .Lfunc_end49-_ZL29rocblas_internal_gemmt_kernelIiLi16ELi32ELi8ELc84ELc84ELc76ELb0ELb0EdPKdS1_PdEviT_T9_T10_S3_lS5_S3_lS4_T11_S3_li
                                        ; -- End function
	.set _ZL29rocblas_internal_gemmt_kernelIiLi16ELi32ELi8ELc84ELc84ELc76ELb0ELb0EdPKdS1_PdEviT_T9_T10_S3_lS5_S3_lS4_T11_S3_li.num_vgpr, 52
	.set _ZL29rocblas_internal_gemmt_kernelIiLi16ELi32ELi8ELc84ELc84ELc76ELb0ELb0EdPKdS1_PdEviT_T9_T10_S3_lS5_S3_lS4_T11_S3_li.num_agpr, 0
	.set _ZL29rocblas_internal_gemmt_kernelIiLi16ELi32ELi8ELc84ELc84ELc76ELb0ELb0EdPKdS1_PdEviT_T9_T10_S3_lS5_S3_lS4_T11_S3_li.numbered_sgpr, 28
	.set _ZL29rocblas_internal_gemmt_kernelIiLi16ELi32ELi8ELc84ELc84ELc76ELb0ELb0EdPKdS1_PdEviT_T9_T10_S3_lS5_S3_lS4_T11_S3_li.num_named_barrier, 0
	.set _ZL29rocblas_internal_gemmt_kernelIiLi16ELi32ELi8ELc84ELc84ELc76ELb0ELb0EdPKdS1_PdEviT_T9_T10_S3_lS5_S3_lS4_T11_S3_li.private_seg_size, 0
	.set _ZL29rocblas_internal_gemmt_kernelIiLi16ELi32ELi8ELc84ELc84ELc76ELb0ELb0EdPKdS1_PdEviT_T9_T10_S3_lS5_S3_lS4_T11_S3_li.uses_vcc, 1
	.set _ZL29rocblas_internal_gemmt_kernelIiLi16ELi32ELi8ELc84ELc84ELc76ELb0ELb0EdPKdS1_PdEviT_T9_T10_S3_lS5_S3_lS4_T11_S3_li.uses_flat_scratch, 0
	.set _ZL29rocblas_internal_gemmt_kernelIiLi16ELi32ELi8ELc84ELc84ELc76ELb0ELb0EdPKdS1_PdEviT_T9_T10_S3_lS5_S3_lS4_T11_S3_li.has_dyn_sized_stack, 0
	.set _ZL29rocblas_internal_gemmt_kernelIiLi16ELi32ELi8ELc84ELc84ELc76ELb0ELb0EdPKdS1_PdEviT_T9_T10_S3_lS5_S3_lS4_T11_S3_li.has_recursion, 0
	.set _ZL29rocblas_internal_gemmt_kernelIiLi16ELi32ELi8ELc84ELc84ELc76ELb0ELb0EdPKdS1_PdEviT_T9_T10_S3_lS5_S3_lS4_T11_S3_li.has_indirect_call, 0
	.section	.AMDGPU.csdata,"",@progbits
; Kernel info:
; codeLenInByte = 1308
; TotalNumSgprs: 34
; NumVgprs: 52
; NumAgprs: 0
; TotalNumVgprs: 52
; ScratchSize: 0
; MemoryBound: 0
; FloatMode: 240
; IeeeMode: 1
; LDSByteSize: 4096 bytes/workgroup (compile time only)
; SGPRBlocks: 4
; VGPRBlocks: 6
; NumSGPRsForWavesPerEU: 34
; NumVGPRsForWavesPerEU: 52
; AccumOffset: 52
; Occupancy: 8
; WaveLimiterHint : 0
; COMPUTE_PGM_RSRC2:SCRATCH_EN: 0
; COMPUTE_PGM_RSRC2:USER_SGPR: 2
; COMPUTE_PGM_RSRC2:TRAP_HANDLER: 0
; COMPUTE_PGM_RSRC2:TGID_X_EN: 1
; COMPUTE_PGM_RSRC2:TGID_Y_EN: 1
; COMPUTE_PGM_RSRC2:TGID_Z_EN: 1
; COMPUTE_PGM_RSRC2:TIDIG_COMP_CNT: 1
; COMPUTE_PGM_RSRC3_GFX90A:ACCUM_OFFSET: 12
; COMPUTE_PGM_RSRC3_GFX90A:TG_SPLIT: 0
	.section	.text._ZL29rocblas_internal_gemmt_kernelIiLi16ELi32ELi8ELc84ELc67ELc76ELb0ELb0EdPKdS1_PdEviT_T9_T10_S3_lS5_S3_lS4_T11_S3_li,"axG",@progbits,_ZL29rocblas_internal_gemmt_kernelIiLi16ELi32ELi8ELc84ELc67ELc76ELb0ELb0EdPKdS1_PdEviT_T9_T10_S3_lS5_S3_lS4_T11_S3_li,comdat
	.globl	_ZL29rocblas_internal_gemmt_kernelIiLi16ELi32ELi8ELc84ELc67ELc76ELb0ELb0EdPKdS1_PdEviT_T9_T10_S3_lS5_S3_lS4_T11_S3_li ; -- Begin function _ZL29rocblas_internal_gemmt_kernelIiLi16ELi32ELi8ELc84ELc67ELc76ELb0ELb0EdPKdS1_PdEviT_T9_T10_S3_lS5_S3_lS4_T11_S3_li
	.p2align	8
	.type	_ZL29rocblas_internal_gemmt_kernelIiLi16ELi32ELi8ELc84ELc67ELc76ELb0ELb0EdPKdS1_PdEviT_T9_T10_S3_lS5_S3_lS4_T11_S3_li,@function
_ZL29rocblas_internal_gemmt_kernelIiLi16ELi32ELi8ELc84ELc67ELc76ELb0ELb0EdPKdS1_PdEviT_T9_T10_S3_lS5_S3_lS4_T11_S3_li: ; @_ZL29rocblas_internal_gemmt_kernelIiLi16ELi32ELi8ELc84ELc67ELc76ELb0ELb0EdPKdS1_PdEviT_T9_T10_S3_lS5_S3_lS4_T11_S3_li
; %bb.0:
	s_load_dwordx4 s[8:11], s[0:1], 0x38
	s_load_dwordx4 s[12:15], s[0:1], 0x8
	s_waitcnt lgkmcnt(0)
	s_load_dwordx2 s[20:21], s[10:11], 0x0
	s_load_dwordx2 s[24:25], s[0:1], 0x0
	;; [unrolled: 1-line block ×3, first 2 shown]
	s_waitcnt lgkmcnt(0)
	v_cmp_neq_f64_e64 s[6:7], s[20:21], 1.0
	s_and_b64 vcc, exec, s[6:7]
	s_cbranch_vccnz .LBB50_2
; %bb.1:
	s_cmp_lg_u32 s25, 0
	s_cselect_b64 s[6:7], -1, 0
	v_cmp_neq_f64_e64 s[10:11], s[22:23], 0
	s_and_b64 s[6:7], s[6:7], s[10:11]
.LBB50_2:
	s_andn2_b64 vcc, exec, s[6:7]
	s_cbranch_vccnz .LBB50_26
; %bb.3:
	s_load_dwordx2 s[10:11], s[0:1], 0x48
	s_lshl_b32 s12, s2, 5
	s_lshl_b32 s5, s3, 5
	s_cmp_lt_i32 s25, 1
	v_cmp_eq_f64_e64 s[2:3], s[22:23], 0
	s_cselect_b64 s[6:7], -1, 0
	s_or_b64 s[2:3], s[2:3], s[6:7]
	v_and_b32_e32 v13, 0x3ff, v0
	v_bfe_u32 v12, v0, 10, 10
	s_mov_b32 s13, 0
	v_mov_b64_e32 v[6:7], 0
	s_and_b64 vcc, exec, s[2:3]
	v_mov_b64_e32 v[4:5], 0
	v_mov_b64_e32 v[2:3], 0
	;; [unrolled: 1-line block ×3, first 2 shown]
	s_cbranch_vccnz .LBB50_10
; %bb.4:
	v_lshl_add_u32 v1, v12, 4, v13
	v_and_b32_e32 v3, 31, v1
	v_lshrrev_b32_e32 v15, 5, v1
	v_lshrrev_b32_e32 v2, 3, v1
	v_or_b32_e32 v1, s12, v3
	s_load_dword s26, s[0:1], 0x18
	s_load_dword s6, s[0:1], 0x30
	s_load_dwordx4 s[16:19], s[0:1], 0x20
	v_and_b32_e32 v14, 7, v13
	v_cmp_gt_i32_e32 vcc, s24, v1
	v_lshlrev_b32_e32 v1, 3, v3
	v_lshl_or_b32 v16, v15, 8, v1
	v_lshlrev_b32_e32 v1, 3, v14
	v_add_u32_e32 v0, s5, v2
	v_lshl_or_b32 v1, v2, 6, v1
	v_mov_b32_e32 v2, 0x800
	v_lshl_add_u32 v19, v12, 6, v2
	v_add_u32_e32 v2, s12, v3
	s_waitcnt lgkmcnt(0)
	v_mad_i64_i32 v[2:3], s[26:27], s26, v2, 0
	s_mul_i32 s17, s17, s4
	s_mul_hi_u32 s26, s16, s4
	s_add_i32 s17, s26, s17
	s_mul_i32 s16, s16, s4
	s_lshl_b64 s[16:17], s[16:17], 3
	v_lshl_add_u64 v[2:3], v[2:3], 3, s[16:17]
	v_lshlrev_b32_e32 v4, 3, v15
	v_mov_b32_e32 v5, 0
	v_lshl_add_u64 v[2:3], v[2:3], 0, v[4:5]
	v_lshl_add_u64 v[8:9], s[14:15], 0, v[2:3]
	s_mul_i32 s9, s9, s4
	s_mul_hi_u32 s14, s8, s4
	s_add_i32 s9, s14, s9
	v_mad_i64_i32 v[2:3], s[14:15], s6, v14, 0
	s_mul_i32 s8, s8, s4
	v_lshlrev_b64 v[2:3], 3, v[2:3]
	v_add_u32_e32 v17, 0x800, v1
	v_ashrrev_i32_e32 v1, 31, v0
	v_lshl_add_u64 v[2:3], s[8:9], 3, v[2:3]
	s_ashr_i32 s7, s6, 31
	v_cmp_gt_i32_e64 s[2:3], s24, v0
	v_lshl_add_u64 v[0:1], v[0:1], 3, v[2:3]
	v_lshlrev_b32_e32 v18, 3, v13
	v_lshl_add_u64 v[10:11], s[18:19], 0, v[0:1]
	s_lshl_b64 s[8:9], s[6:7], 6
	v_mov_b64_e32 v[0:1], 0
	v_mov_b64_e32 v[2:3], 0
	;; [unrolled: 1-line block ×4, first 2 shown]
	s_branch .LBB50_6
.LBB50_5:                               ;   in Loop: Header=BB50_6 Depth=1
	s_or_b64 exec, exec, s[6:7]
	s_waitcnt vmcnt(0)
	ds_write_b64 v17, v[20:21]
	s_waitcnt lgkmcnt(0)
	s_barrier
	ds_read2_b64 v[20:23], v18 offset1:16
	ds_read_b128 v[24:27], v19
	ds_read_b128 v[28:31], v19 offset:16
	ds_read_b128 v[32:35], v19 offset:32
	ds_read_b128 v[36:39], v19 offset:48
	ds_read_b128 v[40:43], v19 offset:1024
	ds_read2_b64 v[44:47], v18 offset0:32 offset1:48
	s_waitcnt lgkmcnt(5)
	v_fmac_f64_e32 v[6:7], v[20:21], v[24:25]
	v_fmac_f64_e32 v[4:5], v[22:23], v[24:25]
	ds_read_b128 v[48:51], v19 offset:1040
	s_waitcnt lgkmcnt(2)
	v_fmac_f64_e32 v[2:3], v[20:21], v[40:41]
	v_fmac_f64_e32 v[0:1], v[22:23], v[40:41]
	ds_read2_b64 v[20:23], v18 offset0:64 offset1:80
	s_waitcnt lgkmcnt(2)
	v_fmac_f64_e32 v[6:7], v[44:45], v[26:27]
	v_fmac_f64_e32 v[4:5], v[46:47], v[26:27]
	ds_read2_b64 v[24:27], v18 offset0:96 offset1:112
	v_fmac_f64_e32 v[2:3], v[44:45], v[42:43]
	v_fmac_f64_e32 v[0:1], v[46:47], v[42:43]
	s_waitcnt lgkmcnt(1)
	v_fmac_f64_e32 v[6:7], v[20:21], v[28:29]
	v_fmac_f64_e32 v[4:5], v[22:23], v[28:29]
	ds_read_b128 v[40:43], v19 offset:1072
	v_fmac_f64_e32 v[2:3], v[20:21], v[48:49]
	v_fmac_f64_e32 v[0:1], v[22:23], v[48:49]
	s_waitcnt lgkmcnt(1)
	v_fmac_f64_e32 v[6:7], v[24:25], v[30:31]
	ds_read2_b64 v[20:23], v18 offset0:128 offset1:144
	v_fmac_f64_e32 v[4:5], v[26:27], v[30:31]
	v_fmac_f64_e32 v[2:3], v[24:25], v[50:51]
	;; [unrolled: 1-line block ×3, first 2 shown]
	ds_read_b128 v[24:27], v19 offset:1056
	ds_read2_b64 v[28:31], v18 offset0:160 offset1:176
	s_waitcnt lgkmcnt(2)
	v_fmac_f64_e32 v[6:7], v[20:21], v[32:33]
	v_fmac_f64_e32 v[4:5], v[22:23], v[32:33]
	s_add_i32 s13, s13, 8
	s_waitcnt lgkmcnt(1)
	v_fmac_f64_e32 v[2:3], v[20:21], v[24:25]
	v_fmac_f64_e32 v[0:1], v[22:23], v[24:25]
	ds_read2_b64 v[20:23], v18 offset0:192 offset1:208
	s_waitcnt lgkmcnt(1)
	v_fmac_f64_e32 v[2:3], v[28:29], v[26:27]
	v_fmac_f64_e32 v[0:1], v[30:31], v[26:27]
	ds_read2_b64 v[24:27], v18 offset0:224 offset1:240
	v_fmac_f64_e32 v[6:7], v[28:29], v[34:35]
	v_fmac_f64_e32 v[4:5], v[30:31], v[34:35]
	s_waitcnt lgkmcnt(1)
	v_fmac_f64_e32 v[6:7], v[20:21], v[36:37]
	v_fmac_f64_e32 v[4:5], v[22:23], v[36:37]
	;; [unrolled: 1-line block ×4, first 2 shown]
	s_waitcnt lgkmcnt(0)
	v_fmac_f64_e32 v[6:7], v[24:25], v[38:39]
	v_fmac_f64_e32 v[4:5], v[26:27], v[38:39]
	;; [unrolled: 1-line block ×4, first 2 shown]
	v_lshl_add_u64 v[8:9], v[8:9], 0, 64
	s_cmp_lt_i32 s13, s25
	v_lshl_add_u64 v[10:11], v[10:11], 0, s[8:9]
	s_barrier
	s_cbranch_scc0 .LBB50_10
.LBB50_6:                               ; =>This Inner Loop Header: Depth=1
	v_add_u32_e32 v20, s13, v15
	v_cmp_gt_i32_e64 s[6:7], s25, v20
	s_and_b64 s[14:15], vcc, s[6:7]
	v_mov_b64_e32 v[20:21], 0
	s_and_saveexec_b64 s[6:7], s[14:15]
	s_cbranch_execz .LBB50_8
; %bb.7:                                ;   in Loop: Header=BB50_6 Depth=1
	global_load_dwordx2 v[20:21], v[8:9], off
.LBB50_8:                               ;   in Loop: Header=BB50_6 Depth=1
	s_or_b64 exec, exec, s[6:7]
	s_waitcnt vmcnt(0)
	ds_write_b64 v16, v[20:21]
	v_add_u32_e32 v20, s13, v14
	v_cmp_gt_i32_e64 s[6:7], s25, v20
	s_and_b64 s[14:15], s[6:7], s[2:3]
	v_mov_b64_e32 v[20:21], 0
	s_and_saveexec_b64 s[6:7], s[14:15]
	s_cbranch_execz .LBB50_5
; %bb.9:                                ;   in Loop: Header=BB50_6 Depth=1
	global_load_dwordx2 v[20:21], v[10:11], off
	s_branch .LBB50_5
.LBB50_10:
	s_load_dwordx2 s[2:3], s[0:1], 0x58
	s_load_dword s13, s[0:1], 0x50
	v_add_u32_e32 v14, s5, v12
	v_add_u32_e32 v8, s12, v13
	v_cmp_le_i32_e32 vcc, v14, v8
	s_waitcnt lgkmcnt(0)
	s_mul_i32 s1, s3, s4
	s_mul_hi_u32 s3, s2, s4
	s_mul_i32 s0, s2, s4
	s_add_i32 s1, s3, s1
	s_lshl_b64 s[0:1], s[0:1], 3
	s_add_u32 s6, s10, s0
	s_addc_u32 s7, s11, s1
	v_mad_i64_i32 v[10:11], s[0:1], v14, s13, 0
	v_cmp_neq_f64_e64 s[0:1], s[20:21], 0
	v_cmp_gt_i32_e64 s[2:3], s24, v8
	v_lshl_add_u64 v[10:11], v[10:11], 3, s[6:7]
	v_cndmask_b32_e64 v12, 0, 1, s[0:1]
	s_and_b64 s[8:9], vcc, s[2:3]
	v_ashrrev_i32_e32 v9, 31, v8
	v_cmp_ne_u32_e64 s[0:1], 1, v12
	s_and_saveexec_b64 s[4:5], s[8:9]
	s_cbranch_execz .LBB50_14
; %bb.11:
	v_mul_f64 v[6:7], s[22:23], v[6:7]
	s_and_b64 vcc, exec, s[0:1]
	v_lshl_add_u64 v[12:13], v[8:9], 3, v[10:11]
	s_cbranch_vccnz .LBB50_13
; %bb.12:
	global_load_dwordx2 v[16:17], v[12:13], off
	s_waitcnt vmcnt(0)
	v_fmac_f64_e32 v[6:7], s[20:21], v[16:17]
.LBB50_13:
	global_store_dwordx2 v[12:13], v[6:7], off
.LBB50_14:
	s_or_b64 exec, exec, s[4:5]
	v_add_u32_e32 v6, 16, v8
	v_cmp_le_i32_e32 vcc, v14, v6
	v_cmp_gt_i32_e64 s[4:5], s24, v6
	s_and_b64 s[10:11], vcc, s[4:5]
	v_ashrrev_i32_e32 v7, 31, v6
	s_and_saveexec_b64 s[8:9], s[10:11]
	s_cbranch_execz .LBB50_18
; %bb.15:
	v_mul_f64 v[4:5], s[22:23], v[4:5]
	s_and_b64 vcc, exec, s[0:1]
	v_lshl_add_u64 v[10:11], v[6:7], 3, v[10:11]
	s_cbranch_vccnz .LBB50_17
; %bb.16:
	global_load_dwordx2 v[12:13], v[10:11], off
	s_waitcnt vmcnt(0)
	v_fmac_f64_e32 v[4:5], s[20:21], v[12:13]
.LBB50_17:
	global_store_dwordx2 v[10:11], v[4:5], off
.LBB50_18:
	s_or_b64 exec, exec, s[8:9]
	v_add_u32_e32 v10, 16, v14
	v_mad_i64_i32 v[4:5], s[8:9], v10, s13, 0
	v_cmp_le_i32_e32 vcc, v10, v8
	v_lshl_add_u64 v[4:5], v[4:5], 3, s[6:7]
	s_and_b64 s[6:7], vcc, s[2:3]
	s_and_saveexec_b64 s[2:3], s[6:7]
	s_cbranch_execz .LBB50_22
; %bb.19:
	v_mul_f64 v[2:3], s[22:23], v[2:3]
	s_and_b64 vcc, exec, s[0:1]
	v_lshl_add_u64 v[8:9], v[8:9], 3, v[4:5]
	s_cbranch_vccnz .LBB50_21
; %bb.20:
	global_load_dwordx2 v[12:13], v[8:9], off
	s_waitcnt vmcnt(0)
	v_fmac_f64_e32 v[2:3], s[20:21], v[12:13]
.LBB50_21:
	global_store_dwordx2 v[8:9], v[2:3], off
.LBB50_22:
	s_or_b64 exec, exec, s[2:3]
	v_cmp_le_i32_e32 vcc, v10, v6
	s_and_b64 s[2:3], vcc, s[4:5]
	s_and_saveexec_b64 s[4:5], s[2:3]
	s_cbranch_execz .LBB50_26
; %bb.23:
	v_mul_f64 v[0:1], s[22:23], v[0:1]
	s_and_b64 vcc, exec, s[0:1]
	v_lshl_add_u64 v[2:3], v[6:7], 3, v[4:5]
	s_cbranch_vccnz .LBB50_25
; %bb.24:
	global_load_dwordx2 v[4:5], v[2:3], off
	s_waitcnt vmcnt(0)
	v_fmac_f64_e32 v[0:1], s[20:21], v[4:5]
.LBB50_25:
	global_store_dwordx2 v[2:3], v[0:1], off
.LBB50_26:
	s_endpgm
	.section	.rodata,"a",@progbits
	.p2align	6, 0x0
	.amdhsa_kernel _ZL29rocblas_internal_gemmt_kernelIiLi16ELi32ELi8ELc84ELc67ELc76ELb0ELb0EdPKdS1_PdEviT_T9_T10_S3_lS5_S3_lS4_T11_S3_li
		.amdhsa_group_segment_fixed_size 4096
		.amdhsa_private_segment_fixed_size 0
		.amdhsa_kernarg_size 100
		.amdhsa_user_sgpr_count 2
		.amdhsa_user_sgpr_dispatch_ptr 0
		.amdhsa_user_sgpr_queue_ptr 0
		.amdhsa_user_sgpr_kernarg_segment_ptr 1
		.amdhsa_user_sgpr_dispatch_id 0
		.amdhsa_user_sgpr_kernarg_preload_length 0
		.amdhsa_user_sgpr_kernarg_preload_offset 0
		.amdhsa_user_sgpr_private_segment_size 0
		.amdhsa_uses_dynamic_stack 0
		.amdhsa_enable_private_segment 0
		.amdhsa_system_sgpr_workgroup_id_x 1
		.amdhsa_system_sgpr_workgroup_id_y 1
		.amdhsa_system_sgpr_workgroup_id_z 1
		.amdhsa_system_sgpr_workgroup_info 0
		.amdhsa_system_vgpr_workitem_id 1
		.amdhsa_next_free_vgpr 52
		.amdhsa_next_free_sgpr 28
		.amdhsa_accum_offset 52
		.amdhsa_reserve_vcc 1
		.amdhsa_float_round_mode_32 0
		.amdhsa_float_round_mode_16_64 0
		.amdhsa_float_denorm_mode_32 3
		.amdhsa_float_denorm_mode_16_64 3
		.amdhsa_dx10_clamp 1
		.amdhsa_ieee_mode 1
		.amdhsa_fp16_overflow 0
		.amdhsa_tg_split 0
		.amdhsa_exception_fp_ieee_invalid_op 0
		.amdhsa_exception_fp_denorm_src 0
		.amdhsa_exception_fp_ieee_div_zero 0
		.amdhsa_exception_fp_ieee_overflow 0
		.amdhsa_exception_fp_ieee_underflow 0
		.amdhsa_exception_fp_ieee_inexact 0
		.amdhsa_exception_int_div_zero 0
	.end_amdhsa_kernel
	.section	.text._ZL29rocblas_internal_gemmt_kernelIiLi16ELi32ELi8ELc84ELc67ELc76ELb0ELb0EdPKdS1_PdEviT_T9_T10_S3_lS5_S3_lS4_T11_S3_li,"axG",@progbits,_ZL29rocblas_internal_gemmt_kernelIiLi16ELi32ELi8ELc84ELc67ELc76ELb0ELb0EdPKdS1_PdEviT_T9_T10_S3_lS5_S3_lS4_T11_S3_li,comdat
.Lfunc_end50:
	.size	_ZL29rocblas_internal_gemmt_kernelIiLi16ELi32ELi8ELc84ELc67ELc76ELb0ELb0EdPKdS1_PdEviT_T9_T10_S3_lS5_S3_lS4_T11_S3_li, .Lfunc_end50-_ZL29rocblas_internal_gemmt_kernelIiLi16ELi32ELi8ELc84ELc67ELc76ELb0ELb0EdPKdS1_PdEviT_T9_T10_S3_lS5_S3_lS4_T11_S3_li
                                        ; -- End function
	.set _ZL29rocblas_internal_gemmt_kernelIiLi16ELi32ELi8ELc84ELc67ELc76ELb0ELb0EdPKdS1_PdEviT_T9_T10_S3_lS5_S3_lS4_T11_S3_li.num_vgpr, 52
	.set _ZL29rocblas_internal_gemmt_kernelIiLi16ELi32ELi8ELc84ELc67ELc76ELb0ELb0EdPKdS1_PdEviT_T9_T10_S3_lS5_S3_lS4_T11_S3_li.num_agpr, 0
	.set _ZL29rocblas_internal_gemmt_kernelIiLi16ELi32ELi8ELc84ELc67ELc76ELb0ELb0EdPKdS1_PdEviT_T9_T10_S3_lS5_S3_lS4_T11_S3_li.numbered_sgpr, 28
	.set _ZL29rocblas_internal_gemmt_kernelIiLi16ELi32ELi8ELc84ELc67ELc76ELb0ELb0EdPKdS1_PdEviT_T9_T10_S3_lS5_S3_lS4_T11_S3_li.num_named_barrier, 0
	.set _ZL29rocblas_internal_gemmt_kernelIiLi16ELi32ELi8ELc84ELc67ELc76ELb0ELb0EdPKdS1_PdEviT_T9_T10_S3_lS5_S3_lS4_T11_S3_li.private_seg_size, 0
	.set _ZL29rocblas_internal_gemmt_kernelIiLi16ELi32ELi8ELc84ELc67ELc76ELb0ELb0EdPKdS1_PdEviT_T9_T10_S3_lS5_S3_lS4_T11_S3_li.uses_vcc, 1
	.set _ZL29rocblas_internal_gemmt_kernelIiLi16ELi32ELi8ELc84ELc67ELc76ELb0ELb0EdPKdS1_PdEviT_T9_T10_S3_lS5_S3_lS4_T11_S3_li.uses_flat_scratch, 0
	.set _ZL29rocblas_internal_gemmt_kernelIiLi16ELi32ELi8ELc84ELc67ELc76ELb0ELb0EdPKdS1_PdEviT_T9_T10_S3_lS5_S3_lS4_T11_S3_li.has_dyn_sized_stack, 0
	.set _ZL29rocblas_internal_gemmt_kernelIiLi16ELi32ELi8ELc84ELc67ELc76ELb0ELb0EdPKdS1_PdEviT_T9_T10_S3_lS5_S3_lS4_T11_S3_li.has_recursion, 0
	.set _ZL29rocblas_internal_gemmt_kernelIiLi16ELi32ELi8ELc84ELc67ELc76ELb0ELb0EdPKdS1_PdEviT_T9_T10_S3_lS5_S3_lS4_T11_S3_li.has_indirect_call, 0
	.section	.AMDGPU.csdata,"",@progbits
; Kernel info:
; codeLenInByte = 1308
; TotalNumSgprs: 34
; NumVgprs: 52
; NumAgprs: 0
; TotalNumVgprs: 52
; ScratchSize: 0
; MemoryBound: 0
; FloatMode: 240
; IeeeMode: 1
; LDSByteSize: 4096 bytes/workgroup (compile time only)
; SGPRBlocks: 4
; VGPRBlocks: 6
; NumSGPRsForWavesPerEU: 34
; NumVGPRsForWavesPerEU: 52
; AccumOffset: 52
; Occupancy: 8
; WaveLimiterHint : 0
; COMPUTE_PGM_RSRC2:SCRATCH_EN: 0
; COMPUTE_PGM_RSRC2:USER_SGPR: 2
; COMPUTE_PGM_RSRC2:TRAP_HANDLER: 0
; COMPUTE_PGM_RSRC2:TGID_X_EN: 1
; COMPUTE_PGM_RSRC2:TGID_Y_EN: 1
; COMPUTE_PGM_RSRC2:TGID_Z_EN: 1
; COMPUTE_PGM_RSRC2:TIDIG_COMP_CNT: 1
; COMPUTE_PGM_RSRC3_GFX90A:ACCUM_OFFSET: 12
; COMPUTE_PGM_RSRC3_GFX90A:TG_SPLIT: 0
	.section	.text._ZL29rocblas_internal_gemmt_kernelIiLi16ELi32ELi8ELc67ELc78ELc76ELb0ELb0EdPKdS1_PdEviT_T9_T10_S3_lS5_S3_lS4_T11_S3_li,"axG",@progbits,_ZL29rocblas_internal_gemmt_kernelIiLi16ELi32ELi8ELc67ELc78ELc76ELb0ELb0EdPKdS1_PdEviT_T9_T10_S3_lS5_S3_lS4_T11_S3_li,comdat
	.globl	_ZL29rocblas_internal_gemmt_kernelIiLi16ELi32ELi8ELc67ELc78ELc76ELb0ELb0EdPKdS1_PdEviT_T9_T10_S3_lS5_S3_lS4_T11_S3_li ; -- Begin function _ZL29rocblas_internal_gemmt_kernelIiLi16ELi32ELi8ELc67ELc78ELc76ELb0ELb0EdPKdS1_PdEviT_T9_T10_S3_lS5_S3_lS4_T11_S3_li
	.p2align	8
	.type	_ZL29rocblas_internal_gemmt_kernelIiLi16ELi32ELi8ELc67ELc78ELc76ELb0ELb0EdPKdS1_PdEviT_T9_T10_S3_lS5_S3_lS4_T11_S3_li,@function
_ZL29rocblas_internal_gemmt_kernelIiLi16ELi32ELi8ELc67ELc78ELc76ELb0ELb0EdPKdS1_PdEviT_T9_T10_S3_lS5_S3_lS4_T11_S3_li: ; @_ZL29rocblas_internal_gemmt_kernelIiLi16ELi32ELi8ELc67ELc78ELc76ELb0ELb0EdPKdS1_PdEviT_T9_T10_S3_lS5_S3_lS4_T11_S3_li
; %bb.0:
	s_load_dwordx4 s[8:11], s[0:1], 0x38
	s_load_dwordx4 s[12:15], s[0:1], 0x8
	s_waitcnt lgkmcnt(0)
	s_load_dwordx2 s[20:21], s[10:11], 0x0
	s_load_dwordx2 s[24:25], s[0:1], 0x0
	s_load_dwordx2 s[22:23], s[12:13], 0x0
	s_waitcnt lgkmcnt(0)
	v_cmp_neq_f64_e64 s[6:7], s[20:21], 1.0
	s_and_b64 vcc, exec, s[6:7]
	s_cbranch_vccnz .LBB51_2
; %bb.1:
	s_cmp_lg_u32 s25, 0
	s_cselect_b64 s[6:7], -1, 0
	v_cmp_neq_f64_e64 s[10:11], s[22:23], 0
	s_and_b64 s[6:7], s[6:7], s[10:11]
.LBB51_2:
	s_andn2_b64 vcc, exec, s[6:7]
	s_cbranch_vccnz .LBB51_26
; %bb.3:
	s_load_dwordx2 s[10:11], s[0:1], 0x48
	s_lshl_b32 s12, s2, 5
	s_lshl_b32 s5, s3, 5
	s_cmp_lt_i32 s25, 1
	v_cmp_eq_f64_e64 s[2:3], s[22:23], 0
	s_cselect_b64 s[6:7], -1, 0
	s_or_b64 s[2:3], s[2:3], s[6:7]
	v_and_b32_e32 v13, 0x3ff, v0
	v_bfe_u32 v12, v0, 10, 10
	s_mov_b32 s13, 0
	v_mov_b64_e32 v[6:7], 0
	s_and_b64 vcc, exec, s[2:3]
	v_mov_b64_e32 v[4:5], 0
	v_mov_b64_e32 v[2:3], 0
	;; [unrolled: 1-line block ×3, first 2 shown]
	s_cbranch_vccnz .LBB51_10
; %bb.4:
	v_lshl_add_u32 v0, v12, 4, v13
	v_and_b32_e32 v2, 31, v0
	v_lshrrev_b32_e32 v15, 5, v0
	v_lshrrev_b32_e32 v1, 3, v0
	v_or_b32_e32 v0, s12, v2
	v_and_b32_e32 v14, 7, v13
	v_cmp_gt_i32_e32 vcc, s24, v0
	v_lshlrev_b32_e32 v0, 3, v2
	v_lshl_or_b32 v16, v15, 8, v0
	v_lshlrev_b32_e32 v0, 3, v14
	s_load_dword s6, s[0:1], 0x18
	s_load_dwordx4 s[16:19], s[0:1], 0x20
	s_load_dword s26, s[0:1], 0x30
	v_add_u32_e32 v6, s5, v1
	v_lshl_or_b32 v1, v1, 6, v0
	v_add_u32_e32 v17, 0x800, v1
	v_mov_b32_e32 v1, 0x800
	v_lshl_add_u32 v19, v12, 6, v1
	v_add_u32_e32 v1, s12, v2
	s_waitcnt lgkmcnt(0)
	v_mad_i64_i32 v[2:3], s[6:7], s6, v1, 0
	s_mul_i32 s6, s17, s4
	s_mul_hi_u32 s7, s16, s4
	s_add_i32 s7, s7, s6
	s_mul_i32 s6, s16, s4
	s_lshl_b64 s[6:7], s[6:7], 3
	v_lshl_add_u64 v[2:3], v[2:3], 3, s[6:7]
	v_lshlrev_b32_e32 v4, 3, v15
	v_mov_b32_e32 v5, 0
	v_lshl_add_u64 v[2:3], v[2:3], 0, v[4:5]
	v_lshl_add_u64 v[8:9], s[14:15], 0, v[2:3]
	v_mad_i64_i32 v[2:3], s[6:7], s26, v6, 0
	s_mul_i32 s6, s9, s4
	s_mul_hi_u32 s7, s8, s4
	s_add_i32 s7, s7, s6
	s_mul_i32 s6, s8, s4
	s_lshl_b64 s[6:7], s[6:7], 3
	v_lshl_add_u64 v[2:3], v[2:3], 3, s[6:7]
	v_mov_b32_e32 v1, v5
	v_lshl_add_u64 v[0:1], v[2:3], 0, v[0:1]
	v_cmp_gt_i32_e64 s[2:3], s24, v6
	v_lshlrev_b32_e32 v18, 3, v13
	v_lshl_add_u64 v[10:11], s[18:19], 0, v[0:1]
	v_mov_b64_e32 v[0:1], 0
	v_mov_b64_e32 v[2:3], 0
	;; [unrolled: 1-line block ×4, first 2 shown]
	s_branch .LBB51_6
.LBB51_5:                               ;   in Loop: Header=BB51_6 Depth=1
	s_or_b64 exec, exec, s[6:7]
	s_waitcnt vmcnt(0)
	ds_write_b64 v17, v[20:21]
	s_waitcnt lgkmcnt(0)
	s_barrier
	ds_read2_b64 v[20:23], v18 offset1:16
	ds_read_b128 v[24:27], v19
	ds_read_b128 v[28:31], v19 offset:16
	ds_read_b128 v[32:35], v19 offset:32
	;; [unrolled: 1-line block ×4, first 2 shown]
	ds_read2_b64 v[44:47], v18 offset0:32 offset1:48
	s_waitcnt lgkmcnt(5)
	v_fmac_f64_e32 v[6:7], v[20:21], v[24:25]
	v_fmac_f64_e32 v[4:5], v[22:23], v[24:25]
	ds_read_b128 v[48:51], v19 offset:1040
	s_waitcnt lgkmcnt(2)
	v_fmac_f64_e32 v[2:3], v[20:21], v[40:41]
	v_fmac_f64_e32 v[0:1], v[22:23], v[40:41]
	ds_read2_b64 v[20:23], v18 offset0:64 offset1:80
	s_waitcnt lgkmcnt(2)
	v_fmac_f64_e32 v[6:7], v[44:45], v[26:27]
	v_fmac_f64_e32 v[4:5], v[46:47], v[26:27]
	ds_read2_b64 v[24:27], v18 offset0:96 offset1:112
	v_fmac_f64_e32 v[2:3], v[44:45], v[42:43]
	v_fmac_f64_e32 v[0:1], v[46:47], v[42:43]
	s_waitcnt lgkmcnt(1)
	v_fmac_f64_e32 v[6:7], v[20:21], v[28:29]
	v_fmac_f64_e32 v[4:5], v[22:23], v[28:29]
	ds_read_b128 v[40:43], v19 offset:1072
	v_fmac_f64_e32 v[2:3], v[20:21], v[48:49]
	v_fmac_f64_e32 v[0:1], v[22:23], v[48:49]
	s_waitcnt lgkmcnt(1)
	v_fmac_f64_e32 v[6:7], v[24:25], v[30:31]
	ds_read2_b64 v[20:23], v18 offset0:128 offset1:144
	v_fmac_f64_e32 v[4:5], v[26:27], v[30:31]
	v_fmac_f64_e32 v[2:3], v[24:25], v[50:51]
	v_fmac_f64_e32 v[0:1], v[26:27], v[50:51]
	ds_read_b128 v[24:27], v19 offset:1056
	ds_read2_b64 v[28:31], v18 offset0:160 offset1:176
	s_waitcnt lgkmcnt(2)
	v_fmac_f64_e32 v[6:7], v[20:21], v[32:33]
	v_fmac_f64_e32 v[4:5], v[22:23], v[32:33]
	s_add_i32 s13, s13, 8
	s_waitcnt lgkmcnt(1)
	v_fmac_f64_e32 v[2:3], v[20:21], v[24:25]
	v_fmac_f64_e32 v[0:1], v[22:23], v[24:25]
	ds_read2_b64 v[20:23], v18 offset0:192 offset1:208
	s_waitcnt lgkmcnt(1)
	v_fmac_f64_e32 v[2:3], v[28:29], v[26:27]
	v_fmac_f64_e32 v[0:1], v[30:31], v[26:27]
	ds_read2_b64 v[24:27], v18 offset0:224 offset1:240
	v_fmac_f64_e32 v[6:7], v[28:29], v[34:35]
	v_fmac_f64_e32 v[4:5], v[30:31], v[34:35]
	s_waitcnt lgkmcnt(1)
	v_fmac_f64_e32 v[6:7], v[20:21], v[36:37]
	v_fmac_f64_e32 v[4:5], v[22:23], v[36:37]
	;; [unrolled: 1-line block ×4, first 2 shown]
	s_waitcnt lgkmcnt(0)
	v_fmac_f64_e32 v[6:7], v[24:25], v[38:39]
	v_fmac_f64_e32 v[4:5], v[26:27], v[38:39]
	;; [unrolled: 1-line block ×4, first 2 shown]
	v_lshl_add_u64 v[8:9], v[8:9], 0, 64
	s_cmp_lt_i32 s13, s25
	v_lshl_add_u64 v[10:11], v[10:11], 0, 64
	s_barrier
	s_cbranch_scc0 .LBB51_10
.LBB51_6:                               ; =>This Inner Loop Header: Depth=1
	v_add_u32_e32 v20, s13, v15
	v_cmp_gt_i32_e64 s[6:7], s25, v20
	s_and_b64 s[8:9], vcc, s[6:7]
	v_mov_b64_e32 v[20:21], 0
	s_and_saveexec_b64 s[6:7], s[8:9]
	s_cbranch_execz .LBB51_8
; %bb.7:                                ;   in Loop: Header=BB51_6 Depth=1
	global_load_dwordx2 v[20:21], v[8:9], off
.LBB51_8:                               ;   in Loop: Header=BB51_6 Depth=1
	s_or_b64 exec, exec, s[6:7]
	s_waitcnt vmcnt(0)
	ds_write_b64 v16, v[20:21]
	v_add_u32_e32 v20, s13, v14
	v_cmp_gt_i32_e64 s[6:7], s25, v20
	s_and_b64 s[8:9], s[6:7], s[2:3]
	v_mov_b64_e32 v[20:21], 0
	s_and_saveexec_b64 s[6:7], s[8:9]
	s_cbranch_execz .LBB51_5
; %bb.9:                                ;   in Loop: Header=BB51_6 Depth=1
	global_load_dwordx2 v[20:21], v[10:11], off
	s_branch .LBB51_5
.LBB51_10:
	s_load_dwordx2 s[2:3], s[0:1], 0x58
	s_load_dword s13, s[0:1], 0x50
	v_add_u32_e32 v14, s5, v12
	v_add_u32_e32 v8, s12, v13
	v_cmp_le_i32_e32 vcc, v14, v8
	s_waitcnt lgkmcnt(0)
	s_mul_i32 s1, s3, s4
	s_mul_hi_u32 s3, s2, s4
	s_mul_i32 s0, s2, s4
	s_add_i32 s1, s3, s1
	s_lshl_b64 s[0:1], s[0:1], 3
	s_add_u32 s6, s10, s0
	s_addc_u32 s7, s11, s1
	v_mad_i64_i32 v[10:11], s[0:1], v14, s13, 0
	v_cmp_neq_f64_e64 s[0:1], s[20:21], 0
	v_cmp_gt_i32_e64 s[2:3], s24, v8
	v_lshl_add_u64 v[10:11], v[10:11], 3, s[6:7]
	v_cndmask_b32_e64 v12, 0, 1, s[0:1]
	s_and_b64 s[8:9], vcc, s[2:3]
	v_ashrrev_i32_e32 v9, 31, v8
	v_cmp_ne_u32_e64 s[0:1], 1, v12
	s_and_saveexec_b64 s[4:5], s[8:9]
	s_cbranch_execz .LBB51_14
; %bb.11:
	v_mul_f64 v[6:7], s[22:23], v[6:7]
	s_and_b64 vcc, exec, s[0:1]
	v_lshl_add_u64 v[12:13], v[8:9], 3, v[10:11]
	s_cbranch_vccnz .LBB51_13
; %bb.12:
	global_load_dwordx2 v[16:17], v[12:13], off
	s_waitcnt vmcnt(0)
	v_fmac_f64_e32 v[6:7], s[20:21], v[16:17]
.LBB51_13:
	global_store_dwordx2 v[12:13], v[6:7], off
.LBB51_14:
	s_or_b64 exec, exec, s[4:5]
	v_add_u32_e32 v6, 16, v8
	v_cmp_le_i32_e32 vcc, v14, v6
	v_cmp_gt_i32_e64 s[4:5], s24, v6
	s_and_b64 s[10:11], vcc, s[4:5]
	v_ashrrev_i32_e32 v7, 31, v6
	s_and_saveexec_b64 s[8:9], s[10:11]
	s_cbranch_execz .LBB51_18
; %bb.15:
	v_mul_f64 v[4:5], s[22:23], v[4:5]
	s_and_b64 vcc, exec, s[0:1]
	v_lshl_add_u64 v[10:11], v[6:7], 3, v[10:11]
	s_cbranch_vccnz .LBB51_17
; %bb.16:
	global_load_dwordx2 v[12:13], v[10:11], off
	s_waitcnt vmcnt(0)
	v_fmac_f64_e32 v[4:5], s[20:21], v[12:13]
.LBB51_17:
	global_store_dwordx2 v[10:11], v[4:5], off
.LBB51_18:
	s_or_b64 exec, exec, s[8:9]
	v_add_u32_e32 v10, 16, v14
	v_mad_i64_i32 v[4:5], s[8:9], v10, s13, 0
	v_cmp_le_i32_e32 vcc, v10, v8
	v_lshl_add_u64 v[4:5], v[4:5], 3, s[6:7]
	s_and_b64 s[6:7], vcc, s[2:3]
	s_and_saveexec_b64 s[2:3], s[6:7]
	s_cbranch_execz .LBB51_22
; %bb.19:
	v_mul_f64 v[2:3], s[22:23], v[2:3]
	s_and_b64 vcc, exec, s[0:1]
	v_lshl_add_u64 v[8:9], v[8:9], 3, v[4:5]
	s_cbranch_vccnz .LBB51_21
; %bb.20:
	global_load_dwordx2 v[12:13], v[8:9], off
	s_waitcnt vmcnt(0)
	v_fmac_f64_e32 v[2:3], s[20:21], v[12:13]
.LBB51_21:
	global_store_dwordx2 v[8:9], v[2:3], off
.LBB51_22:
	s_or_b64 exec, exec, s[2:3]
	v_cmp_le_i32_e32 vcc, v10, v6
	s_and_b64 s[2:3], vcc, s[4:5]
	s_and_saveexec_b64 s[4:5], s[2:3]
	s_cbranch_execz .LBB51_26
; %bb.23:
	v_mul_f64 v[0:1], s[22:23], v[0:1]
	s_and_b64 vcc, exec, s[0:1]
	v_lshl_add_u64 v[2:3], v[6:7], 3, v[4:5]
	s_cbranch_vccnz .LBB51_25
; %bb.24:
	global_load_dwordx2 v[4:5], v[2:3], off
	s_waitcnt vmcnt(0)
	v_fmac_f64_e32 v[0:1], s[20:21], v[4:5]
.LBB51_25:
	global_store_dwordx2 v[2:3], v[0:1], off
.LBB51_26:
	s_endpgm
	.section	.rodata,"a",@progbits
	.p2align	6, 0x0
	.amdhsa_kernel _ZL29rocblas_internal_gemmt_kernelIiLi16ELi32ELi8ELc67ELc78ELc76ELb0ELb0EdPKdS1_PdEviT_T9_T10_S3_lS5_S3_lS4_T11_S3_li
		.amdhsa_group_segment_fixed_size 4096
		.amdhsa_private_segment_fixed_size 0
		.amdhsa_kernarg_size 100
		.amdhsa_user_sgpr_count 2
		.amdhsa_user_sgpr_dispatch_ptr 0
		.amdhsa_user_sgpr_queue_ptr 0
		.amdhsa_user_sgpr_kernarg_segment_ptr 1
		.amdhsa_user_sgpr_dispatch_id 0
		.amdhsa_user_sgpr_kernarg_preload_length 0
		.amdhsa_user_sgpr_kernarg_preload_offset 0
		.amdhsa_user_sgpr_private_segment_size 0
		.amdhsa_uses_dynamic_stack 0
		.amdhsa_enable_private_segment 0
		.amdhsa_system_sgpr_workgroup_id_x 1
		.amdhsa_system_sgpr_workgroup_id_y 1
		.amdhsa_system_sgpr_workgroup_id_z 1
		.amdhsa_system_sgpr_workgroup_info 0
		.amdhsa_system_vgpr_workitem_id 1
		.amdhsa_next_free_vgpr 52
		.amdhsa_next_free_sgpr 27
		.amdhsa_accum_offset 52
		.amdhsa_reserve_vcc 1
		.amdhsa_float_round_mode_32 0
		.amdhsa_float_round_mode_16_64 0
		.amdhsa_float_denorm_mode_32 3
		.amdhsa_float_denorm_mode_16_64 3
		.amdhsa_dx10_clamp 1
		.amdhsa_ieee_mode 1
		.amdhsa_fp16_overflow 0
		.amdhsa_tg_split 0
		.amdhsa_exception_fp_ieee_invalid_op 0
		.amdhsa_exception_fp_denorm_src 0
		.amdhsa_exception_fp_ieee_div_zero 0
		.amdhsa_exception_fp_ieee_overflow 0
		.amdhsa_exception_fp_ieee_underflow 0
		.amdhsa_exception_fp_ieee_inexact 0
		.amdhsa_exception_int_div_zero 0
	.end_amdhsa_kernel
	.section	.text._ZL29rocblas_internal_gemmt_kernelIiLi16ELi32ELi8ELc67ELc78ELc76ELb0ELb0EdPKdS1_PdEviT_T9_T10_S3_lS5_S3_lS4_T11_S3_li,"axG",@progbits,_ZL29rocblas_internal_gemmt_kernelIiLi16ELi32ELi8ELc67ELc78ELc76ELb0ELb0EdPKdS1_PdEviT_T9_T10_S3_lS5_S3_lS4_T11_S3_li,comdat
.Lfunc_end51:
	.size	_ZL29rocblas_internal_gemmt_kernelIiLi16ELi32ELi8ELc67ELc78ELc76ELb0ELb0EdPKdS1_PdEviT_T9_T10_S3_lS5_S3_lS4_T11_S3_li, .Lfunc_end51-_ZL29rocblas_internal_gemmt_kernelIiLi16ELi32ELi8ELc67ELc78ELc76ELb0ELb0EdPKdS1_PdEviT_T9_T10_S3_lS5_S3_lS4_T11_S3_li
                                        ; -- End function
	.set _ZL29rocblas_internal_gemmt_kernelIiLi16ELi32ELi8ELc67ELc78ELc76ELb0ELb0EdPKdS1_PdEviT_T9_T10_S3_lS5_S3_lS4_T11_S3_li.num_vgpr, 52
	.set _ZL29rocblas_internal_gemmt_kernelIiLi16ELi32ELi8ELc67ELc78ELc76ELb0ELb0EdPKdS1_PdEviT_T9_T10_S3_lS5_S3_lS4_T11_S3_li.num_agpr, 0
	.set _ZL29rocblas_internal_gemmt_kernelIiLi16ELi32ELi8ELc67ELc78ELc76ELb0ELb0EdPKdS1_PdEviT_T9_T10_S3_lS5_S3_lS4_T11_S3_li.numbered_sgpr, 27
	.set _ZL29rocblas_internal_gemmt_kernelIiLi16ELi32ELi8ELc67ELc78ELc76ELb0ELb0EdPKdS1_PdEviT_T9_T10_S3_lS5_S3_lS4_T11_S3_li.num_named_barrier, 0
	.set _ZL29rocblas_internal_gemmt_kernelIiLi16ELi32ELi8ELc67ELc78ELc76ELb0ELb0EdPKdS1_PdEviT_T9_T10_S3_lS5_S3_lS4_T11_S3_li.private_seg_size, 0
	.set _ZL29rocblas_internal_gemmt_kernelIiLi16ELi32ELi8ELc67ELc78ELc76ELb0ELb0EdPKdS1_PdEviT_T9_T10_S3_lS5_S3_lS4_T11_S3_li.uses_vcc, 1
	.set _ZL29rocblas_internal_gemmt_kernelIiLi16ELi32ELi8ELc67ELc78ELc76ELb0ELb0EdPKdS1_PdEviT_T9_T10_S3_lS5_S3_lS4_T11_S3_li.uses_flat_scratch, 0
	.set _ZL29rocblas_internal_gemmt_kernelIiLi16ELi32ELi8ELc67ELc78ELc76ELb0ELb0EdPKdS1_PdEviT_T9_T10_S3_lS5_S3_lS4_T11_S3_li.has_dyn_sized_stack, 0
	.set _ZL29rocblas_internal_gemmt_kernelIiLi16ELi32ELi8ELc67ELc78ELc76ELb0ELb0EdPKdS1_PdEviT_T9_T10_S3_lS5_S3_lS4_T11_S3_li.has_recursion, 0
	.set _ZL29rocblas_internal_gemmt_kernelIiLi16ELi32ELi8ELc67ELc78ELc76ELb0ELb0EdPKdS1_PdEviT_T9_T10_S3_lS5_S3_lS4_T11_S3_li.has_indirect_call, 0
	.section	.AMDGPU.csdata,"",@progbits
; Kernel info:
; codeLenInByte = 1296
; TotalNumSgprs: 33
; NumVgprs: 52
; NumAgprs: 0
; TotalNumVgprs: 52
; ScratchSize: 0
; MemoryBound: 0
; FloatMode: 240
; IeeeMode: 1
; LDSByteSize: 4096 bytes/workgroup (compile time only)
; SGPRBlocks: 4
; VGPRBlocks: 6
; NumSGPRsForWavesPerEU: 33
; NumVGPRsForWavesPerEU: 52
; AccumOffset: 52
; Occupancy: 8
; WaveLimiterHint : 0
; COMPUTE_PGM_RSRC2:SCRATCH_EN: 0
; COMPUTE_PGM_RSRC2:USER_SGPR: 2
; COMPUTE_PGM_RSRC2:TRAP_HANDLER: 0
; COMPUTE_PGM_RSRC2:TGID_X_EN: 1
; COMPUTE_PGM_RSRC2:TGID_Y_EN: 1
; COMPUTE_PGM_RSRC2:TGID_Z_EN: 1
; COMPUTE_PGM_RSRC2:TIDIG_COMP_CNT: 1
; COMPUTE_PGM_RSRC3_GFX90A:ACCUM_OFFSET: 12
; COMPUTE_PGM_RSRC3_GFX90A:TG_SPLIT: 0
	.section	.text._ZL29rocblas_internal_gemmt_kernelIiLi16ELi32ELi8ELc67ELc84ELc76ELb0ELb0EdPKdS1_PdEviT_T9_T10_S3_lS5_S3_lS4_T11_S3_li,"axG",@progbits,_ZL29rocblas_internal_gemmt_kernelIiLi16ELi32ELi8ELc67ELc84ELc76ELb0ELb0EdPKdS1_PdEviT_T9_T10_S3_lS5_S3_lS4_T11_S3_li,comdat
	.globl	_ZL29rocblas_internal_gemmt_kernelIiLi16ELi32ELi8ELc67ELc84ELc76ELb0ELb0EdPKdS1_PdEviT_T9_T10_S3_lS5_S3_lS4_T11_S3_li ; -- Begin function _ZL29rocblas_internal_gemmt_kernelIiLi16ELi32ELi8ELc67ELc84ELc76ELb0ELb0EdPKdS1_PdEviT_T9_T10_S3_lS5_S3_lS4_T11_S3_li
	.p2align	8
	.type	_ZL29rocblas_internal_gemmt_kernelIiLi16ELi32ELi8ELc67ELc84ELc76ELb0ELb0EdPKdS1_PdEviT_T9_T10_S3_lS5_S3_lS4_T11_S3_li,@function
_ZL29rocblas_internal_gemmt_kernelIiLi16ELi32ELi8ELc67ELc84ELc76ELb0ELb0EdPKdS1_PdEviT_T9_T10_S3_lS5_S3_lS4_T11_S3_li: ; @_ZL29rocblas_internal_gemmt_kernelIiLi16ELi32ELi8ELc67ELc84ELc76ELb0ELb0EdPKdS1_PdEviT_T9_T10_S3_lS5_S3_lS4_T11_S3_li
; %bb.0:
	s_load_dwordx4 s[8:11], s[0:1], 0x38
	s_load_dwordx4 s[12:15], s[0:1], 0x8
	s_waitcnt lgkmcnt(0)
	s_load_dwordx2 s[20:21], s[10:11], 0x0
	s_load_dwordx2 s[24:25], s[0:1], 0x0
	;; [unrolled: 1-line block ×3, first 2 shown]
	s_waitcnt lgkmcnt(0)
	v_cmp_neq_f64_e64 s[6:7], s[20:21], 1.0
	s_and_b64 vcc, exec, s[6:7]
	s_cbranch_vccnz .LBB52_2
; %bb.1:
	s_cmp_lg_u32 s25, 0
	s_cselect_b64 s[6:7], -1, 0
	v_cmp_neq_f64_e64 s[10:11], s[22:23], 0
	s_and_b64 s[6:7], s[6:7], s[10:11]
.LBB52_2:
	s_andn2_b64 vcc, exec, s[6:7]
	s_cbranch_vccnz .LBB52_26
; %bb.3:
	s_load_dwordx2 s[10:11], s[0:1], 0x48
	s_lshl_b32 s12, s2, 5
	s_lshl_b32 s5, s3, 5
	s_cmp_lt_i32 s25, 1
	v_cmp_eq_f64_e64 s[2:3], s[22:23], 0
	s_cselect_b64 s[6:7], -1, 0
	s_or_b64 s[2:3], s[2:3], s[6:7]
	v_and_b32_e32 v13, 0x3ff, v0
	v_bfe_u32 v12, v0, 10, 10
	s_mov_b32 s13, 0
	v_mov_b64_e32 v[6:7], 0
	s_and_b64 vcc, exec, s[2:3]
	v_mov_b64_e32 v[4:5], 0
	v_mov_b64_e32 v[2:3], 0
	;; [unrolled: 1-line block ×3, first 2 shown]
	s_cbranch_vccnz .LBB52_10
; %bb.4:
	v_lshl_add_u32 v1, v12, 4, v13
	v_and_b32_e32 v3, 31, v1
	v_lshrrev_b32_e32 v15, 5, v1
	v_lshrrev_b32_e32 v2, 3, v1
	v_or_b32_e32 v1, s12, v3
	s_load_dword s26, s[0:1], 0x18
	s_load_dword s6, s[0:1], 0x30
	s_load_dwordx4 s[16:19], s[0:1], 0x20
	v_and_b32_e32 v14, 7, v13
	v_cmp_gt_i32_e32 vcc, s24, v1
	v_lshlrev_b32_e32 v1, 3, v3
	v_lshl_or_b32 v16, v15, 8, v1
	v_lshlrev_b32_e32 v1, 3, v14
	v_add_u32_e32 v0, s5, v2
	v_lshl_or_b32 v1, v2, 6, v1
	v_mov_b32_e32 v2, 0x800
	v_lshl_add_u32 v19, v12, 6, v2
	v_add_u32_e32 v2, s12, v3
	s_waitcnt lgkmcnt(0)
	v_mad_i64_i32 v[2:3], s[26:27], s26, v2, 0
	s_mul_i32 s17, s17, s4
	s_mul_hi_u32 s26, s16, s4
	s_add_i32 s17, s26, s17
	s_mul_i32 s16, s16, s4
	s_lshl_b64 s[16:17], s[16:17], 3
	v_lshl_add_u64 v[2:3], v[2:3], 3, s[16:17]
	v_lshlrev_b32_e32 v4, 3, v15
	v_mov_b32_e32 v5, 0
	v_lshl_add_u64 v[2:3], v[2:3], 0, v[4:5]
	v_lshl_add_u64 v[8:9], s[14:15], 0, v[2:3]
	s_mul_i32 s9, s9, s4
	s_mul_hi_u32 s14, s8, s4
	s_add_i32 s9, s14, s9
	v_mad_i64_i32 v[2:3], s[14:15], s6, v14, 0
	s_mul_i32 s8, s8, s4
	v_lshlrev_b64 v[2:3], 3, v[2:3]
	v_add_u32_e32 v17, 0x800, v1
	v_ashrrev_i32_e32 v1, 31, v0
	v_lshl_add_u64 v[2:3], s[8:9], 3, v[2:3]
	s_ashr_i32 s7, s6, 31
	v_cmp_gt_i32_e64 s[2:3], s24, v0
	v_lshl_add_u64 v[0:1], v[0:1], 3, v[2:3]
	v_lshlrev_b32_e32 v18, 3, v13
	v_lshl_add_u64 v[10:11], s[18:19], 0, v[0:1]
	s_lshl_b64 s[8:9], s[6:7], 6
	v_mov_b64_e32 v[0:1], 0
	v_mov_b64_e32 v[2:3], 0
	;; [unrolled: 1-line block ×4, first 2 shown]
	s_branch .LBB52_6
.LBB52_5:                               ;   in Loop: Header=BB52_6 Depth=1
	s_or_b64 exec, exec, s[6:7]
	s_waitcnt vmcnt(0)
	ds_write_b64 v17, v[20:21]
	s_waitcnt lgkmcnt(0)
	s_barrier
	ds_read2_b64 v[20:23], v18 offset1:16
	ds_read_b128 v[24:27], v19
	ds_read_b128 v[28:31], v19 offset:16
	ds_read_b128 v[32:35], v19 offset:32
	;; [unrolled: 1-line block ×4, first 2 shown]
	ds_read2_b64 v[44:47], v18 offset0:32 offset1:48
	s_waitcnt lgkmcnt(5)
	v_fmac_f64_e32 v[6:7], v[20:21], v[24:25]
	v_fmac_f64_e32 v[4:5], v[22:23], v[24:25]
	ds_read_b128 v[48:51], v19 offset:1040
	s_waitcnt lgkmcnt(2)
	v_fmac_f64_e32 v[2:3], v[20:21], v[40:41]
	v_fmac_f64_e32 v[0:1], v[22:23], v[40:41]
	ds_read2_b64 v[20:23], v18 offset0:64 offset1:80
	s_waitcnt lgkmcnt(2)
	v_fmac_f64_e32 v[6:7], v[44:45], v[26:27]
	v_fmac_f64_e32 v[4:5], v[46:47], v[26:27]
	ds_read2_b64 v[24:27], v18 offset0:96 offset1:112
	v_fmac_f64_e32 v[2:3], v[44:45], v[42:43]
	v_fmac_f64_e32 v[0:1], v[46:47], v[42:43]
	s_waitcnt lgkmcnt(1)
	v_fmac_f64_e32 v[6:7], v[20:21], v[28:29]
	v_fmac_f64_e32 v[4:5], v[22:23], v[28:29]
	ds_read_b128 v[40:43], v19 offset:1072
	v_fmac_f64_e32 v[2:3], v[20:21], v[48:49]
	v_fmac_f64_e32 v[0:1], v[22:23], v[48:49]
	s_waitcnt lgkmcnt(1)
	v_fmac_f64_e32 v[6:7], v[24:25], v[30:31]
	ds_read2_b64 v[20:23], v18 offset0:128 offset1:144
	v_fmac_f64_e32 v[4:5], v[26:27], v[30:31]
	v_fmac_f64_e32 v[2:3], v[24:25], v[50:51]
	;; [unrolled: 1-line block ×3, first 2 shown]
	ds_read_b128 v[24:27], v19 offset:1056
	ds_read2_b64 v[28:31], v18 offset0:160 offset1:176
	s_waitcnt lgkmcnt(2)
	v_fmac_f64_e32 v[6:7], v[20:21], v[32:33]
	v_fmac_f64_e32 v[4:5], v[22:23], v[32:33]
	s_add_i32 s13, s13, 8
	s_waitcnt lgkmcnt(1)
	v_fmac_f64_e32 v[2:3], v[20:21], v[24:25]
	v_fmac_f64_e32 v[0:1], v[22:23], v[24:25]
	ds_read2_b64 v[20:23], v18 offset0:192 offset1:208
	s_waitcnt lgkmcnt(1)
	v_fmac_f64_e32 v[2:3], v[28:29], v[26:27]
	v_fmac_f64_e32 v[0:1], v[30:31], v[26:27]
	ds_read2_b64 v[24:27], v18 offset0:224 offset1:240
	v_fmac_f64_e32 v[6:7], v[28:29], v[34:35]
	v_fmac_f64_e32 v[4:5], v[30:31], v[34:35]
	s_waitcnt lgkmcnt(1)
	v_fmac_f64_e32 v[6:7], v[20:21], v[36:37]
	v_fmac_f64_e32 v[4:5], v[22:23], v[36:37]
	;; [unrolled: 1-line block ×4, first 2 shown]
	s_waitcnt lgkmcnt(0)
	v_fmac_f64_e32 v[6:7], v[24:25], v[38:39]
	v_fmac_f64_e32 v[4:5], v[26:27], v[38:39]
	;; [unrolled: 1-line block ×4, first 2 shown]
	v_lshl_add_u64 v[8:9], v[8:9], 0, 64
	s_cmp_lt_i32 s13, s25
	v_lshl_add_u64 v[10:11], v[10:11], 0, s[8:9]
	s_barrier
	s_cbranch_scc0 .LBB52_10
.LBB52_6:                               ; =>This Inner Loop Header: Depth=1
	v_add_u32_e32 v20, s13, v15
	v_cmp_gt_i32_e64 s[6:7], s25, v20
	s_and_b64 s[14:15], vcc, s[6:7]
	v_mov_b64_e32 v[20:21], 0
	s_and_saveexec_b64 s[6:7], s[14:15]
	s_cbranch_execz .LBB52_8
; %bb.7:                                ;   in Loop: Header=BB52_6 Depth=1
	global_load_dwordx2 v[20:21], v[8:9], off
.LBB52_8:                               ;   in Loop: Header=BB52_6 Depth=1
	s_or_b64 exec, exec, s[6:7]
	s_waitcnt vmcnt(0)
	ds_write_b64 v16, v[20:21]
	v_add_u32_e32 v20, s13, v14
	v_cmp_gt_i32_e64 s[6:7], s25, v20
	s_and_b64 s[14:15], s[6:7], s[2:3]
	v_mov_b64_e32 v[20:21], 0
	s_and_saveexec_b64 s[6:7], s[14:15]
	s_cbranch_execz .LBB52_5
; %bb.9:                                ;   in Loop: Header=BB52_6 Depth=1
	global_load_dwordx2 v[20:21], v[10:11], off
	s_branch .LBB52_5
.LBB52_10:
	s_load_dwordx2 s[2:3], s[0:1], 0x58
	s_load_dword s13, s[0:1], 0x50
	v_add_u32_e32 v14, s5, v12
	v_add_u32_e32 v8, s12, v13
	v_cmp_le_i32_e32 vcc, v14, v8
	s_waitcnt lgkmcnt(0)
	s_mul_i32 s1, s3, s4
	s_mul_hi_u32 s3, s2, s4
	s_mul_i32 s0, s2, s4
	s_add_i32 s1, s3, s1
	s_lshl_b64 s[0:1], s[0:1], 3
	s_add_u32 s6, s10, s0
	s_addc_u32 s7, s11, s1
	v_mad_i64_i32 v[10:11], s[0:1], v14, s13, 0
	v_cmp_neq_f64_e64 s[0:1], s[20:21], 0
	v_cmp_gt_i32_e64 s[2:3], s24, v8
	v_lshl_add_u64 v[10:11], v[10:11], 3, s[6:7]
	v_cndmask_b32_e64 v12, 0, 1, s[0:1]
	s_and_b64 s[8:9], vcc, s[2:3]
	v_ashrrev_i32_e32 v9, 31, v8
	v_cmp_ne_u32_e64 s[0:1], 1, v12
	s_and_saveexec_b64 s[4:5], s[8:9]
	s_cbranch_execz .LBB52_14
; %bb.11:
	v_mul_f64 v[6:7], s[22:23], v[6:7]
	s_and_b64 vcc, exec, s[0:1]
	v_lshl_add_u64 v[12:13], v[8:9], 3, v[10:11]
	s_cbranch_vccnz .LBB52_13
; %bb.12:
	global_load_dwordx2 v[16:17], v[12:13], off
	s_waitcnt vmcnt(0)
	v_fmac_f64_e32 v[6:7], s[20:21], v[16:17]
.LBB52_13:
	global_store_dwordx2 v[12:13], v[6:7], off
.LBB52_14:
	s_or_b64 exec, exec, s[4:5]
	v_add_u32_e32 v6, 16, v8
	v_cmp_le_i32_e32 vcc, v14, v6
	v_cmp_gt_i32_e64 s[4:5], s24, v6
	s_and_b64 s[10:11], vcc, s[4:5]
	v_ashrrev_i32_e32 v7, 31, v6
	s_and_saveexec_b64 s[8:9], s[10:11]
	s_cbranch_execz .LBB52_18
; %bb.15:
	v_mul_f64 v[4:5], s[22:23], v[4:5]
	s_and_b64 vcc, exec, s[0:1]
	v_lshl_add_u64 v[10:11], v[6:7], 3, v[10:11]
	s_cbranch_vccnz .LBB52_17
; %bb.16:
	global_load_dwordx2 v[12:13], v[10:11], off
	s_waitcnt vmcnt(0)
	v_fmac_f64_e32 v[4:5], s[20:21], v[12:13]
.LBB52_17:
	global_store_dwordx2 v[10:11], v[4:5], off
.LBB52_18:
	s_or_b64 exec, exec, s[8:9]
	v_add_u32_e32 v10, 16, v14
	v_mad_i64_i32 v[4:5], s[8:9], v10, s13, 0
	v_cmp_le_i32_e32 vcc, v10, v8
	v_lshl_add_u64 v[4:5], v[4:5], 3, s[6:7]
	s_and_b64 s[6:7], vcc, s[2:3]
	s_and_saveexec_b64 s[2:3], s[6:7]
	s_cbranch_execz .LBB52_22
; %bb.19:
	v_mul_f64 v[2:3], s[22:23], v[2:3]
	s_and_b64 vcc, exec, s[0:1]
	v_lshl_add_u64 v[8:9], v[8:9], 3, v[4:5]
	s_cbranch_vccnz .LBB52_21
; %bb.20:
	global_load_dwordx2 v[12:13], v[8:9], off
	s_waitcnt vmcnt(0)
	v_fmac_f64_e32 v[2:3], s[20:21], v[12:13]
.LBB52_21:
	global_store_dwordx2 v[8:9], v[2:3], off
.LBB52_22:
	s_or_b64 exec, exec, s[2:3]
	v_cmp_le_i32_e32 vcc, v10, v6
	s_and_b64 s[2:3], vcc, s[4:5]
	s_and_saveexec_b64 s[4:5], s[2:3]
	s_cbranch_execz .LBB52_26
; %bb.23:
	v_mul_f64 v[0:1], s[22:23], v[0:1]
	s_and_b64 vcc, exec, s[0:1]
	v_lshl_add_u64 v[2:3], v[6:7], 3, v[4:5]
	s_cbranch_vccnz .LBB52_25
; %bb.24:
	global_load_dwordx2 v[4:5], v[2:3], off
	s_waitcnt vmcnt(0)
	v_fmac_f64_e32 v[0:1], s[20:21], v[4:5]
.LBB52_25:
	global_store_dwordx2 v[2:3], v[0:1], off
.LBB52_26:
	s_endpgm
	.section	.rodata,"a",@progbits
	.p2align	6, 0x0
	.amdhsa_kernel _ZL29rocblas_internal_gemmt_kernelIiLi16ELi32ELi8ELc67ELc84ELc76ELb0ELb0EdPKdS1_PdEviT_T9_T10_S3_lS5_S3_lS4_T11_S3_li
		.amdhsa_group_segment_fixed_size 4096
		.amdhsa_private_segment_fixed_size 0
		.amdhsa_kernarg_size 100
		.amdhsa_user_sgpr_count 2
		.amdhsa_user_sgpr_dispatch_ptr 0
		.amdhsa_user_sgpr_queue_ptr 0
		.amdhsa_user_sgpr_kernarg_segment_ptr 1
		.amdhsa_user_sgpr_dispatch_id 0
		.amdhsa_user_sgpr_kernarg_preload_length 0
		.amdhsa_user_sgpr_kernarg_preload_offset 0
		.amdhsa_user_sgpr_private_segment_size 0
		.amdhsa_uses_dynamic_stack 0
		.amdhsa_enable_private_segment 0
		.amdhsa_system_sgpr_workgroup_id_x 1
		.amdhsa_system_sgpr_workgroup_id_y 1
		.amdhsa_system_sgpr_workgroup_id_z 1
		.amdhsa_system_sgpr_workgroup_info 0
		.amdhsa_system_vgpr_workitem_id 1
		.amdhsa_next_free_vgpr 52
		.amdhsa_next_free_sgpr 28
		.amdhsa_accum_offset 52
		.amdhsa_reserve_vcc 1
		.amdhsa_float_round_mode_32 0
		.amdhsa_float_round_mode_16_64 0
		.amdhsa_float_denorm_mode_32 3
		.amdhsa_float_denorm_mode_16_64 3
		.amdhsa_dx10_clamp 1
		.amdhsa_ieee_mode 1
		.amdhsa_fp16_overflow 0
		.amdhsa_tg_split 0
		.amdhsa_exception_fp_ieee_invalid_op 0
		.amdhsa_exception_fp_denorm_src 0
		.amdhsa_exception_fp_ieee_div_zero 0
		.amdhsa_exception_fp_ieee_overflow 0
		.amdhsa_exception_fp_ieee_underflow 0
		.amdhsa_exception_fp_ieee_inexact 0
		.amdhsa_exception_int_div_zero 0
	.end_amdhsa_kernel
	.section	.text._ZL29rocblas_internal_gemmt_kernelIiLi16ELi32ELi8ELc67ELc84ELc76ELb0ELb0EdPKdS1_PdEviT_T9_T10_S3_lS5_S3_lS4_T11_S3_li,"axG",@progbits,_ZL29rocblas_internal_gemmt_kernelIiLi16ELi32ELi8ELc67ELc84ELc76ELb0ELb0EdPKdS1_PdEviT_T9_T10_S3_lS5_S3_lS4_T11_S3_li,comdat
.Lfunc_end52:
	.size	_ZL29rocblas_internal_gemmt_kernelIiLi16ELi32ELi8ELc67ELc84ELc76ELb0ELb0EdPKdS1_PdEviT_T9_T10_S3_lS5_S3_lS4_T11_S3_li, .Lfunc_end52-_ZL29rocblas_internal_gemmt_kernelIiLi16ELi32ELi8ELc67ELc84ELc76ELb0ELb0EdPKdS1_PdEviT_T9_T10_S3_lS5_S3_lS4_T11_S3_li
                                        ; -- End function
	.set _ZL29rocblas_internal_gemmt_kernelIiLi16ELi32ELi8ELc67ELc84ELc76ELb0ELb0EdPKdS1_PdEviT_T9_T10_S3_lS5_S3_lS4_T11_S3_li.num_vgpr, 52
	.set _ZL29rocblas_internal_gemmt_kernelIiLi16ELi32ELi8ELc67ELc84ELc76ELb0ELb0EdPKdS1_PdEviT_T9_T10_S3_lS5_S3_lS4_T11_S3_li.num_agpr, 0
	.set _ZL29rocblas_internal_gemmt_kernelIiLi16ELi32ELi8ELc67ELc84ELc76ELb0ELb0EdPKdS1_PdEviT_T9_T10_S3_lS5_S3_lS4_T11_S3_li.numbered_sgpr, 28
	.set _ZL29rocblas_internal_gemmt_kernelIiLi16ELi32ELi8ELc67ELc84ELc76ELb0ELb0EdPKdS1_PdEviT_T9_T10_S3_lS5_S3_lS4_T11_S3_li.num_named_barrier, 0
	.set _ZL29rocblas_internal_gemmt_kernelIiLi16ELi32ELi8ELc67ELc84ELc76ELb0ELb0EdPKdS1_PdEviT_T9_T10_S3_lS5_S3_lS4_T11_S3_li.private_seg_size, 0
	.set _ZL29rocblas_internal_gemmt_kernelIiLi16ELi32ELi8ELc67ELc84ELc76ELb0ELb0EdPKdS1_PdEviT_T9_T10_S3_lS5_S3_lS4_T11_S3_li.uses_vcc, 1
	.set _ZL29rocblas_internal_gemmt_kernelIiLi16ELi32ELi8ELc67ELc84ELc76ELb0ELb0EdPKdS1_PdEviT_T9_T10_S3_lS5_S3_lS4_T11_S3_li.uses_flat_scratch, 0
	.set _ZL29rocblas_internal_gemmt_kernelIiLi16ELi32ELi8ELc67ELc84ELc76ELb0ELb0EdPKdS1_PdEviT_T9_T10_S3_lS5_S3_lS4_T11_S3_li.has_dyn_sized_stack, 0
	.set _ZL29rocblas_internal_gemmt_kernelIiLi16ELi32ELi8ELc67ELc84ELc76ELb0ELb0EdPKdS1_PdEviT_T9_T10_S3_lS5_S3_lS4_T11_S3_li.has_recursion, 0
	.set _ZL29rocblas_internal_gemmt_kernelIiLi16ELi32ELi8ELc67ELc84ELc76ELb0ELb0EdPKdS1_PdEviT_T9_T10_S3_lS5_S3_lS4_T11_S3_li.has_indirect_call, 0
	.section	.AMDGPU.csdata,"",@progbits
; Kernel info:
; codeLenInByte = 1308
; TotalNumSgprs: 34
; NumVgprs: 52
; NumAgprs: 0
; TotalNumVgprs: 52
; ScratchSize: 0
; MemoryBound: 0
; FloatMode: 240
; IeeeMode: 1
; LDSByteSize: 4096 bytes/workgroup (compile time only)
; SGPRBlocks: 4
; VGPRBlocks: 6
; NumSGPRsForWavesPerEU: 34
; NumVGPRsForWavesPerEU: 52
; AccumOffset: 52
; Occupancy: 8
; WaveLimiterHint : 0
; COMPUTE_PGM_RSRC2:SCRATCH_EN: 0
; COMPUTE_PGM_RSRC2:USER_SGPR: 2
; COMPUTE_PGM_RSRC2:TRAP_HANDLER: 0
; COMPUTE_PGM_RSRC2:TGID_X_EN: 1
; COMPUTE_PGM_RSRC2:TGID_Y_EN: 1
; COMPUTE_PGM_RSRC2:TGID_Z_EN: 1
; COMPUTE_PGM_RSRC2:TIDIG_COMP_CNT: 1
; COMPUTE_PGM_RSRC3_GFX90A:ACCUM_OFFSET: 12
; COMPUTE_PGM_RSRC3_GFX90A:TG_SPLIT: 0
	.section	.text._ZL29rocblas_internal_gemmt_kernelIiLi16ELi32ELi8ELc67ELc67ELc76ELb0ELb0EdPKdS1_PdEviT_T9_T10_S3_lS5_S3_lS4_T11_S3_li,"axG",@progbits,_ZL29rocblas_internal_gemmt_kernelIiLi16ELi32ELi8ELc67ELc67ELc76ELb0ELb0EdPKdS1_PdEviT_T9_T10_S3_lS5_S3_lS4_T11_S3_li,comdat
	.globl	_ZL29rocblas_internal_gemmt_kernelIiLi16ELi32ELi8ELc67ELc67ELc76ELb0ELb0EdPKdS1_PdEviT_T9_T10_S3_lS5_S3_lS4_T11_S3_li ; -- Begin function _ZL29rocblas_internal_gemmt_kernelIiLi16ELi32ELi8ELc67ELc67ELc76ELb0ELb0EdPKdS1_PdEviT_T9_T10_S3_lS5_S3_lS4_T11_S3_li
	.p2align	8
	.type	_ZL29rocblas_internal_gemmt_kernelIiLi16ELi32ELi8ELc67ELc67ELc76ELb0ELb0EdPKdS1_PdEviT_T9_T10_S3_lS5_S3_lS4_T11_S3_li,@function
_ZL29rocblas_internal_gemmt_kernelIiLi16ELi32ELi8ELc67ELc67ELc76ELb0ELb0EdPKdS1_PdEviT_T9_T10_S3_lS5_S3_lS4_T11_S3_li: ; @_ZL29rocblas_internal_gemmt_kernelIiLi16ELi32ELi8ELc67ELc67ELc76ELb0ELb0EdPKdS1_PdEviT_T9_T10_S3_lS5_S3_lS4_T11_S3_li
; %bb.0:
	s_load_dwordx4 s[8:11], s[0:1], 0x38
	s_load_dwordx4 s[12:15], s[0:1], 0x8
	s_waitcnt lgkmcnt(0)
	s_load_dwordx2 s[20:21], s[10:11], 0x0
	s_load_dwordx2 s[24:25], s[0:1], 0x0
	;; [unrolled: 1-line block ×3, first 2 shown]
	s_waitcnt lgkmcnt(0)
	v_cmp_neq_f64_e64 s[6:7], s[20:21], 1.0
	s_and_b64 vcc, exec, s[6:7]
	s_cbranch_vccnz .LBB53_2
; %bb.1:
	s_cmp_lg_u32 s25, 0
	s_cselect_b64 s[6:7], -1, 0
	v_cmp_neq_f64_e64 s[10:11], s[22:23], 0
	s_and_b64 s[6:7], s[6:7], s[10:11]
.LBB53_2:
	s_andn2_b64 vcc, exec, s[6:7]
	s_cbranch_vccnz .LBB53_26
; %bb.3:
	s_load_dwordx2 s[10:11], s[0:1], 0x48
	s_lshl_b32 s12, s2, 5
	s_lshl_b32 s5, s3, 5
	s_cmp_lt_i32 s25, 1
	v_cmp_eq_f64_e64 s[2:3], s[22:23], 0
	s_cselect_b64 s[6:7], -1, 0
	s_or_b64 s[2:3], s[2:3], s[6:7]
	v_and_b32_e32 v13, 0x3ff, v0
	v_bfe_u32 v12, v0, 10, 10
	s_mov_b32 s13, 0
	v_mov_b64_e32 v[6:7], 0
	s_and_b64 vcc, exec, s[2:3]
	v_mov_b64_e32 v[4:5], 0
	v_mov_b64_e32 v[2:3], 0
	;; [unrolled: 1-line block ×3, first 2 shown]
	s_cbranch_vccnz .LBB53_10
; %bb.4:
	v_lshl_add_u32 v1, v12, 4, v13
	v_and_b32_e32 v3, 31, v1
	v_lshrrev_b32_e32 v15, 5, v1
	v_lshrrev_b32_e32 v2, 3, v1
	v_or_b32_e32 v1, s12, v3
	s_load_dword s26, s[0:1], 0x18
	s_load_dword s6, s[0:1], 0x30
	s_load_dwordx4 s[16:19], s[0:1], 0x20
	v_and_b32_e32 v14, 7, v13
	v_cmp_gt_i32_e32 vcc, s24, v1
	v_lshlrev_b32_e32 v1, 3, v3
	v_lshl_or_b32 v16, v15, 8, v1
	v_lshlrev_b32_e32 v1, 3, v14
	v_add_u32_e32 v0, s5, v2
	v_lshl_or_b32 v1, v2, 6, v1
	v_mov_b32_e32 v2, 0x800
	v_lshl_add_u32 v19, v12, 6, v2
	v_add_u32_e32 v2, s12, v3
	s_waitcnt lgkmcnt(0)
	v_mad_i64_i32 v[2:3], s[26:27], s26, v2, 0
	s_mul_i32 s17, s17, s4
	s_mul_hi_u32 s26, s16, s4
	s_add_i32 s17, s26, s17
	s_mul_i32 s16, s16, s4
	s_lshl_b64 s[16:17], s[16:17], 3
	v_lshl_add_u64 v[2:3], v[2:3], 3, s[16:17]
	v_lshlrev_b32_e32 v4, 3, v15
	v_mov_b32_e32 v5, 0
	v_lshl_add_u64 v[2:3], v[2:3], 0, v[4:5]
	v_lshl_add_u64 v[8:9], s[14:15], 0, v[2:3]
	s_mul_i32 s9, s9, s4
	s_mul_hi_u32 s14, s8, s4
	s_add_i32 s9, s14, s9
	v_mad_i64_i32 v[2:3], s[14:15], s6, v14, 0
	s_mul_i32 s8, s8, s4
	v_lshlrev_b64 v[2:3], 3, v[2:3]
	v_add_u32_e32 v17, 0x800, v1
	v_ashrrev_i32_e32 v1, 31, v0
	v_lshl_add_u64 v[2:3], s[8:9], 3, v[2:3]
	s_ashr_i32 s7, s6, 31
	v_cmp_gt_i32_e64 s[2:3], s24, v0
	v_lshl_add_u64 v[0:1], v[0:1], 3, v[2:3]
	v_lshlrev_b32_e32 v18, 3, v13
	v_lshl_add_u64 v[10:11], s[18:19], 0, v[0:1]
	s_lshl_b64 s[8:9], s[6:7], 6
	v_mov_b64_e32 v[0:1], 0
	v_mov_b64_e32 v[2:3], 0
	;; [unrolled: 1-line block ×4, first 2 shown]
	s_branch .LBB53_6
.LBB53_5:                               ;   in Loop: Header=BB53_6 Depth=1
	s_or_b64 exec, exec, s[6:7]
	s_waitcnt vmcnt(0)
	ds_write_b64 v17, v[20:21]
	s_waitcnt lgkmcnt(0)
	s_barrier
	ds_read2_b64 v[20:23], v18 offset1:16
	ds_read_b128 v[24:27], v19
	ds_read_b128 v[28:31], v19 offset:16
	ds_read_b128 v[32:35], v19 offset:32
	ds_read_b128 v[36:39], v19 offset:48
	ds_read_b128 v[40:43], v19 offset:1024
	ds_read2_b64 v[44:47], v18 offset0:32 offset1:48
	s_waitcnt lgkmcnt(5)
	v_fmac_f64_e32 v[6:7], v[20:21], v[24:25]
	v_fmac_f64_e32 v[4:5], v[22:23], v[24:25]
	ds_read_b128 v[48:51], v19 offset:1040
	s_waitcnt lgkmcnt(2)
	v_fmac_f64_e32 v[2:3], v[20:21], v[40:41]
	v_fmac_f64_e32 v[0:1], v[22:23], v[40:41]
	ds_read2_b64 v[20:23], v18 offset0:64 offset1:80
	s_waitcnt lgkmcnt(2)
	v_fmac_f64_e32 v[6:7], v[44:45], v[26:27]
	v_fmac_f64_e32 v[4:5], v[46:47], v[26:27]
	ds_read2_b64 v[24:27], v18 offset0:96 offset1:112
	v_fmac_f64_e32 v[2:3], v[44:45], v[42:43]
	v_fmac_f64_e32 v[0:1], v[46:47], v[42:43]
	s_waitcnt lgkmcnt(1)
	v_fmac_f64_e32 v[6:7], v[20:21], v[28:29]
	v_fmac_f64_e32 v[4:5], v[22:23], v[28:29]
	ds_read_b128 v[40:43], v19 offset:1072
	v_fmac_f64_e32 v[2:3], v[20:21], v[48:49]
	v_fmac_f64_e32 v[0:1], v[22:23], v[48:49]
	s_waitcnt lgkmcnt(1)
	v_fmac_f64_e32 v[6:7], v[24:25], v[30:31]
	ds_read2_b64 v[20:23], v18 offset0:128 offset1:144
	v_fmac_f64_e32 v[4:5], v[26:27], v[30:31]
	v_fmac_f64_e32 v[2:3], v[24:25], v[50:51]
	;; [unrolled: 1-line block ×3, first 2 shown]
	ds_read_b128 v[24:27], v19 offset:1056
	ds_read2_b64 v[28:31], v18 offset0:160 offset1:176
	s_waitcnt lgkmcnt(2)
	v_fmac_f64_e32 v[6:7], v[20:21], v[32:33]
	v_fmac_f64_e32 v[4:5], v[22:23], v[32:33]
	s_add_i32 s13, s13, 8
	s_waitcnt lgkmcnt(1)
	v_fmac_f64_e32 v[2:3], v[20:21], v[24:25]
	v_fmac_f64_e32 v[0:1], v[22:23], v[24:25]
	ds_read2_b64 v[20:23], v18 offset0:192 offset1:208
	s_waitcnt lgkmcnt(1)
	v_fmac_f64_e32 v[2:3], v[28:29], v[26:27]
	v_fmac_f64_e32 v[0:1], v[30:31], v[26:27]
	ds_read2_b64 v[24:27], v18 offset0:224 offset1:240
	v_fmac_f64_e32 v[6:7], v[28:29], v[34:35]
	v_fmac_f64_e32 v[4:5], v[30:31], v[34:35]
	s_waitcnt lgkmcnt(1)
	v_fmac_f64_e32 v[6:7], v[20:21], v[36:37]
	v_fmac_f64_e32 v[4:5], v[22:23], v[36:37]
	;; [unrolled: 1-line block ×4, first 2 shown]
	s_waitcnt lgkmcnt(0)
	v_fmac_f64_e32 v[6:7], v[24:25], v[38:39]
	v_fmac_f64_e32 v[4:5], v[26:27], v[38:39]
	;; [unrolled: 1-line block ×4, first 2 shown]
	v_lshl_add_u64 v[8:9], v[8:9], 0, 64
	s_cmp_lt_i32 s13, s25
	v_lshl_add_u64 v[10:11], v[10:11], 0, s[8:9]
	s_barrier
	s_cbranch_scc0 .LBB53_10
.LBB53_6:                               ; =>This Inner Loop Header: Depth=1
	v_add_u32_e32 v20, s13, v15
	v_cmp_gt_i32_e64 s[6:7], s25, v20
	s_and_b64 s[14:15], vcc, s[6:7]
	v_mov_b64_e32 v[20:21], 0
	s_and_saveexec_b64 s[6:7], s[14:15]
	s_cbranch_execz .LBB53_8
; %bb.7:                                ;   in Loop: Header=BB53_6 Depth=1
	global_load_dwordx2 v[20:21], v[8:9], off
.LBB53_8:                               ;   in Loop: Header=BB53_6 Depth=1
	s_or_b64 exec, exec, s[6:7]
	s_waitcnt vmcnt(0)
	ds_write_b64 v16, v[20:21]
	v_add_u32_e32 v20, s13, v14
	v_cmp_gt_i32_e64 s[6:7], s25, v20
	s_and_b64 s[14:15], s[6:7], s[2:3]
	v_mov_b64_e32 v[20:21], 0
	s_and_saveexec_b64 s[6:7], s[14:15]
	s_cbranch_execz .LBB53_5
; %bb.9:                                ;   in Loop: Header=BB53_6 Depth=1
	global_load_dwordx2 v[20:21], v[10:11], off
	s_branch .LBB53_5
.LBB53_10:
	s_load_dwordx2 s[2:3], s[0:1], 0x58
	s_load_dword s13, s[0:1], 0x50
	v_add_u32_e32 v14, s5, v12
	v_add_u32_e32 v8, s12, v13
	v_cmp_le_i32_e32 vcc, v14, v8
	s_waitcnt lgkmcnt(0)
	s_mul_i32 s1, s3, s4
	s_mul_hi_u32 s3, s2, s4
	s_mul_i32 s0, s2, s4
	s_add_i32 s1, s3, s1
	s_lshl_b64 s[0:1], s[0:1], 3
	s_add_u32 s6, s10, s0
	s_addc_u32 s7, s11, s1
	v_mad_i64_i32 v[10:11], s[0:1], v14, s13, 0
	v_cmp_neq_f64_e64 s[0:1], s[20:21], 0
	v_cmp_gt_i32_e64 s[2:3], s24, v8
	v_lshl_add_u64 v[10:11], v[10:11], 3, s[6:7]
	v_cndmask_b32_e64 v12, 0, 1, s[0:1]
	s_and_b64 s[8:9], vcc, s[2:3]
	v_ashrrev_i32_e32 v9, 31, v8
	v_cmp_ne_u32_e64 s[0:1], 1, v12
	s_and_saveexec_b64 s[4:5], s[8:9]
	s_cbranch_execz .LBB53_14
; %bb.11:
	v_mul_f64 v[6:7], s[22:23], v[6:7]
	s_and_b64 vcc, exec, s[0:1]
	v_lshl_add_u64 v[12:13], v[8:9], 3, v[10:11]
	s_cbranch_vccnz .LBB53_13
; %bb.12:
	global_load_dwordx2 v[16:17], v[12:13], off
	s_waitcnt vmcnt(0)
	v_fmac_f64_e32 v[6:7], s[20:21], v[16:17]
.LBB53_13:
	global_store_dwordx2 v[12:13], v[6:7], off
.LBB53_14:
	s_or_b64 exec, exec, s[4:5]
	v_add_u32_e32 v6, 16, v8
	v_cmp_le_i32_e32 vcc, v14, v6
	v_cmp_gt_i32_e64 s[4:5], s24, v6
	s_and_b64 s[10:11], vcc, s[4:5]
	v_ashrrev_i32_e32 v7, 31, v6
	s_and_saveexec_b64 s[8:9], s[10:11]
	s_cbranch_execz .LBB53_18
; %bb.15:
	v_mul_f64 v[4:5], s[22:23], v[4:5]
	s_and_b64 vcc, exec, s[0:1]
	v_lshl_add_u64 v[10:11], v[6:7], 3, v[10:11]
	s_cbranch_vccnz .LBB53_17
; %bb.16:
	global_load_dwordx2 v[12:13], v[10:11], off
	s_waitcnt vmcnt(0)
	v_fmac_f64_e32 v[4:5], s[20:21], v[12:13]
.LBB53_17:
	global_store_dwordx2 v[10:11], v[4:5], off
.LBB53_18:
	s_or_b64 exec, exec, s[8:9]
	v_add_u32_e32 v10, 16, v14
	v_mad_i64_i32 v[4:5], s[8:9], v10, s13, 0
	v_cmp_le_i32_e32 vcc, v10, v8
	v_lshl_add_u64 v[4:5], v[4:5], 3, s[6:7]
	s_and_b64 s[6:7], vcc, s[2:3]
	s_and_saveexec_b64 s[2:3], s[6:7]
	s_cbranch_execz .LBB53_22
; %bb.19:
	v_mul_f64 v[2:3], s[22:23], v[2:3]
	s_and_b64 vcc, exec, s[0:1]
	v_lshl_add_u64 v[8:9], v[8:9], 3, v[4:5]
	s_cbranch_vccnz .LBB53_21
; %bb.20:
	global_load_dwordx2 v[12:13], v[8:9], off
	s_waitcnt vmcnt(0)
	v_fmac_f64_e32 v[2:3], s[20:21], v[12:13]
.LBB53_21:
	global_store_dwordx2 v[8:9], v[2:3], off
.LBB53_22:
	s_or_b64 exec, exec, s[2:3]
	v_cmp_le_i32_e32 vcc, v10, v6
	s_and_b64 s[2:3], vcc, s[4:5]
	s_and_saveexec_b64 s[4:5], s[2:3]
	s_cbranch_execz .LBB53_26
; %bb.23:
	v_mul_f64 v[0:1], s[22:23], v[0:1]
	s_and_b64 vcc, exec, s[0:1]
	v_lshl_add_u64 v[2:3], v[6:7], 3, v[4:5]
	s_cbranch_vccnz .LBB53_25
; %bb.24:
	global_load_dwordx2 v[4:5], v[2:3], off
	s_waitcnt vmcnt(0)
	v_fmac_f64_e32 v[0:1], s[20:21], v[4:5]
.LBB53_25:
	global_store_dwordx2 v[2:3], v[0:1], off
.LBB53_26:
	s_endpgm
	.section	.rodata,"a",@progbits
	.p2align	6, 0x0
	.amdhsa_kernel _ZL29rocblas_internal_gemmt_kernelIiLi16ELi32ELi8ELc67ELc67ELc76ELb0ELb0EdPKdS1_PdEviT_T9_T10_S3_lS5_S3_lS4_T11_S3_li
		.amdhsa_group_segment_fixed_size 4096
		.amdhsa_private_segment_fixed_size 0
		.amdhsa_kernarg_size 100
		.amdhsa_user_sgpr_count 2
		.amdhsa_user_sgpr_dispatch_ptr 0
		.amdhsa_user_sgpr_queue_ptr 0
		.amdhsa_user_sgpr_kernarg_segment_ptr 1
		.amdhsa_user_sgpr_dispatch_id 0
		.amdhsa_user_sgpr_kernarg_preload_length 0
		.amdhsa_user_sgpr_kernarg_preload_offset 0
		.amdhsa_user_sgpr_private_segment_size 0
		.amdhsa_uses_dynamic_stack 0
		.amdhsa_enable_private_segment 0
		.amdhsa_system_sgpr_workgroup_id_x 1
		.amdhsa_system_sgpr_workgroup_id_y 1
		.amdhsa_system_sgpr_workgroup_id_z 1
		.amdhsa_system_sgpr_workgroup_info 0
		.amdhsa_system_vgpr_workitem_id 1
		.amdhsa_next_free_vgpr 52
		.amdhsa_next_free_sgpr 28
		.amdhsa_accum_offset 52
		.amdhsa_reserve_vcc 1
		.amdhsa_float_round_mode_32 0
		.amdhsa_float_round_mode_16_64 0
		.amdhsa_float_denorm_mode_32 3
		.amdhsa_float_denorm_mode_16_64 3
		.amdhsa_dx10_clamp 1
		.amdhsa_ieee_mode 1
		.amdhsa_fp16_overflow 0
		.amdhsa_tg_split 0
		.amdhsa_exception_fp_ieee_invalid_op 0
		.amdhsa_exception_fp_denorm_src 0
		.amdhsa_exception_fp_ieee_div_zero 0
		.amdhsa_exception_fp_ieee_overflow 0
		.amdhsa_exception_fp_ieee_underflow 0
		.amdhsa_exception_fp_ieee_inexact 0
		.amdhsa_exception_int_div_zero 0
	.end_amdhsa_kernel
	.section	.text._ZL29rocblas_internal_gemmt_kernelIiLi16ELi32ELi8ELc67ELc67ELc76ELb0ELb0EdPKdS1_PdEviT_T9_T10_S3_lS5_S3_lS4_T11_S3_li,"axG",@progbits,_ZL29rocblas_internal_gemmt_kernelIiLi16ELi32ELi8ELc67ELc67ELc76ELb0ELb0EdPKdS1_PdEviT_T9_T10_S3_lS5_S3_lS4_T11_S3_li,comdat
.Lfunc_end53:
	.size	_ZL29rocblas_internal_gemmt_kernelIiLi16ELi32ELi8ELc67ELc67ELc76ELb0ELb0EdPKdS1_PdEviT_T9_T10_S3_lS5_S3_lS4_T11_S3_li, .Lfunc_end53-_ZL29rocblas_internal_gemmt_kernelIiLi16ELi32ELi8ELc67ELc67ELc76ELb0ELb0EdPKdS1_PdEviT_T9_T10_S3_lS5_S3_lS4_T11_S3_li
                                        ; -- End function
	.set _ZL29rocblas_internal_gemmt_kernelIiLi16ELi32ELi8ELc67ELc67ELc76ELb0ELb0EdPKdS1_PdEviT_T9_T10_S3_lS5_S3_lS4_T11_S3_li.num_vgpr, 52
	.set _ZL29rocblas_internal_gemmt_kernelIiLi16ELi32ELi8ELc67ELc67ELc76ELb0ELb0EdPKdS1_PdEviT_T9_T10_S3_lS5_S3_lS4_T11_S3_li.num_agpr, 0
	.set _ZL29rocblas_internal_gemmt_kernelIiLi16ELi32ELi8ELc67ELc67ELc76ELb0ELb0EdPKdS1_PdEviT_T9_T10_S3_lS5_S3_lS4_T11_S3_li.numbered_sgpr, 28
	.set _ZL29rocblas_internal_gemmt_kernelIiLi16ELi32ELi8ELc67ELc67ELc76ELb0ELb0EdPKdS1_PdEviT_T9_T10_S3_lS5_S3_lS4_T11_S3_li.num_named_barrier, 0
	.set _ZL29rocblas_internal_gemmt_kernelIiLi16ELi32ELi8ELc67ELc67ELc76ELb0ELb0EdPKdS1_PdEviT_T9_T10_S3_lS5_S3_lS4_T11_S3_li.private_seg_size, 0
	.set _ZL29rocblas_internal_gemmt_kernelIiLi16ELi32ELi8ELc67ELc67ELc76ELb0ELb0EdPKdS1_PdEviT_T9_T10_S3_lS5_S3_lS4_T11_S3_li.uses_vcc, 1
	.set _ZL29rocblas_internal_gemmt_kernelIiLi16ELi32ELi8ELc67ELc67ELc76ELb0ELb0EdPKdS1_PdEviT_T9_T10_S3_lS5_S3_lS4_T11_S3_li.uses_flat_scratch, 0
	.set _ZL29rocblas_internal_gemmt_kernelIiLi16ELi32ELi8ELc67ELc67ELc76ELb0ELb0EdPKdS1_PdEviT_T9_T10_S3_lS5_S3_lS4_T11_S3_li.has_dyn_sized_stack, 0
	.set _ZL29rocblas_internal_gemmt_kernelIiLi16ELi32ELi8ELc67ELc67ELc76ELb0ELb0EdPKdS1_PdEviT_T9_T10_S3_lS5_S3_lS4_T11_S3_li.has_recursion, 0
	.set _ZL29rocblas_internal_gemmt_kernelIiLi16ELi32ELi8ELc67ELc67ELc76ELb0ELb0EdPKdS1_PdEviT_T9_T10_S3_lS5_S3_lS4_T11_S3_li.has_indirect_call, 0
	.section	.AMDGPU.csdata,"",@progbits
; Kernel info:
; codeLenInByte = 1308
; TotalNumSgprs: 34
; NumVgprs: 52
; NumAgprs: 0
; TotalNumVgprs: 52
; ScratchSize: 0
; MemoryBound: 0
; FloatMode: 240
; IeeeMode: 1
; LDSByteSize: 4096 bytes/workgroup (compile time only)
; SGPRBlocks: 4
; VGPRBlocks: 6
; NumSGPRsForWavesPerEU: 34
; NumVGPRsForWavesPerEU: 52
; AccumOffset: 52
; Occupancy: 8
; WaveLimiterHint : 0
; COMPUTE_PGM_RSRC2:SCRATCH_EN: 0
; COMPUTE_PGM_RSRC2:USER_SGPR: 2
; COMPUTE_PGM_RSRC2:TRAP_HANDLER: 0
; COMPUTE_PGM_RSRC2:TGID_X_EN: 1
; COMPUTE_PGM_RSRC2:TGID_Y_EN: 1
; COMPUTE_PGM_RSRC2:TGID_Z_EN: 1
; COMPUTE_PGM_RSRC2:TIDIG_COMP_CNT: 1
; COMPUTE_PGM_RSRC3_GFX90A:ACCUM_OFFSET: 12
; COMPUTE_PGM_RSRC3_GFX90A:TG_SPLIT: 0
	.section	.text._ZL29rocblas_internal_gemmt_kernelIiLi16ELi32ELi8ELc78ELc78ELc85ELb0ELb0EddPKdPdEviT_T9_T10_S3_lS5_S3_lS4_T11_S3_li,"axG",@progbits,_ZL29rocblas_internal_gemmt_kernelIiLi16ELi32ELi8ELc78ELc78ELc85ELb0ELb0EddPKdPdEviT_T9_T10_S3_lS5_S3_lS4_T11_S3_li,comdat
	.globl	_ZL29rocblas_internal_gemmt_kernelIiLi16ELi32ELi8ELc78ELc78ELc85ELb0ELb0EddPKdPdEviT_T9_T10_S3_lS5_S3_lS4_T11_S3_li ; -- Begin function _ZL29rocblas_internal_gemmt_kernelIiLi16ELi32ELi8ELc78ELc78ELc85ELb0ELb0EddPKdPdEviT_T9_T10_S3_lS5_S3_lS4_T11_S3_li
	.p2align	8
	.type	_ZL29rocblas_internal_gemmt_kernelIiLi16ELi32ELi8ELc78ELc78ELc85ELb0ELb0EddPKdPdEviT_T9_T10_S3_lS5_S3_lS4_T11_S3_li,@function
_ZL29rocblas_internal_gemmt_kernelIiLi16ELi32ELi8ELc78ELc78ELc85ELb0ELb0EddPKdPdEviT_T9_T10_S3_lS5_S3_lS4_T11_S3_li: ; @_ZL29rocblas_internal_gemmt_kernelIiLi16ELi32ELi8ELc78ELc78ELc85ELb0ELb0EddPKdPdEviT_T9_T10_S3_lS5_S3_lS4_T11_S3_li
; %bb.0:
	s_load_dwordx4 s[8:11], s[0:1], 0x38
	s_load_dwordx2 s[20:21], s[0:1], 0x0
	s_load_dwordx4 s[12:15], s[0:1], 0x8
	s_waitcnt lgkmcnt(0)
	v_cmp_neq_f64_e64 s[6:7], s[10:11], 1.0
	s_and_b64 vcc, exec, s[6:7]
	s_cbranch_vccnz .LBB54_2
; %bb.1:
	s_cmp_lg_u32 s21, 0
	s_cselect_b64 s[6:7], -1, 0
	v_cmp_neq_f64_e64 s[16:17], s[12:13], 0
	s_and_b64 s[6:7], s[6:7], s[16:17]
.LBB54_2:
	s_andn2_b64 vcc, exec, s[6:7]
	s_cbranch_vccnz .LBB54_26
; %bb.3:
	s_load_dwordx2 s[22:23], s[0:1], 0x48
	s_lshl_b32 s5, s2, 5
	s_lshl_b32 s24, s3, 5
	s_cmp_lt_i32 s21, 1
	v_cmp_eq_f64_e64 s[2:3], s[12:13], 0
	s_cselect_b64 s[6:7], -1, 0
	s_or_b64 s[2:3], s[2:3], s[6:7]
	v_and_b32_e32 v13, 0x3ff, v0
	v_bfe_u32 v12, v0, 10, 10
	s_mov_b32 s25, 0
	v_mov_b64_e32 v[6:7], 0
	s_and_b64 vcc, exec, s[2:3]
	v_mov_b64_e32 v[4:5], 0
	v_mov_b64_e32 v[2:3], 0
	;; [unrolled: 1-line block ×3, first 2 shown]
	s_cbranch_vccnz .LBB54_10
; %bb.4:
	s_load_dword s6, s[0:1], 0x18
	s_load_dwordx4 s[16:19], s[0:1], 0x20
	s_load_dword s28, s[0:1], 0x30
	v_lshl_add_u32 v0, v12, 4, v13
	v_lshrrev_b32_e32 v15, 5, v0
	v_and_b32_e32 v4, 31, v0
	s_waitcnt lgkmcnt(0)
	v_mad_i64_i32 v[2:3], s[26:27], v15, s6, 0
	s_mul_i32 s17, s17, s4
	s_mul_hi_u32 s26, s16, s4
	v_lshrrev_b32_e32 v1, 3, v0
	v_or_b32_e32 v0, s5, v4
	s_add_i32 s17, s26, s17
	s_mul_i32 s16, s16, s4
	v_cmp_gt_i32_e32 vcc, s20, v0
	v_lshlrev_b32_e32 v0, 3, v4
	s_lshl_b64 s[16:17], s[16:17], 3
	v_add_u32_e32 v4, s5, v4
	v_lshl_add_u64 v[2:3], v[2:3], 3, s[16:17]
	v_ashrrev_i32_e32 v5, 31, v4
	s_ashr_i32 s7, s6, 31
	v_add_u32_e32 v6, s24, v1
	v_lshl_add_u64 v[2:3], v[4:5], 3, v[2:3]
	v_and_b32_e32 v14, 7, v13
	v_lshl_add_u64 v[8:9], s[14:15], 0, v[2:3]
	s_lshl_b64 s[14:15], s[6:7], 6
	v_mad_i64_i32 v[2:3], s[6:7], s28, v6, 0
	v_lshl_or_b32 v16, v15, 8, v0
	v_lshlrev_b32_e32 v0, 3, v14
	s_mul_i32 s6, s9, s4
	s_mul_hi_u32 s7, s8, s4
	v_lshl_or_b32 v1, v1, 6, v0
	s_add_i32 s7, s7, s6
	s_mul_i32 s6, s8, s4
	v_add_u32_e32 v17, 0x800, v1
	v_mov_b32_e32 v1, 0x800
	s_lshl_b64 s[6:7], s[6:7], 3
	v_lshl_add_u32 v19, v12, 6, v1
	v_lshl_add_u64 v[2:3], v[2:3], 3, s[6:7]
	v_mov_b32_e32 v1, 0
	v_lshl_add_u64 v[0:1], v[2:3], 0, v[0:1]
	v_cmp_gt_i32_e64 s[2:3], s20, v6
	v_lshlrev_b32_e32 v18, 3, v13
	v_lshl_add_u64 v[10:11], s[18:19], 0, v[0:1]
	v_mov_b64_e32 v[0:1], 0
	v_mov_b64_e32 v[2:3], 0
	;; [unrolled: 1-line block ×4, first 2 shown]
	s_branch .LBB54_6
.LBB54_5:                               ;   in Loop: Header=BB54_6 Depth=1
	s_or_b64 exec, exec, s[6:7]
	s_waitcnt vmcnt(0)
	ds_write_b64 v17, v[20:21]
	s_waitcnt lgkmcnt(0)
	s_barrier
	ds_read2_b64 v[20:23], v18 offset1:16
	ds_read_b128 v[24:27], v19
	ds_read_b128 v[28:31], v19 offset:16
	ds_read_b128 v[32:35], v19 offset:32
	;; [unrolled: 1-line block ×4, first 2 shown]
	ds_read2_b64 v[44:47], v18 offset0:32 offset1:48
	s_waitcnt lgkmcnt(5)
	v_fmac_f64_e32 v[6:7], v[20:21], v[24:25]
	v_fmac_f64_e32 v[4:5], v[22:23], v[24:25]
	ds_read_b128 v[48:51], v19 offset:1040
	s_waitcnt lgkmcnt(2)
	v_fmac_f64_e32 v[2:3], v[20:21], v[40:41]
	v_fmac_f64_e32 v[0:1], v[22:23], v[40:41]
	ds_read2_b64 v[20:23], v18 offset0:64 offset1:80
	s_waitcnt lgkmcnt(2)
	v_fmac_f64_e32 v[6:7], v[44:45], v[26:27]
	v_fmac_f64_e32 v[4:5], v[46:47], v[26:27]
	ds_read2_b64 v[24:27], v18 offset0:96 offset1:112
	v_fmac_f64_e32 v[2:3], v[44:45], v[42:43]
	v_fmac_f64_e32 v[0:1], v[46:47], v[42:43]
	s_waitcnt lgkmcnt(1)
	v_fmac_f64_e32 v[6:7], v[20:21], v[28:29]
	v_fmac_f64_e32 v[4:5], v[22:23], v[28:29]
	ds_read_b128 v[40:43], v19 offset:1072
	v_fmac_f64_e32 v[2:3], v[20:21], v[48:49]
	v_fmac_f64_e32 v[0:1], v[22:23], v[48:49]
	s_waitcnt lgkmcnt(1)
	v_fmac_f64_e32 v[6:7], v[24:25], v[30:31]
	ds_read2_b64 v[20:23], v18 offset0:128 offset1:144
	v_fmac_f64_e32 v[4:5], v[26:27], v[30:31]
	v_fmac_f64_e32 v[2:3], v[24:25], v[50:51]
	;; [unrolled: 1-line block ×3, first 2 shown]
	ds_read_b128 v[24:27], v19 offset:1056
	ds_read2_b64 v[28:31], v18 offset0:160 offset1:176
	s_waitcnt lgkmcnt(2)
	v_fmac_f64_e32 v[6:7], v[20:21], v[32:33]
	v_fmac_f64_e32 v[4:5], v[22:23], v[32:33]
	s_add_i32 s25, s25, 8
	s_waitcnt lgkmcnt(1)
	v_fmac_f64_e32 v[2:3], v[20:21], v[24:25]
	v_fmac_f64_e32 v[0:1], v[22:23], v[24:25]
	ds_read2_b64 v[20:23], v18 offset0:192 offset1:208
	s_waitcnt lgkmcnt(1)
	v_fmac_f64_e32 v[2:3], v[28:29], v[26:27]
	v_fmac_f64_e32 v[0:1], v[30:31], v[26:27]
	ds_read2_b64 v[24:27], v18 offset0:224 offset1:240
	v_fmac_f64_e32 v[6:7], v[28:29], v[34:35]
	v_fmac_f64_e32 v[4:5], v[30:31], v[34:35]
	s_waitcnt lgkmcnt(1)
	v_fmac_f64_e32 v[6:7], v[20:21], v[36:37]
	v_fmac_f64_e32 v[4:5], v[22:23], v[36:37]
	;; [unrolled: 1-line block ×4, first 2 shown]
	s_waitcnt lgkmcnt(0)
	v_fmac_f64_e32 v[6:7], v[24:25], v[38:39]
	v_fmac_f64_e32 v[4:5], v[26:27], v[38:39]
	;; [unrolled: 1-line block ×4, first 2 shown]
	v_lshl_add_u64 v[8:9], v[8:9], 0, s[14:15]
	s_cmp_lt_i32 s25, s21
	v_lshl_add_u64 v[10:11], v[10:11], 0, 64
	s_barrier
	s_cbranch_scc0 .LBB54_10
.LBB54_6:                               ; =>This Inner Loop Header: Depth=1
	v_add_u32_e32 v20, s25, v15
	v_cmp_gt_i32_e64 s[6:7], s21, v20
	s_and_b64 s[8:9], vcc, s[6:7]
	v_mov_b64_e32 v[20:21], 0
	s_and_saveexec_b64 s[6:7], s[8:9]
	s_cbranch_execz .LBB54_8
; %bb.7:                                ;   in Loop: Header=BB54_6 Depth=1
	global_load_dwordx2 v[20:21], v[8:9], off
.LBB54_8:                               ;   in Loop: Header=BB54_6 Depth=1
	s_or_b64 exec, exec, s[6:7]
	s_waitcnt vmcnt(0)
	ds_write_b64 v16, v[20:21]
	v_add_u32_e32 v20, s25, v14
	v_cmp_gt_i32_e64 s[6:7], s21, v20
	s_and_b64 s[8:9], s[6:7], s[2:3]
	v_mov_b64_e32 v[20:21], 0
	s_and_saveexec_b64 s[6:7], s[8:9]
	s_cbranch_execz .LBB54_5
; %bb.9:                                ;   in Loop: Header=BB54_6 Depth=1
	global_load_dwordx2 v[20:21], v[10:11], off
	s_branch .LBB54_5
.LBB54_10:
	s_load_dwordx2 s[2:3], s[0:1], 0x58
	s_load_dword s8, s[0:1], 0x50
	v_add_u32_e32 v14, s24, v12
	v_add_u32_e32 v8, s5, v13
	v_cmp_le_i32_e32 vcc, v8, v14
	s_waitcnt lgkmcnt(0)
	s_mul_i32 s1, s3, s4
	s_mul_hi_u32 s3, s2, s4
	s_mul_i32 s0, s2, s4
	s_add_i32 s1, s3, s1
	s_lshl_b64 s[0:1], s[0:1], 3
	s_add_u32 s4, s22, s0
	s_addc_u32 s5, s23, s1
	v_mad_i64_i32 v[10:11], s[0:1], v14, s8, 0
	v_cmp_neq_f64_e64 s[0:1], s[10:11], 0
	v_cmp_gt_i32_e64 s[2:3], s20, v14
	v_lshl_add_u64 v[10:11], v[10:11], 3, s[4:5]
	v_cndmask_b32_e64 v12, 0, 1, s[0:1]
	s_and_b64 s[14:15], s[2:3], vcc
	v_ashrrev_i32_e32 v9, 31, v8
	v_cmp_ne_u32_e64 s[0:1], 1, v12
	s_and_saveexec_b64 s[6:7], s[14:15]
	s_cbranch_execz .LBB54_14
; %bb.11:
	v_mul_f64 v[6:7], s[12:13], v[6:7]
	s_and_b64 vcc, exec, s[0:1]
	v_lshl_add_u64 v[12:13], v[8:9], 3, v[10:11]
	s_cbranch_vccnz .LBB54_13
; %bb.12:
	global_load_dwordx2 v[16:17], v[12:13], off
	s_waitcnt vmcnt(0)
	v_fmac_f64_e32 v[6:7], s[10:11], v[16:17]
.LBB54_13:
	global_store_dwordx2 v[12:13], v[6:7], off
.LBB54_14:
	s_or_b64 exec, exec, s[6:7]
	v_add_u32_e32 v6, 16, v8
	v_cmp_le_i32_e32 vcc, v6, v14
	s_and_b64 s[6:7], s[2:3], vcc
	v_ashrrev_i32_e32 v7, 31, v6
	s_and_saveexec_b64 s[2:3], s[6:7]
	s_cbranch_execz .LBB54_18
; %bb.15:
	v_mul_f64 v[4:5], s[12:13], v[4:5]
	s_and_b64 vcc, exec, s[0:1]
	v_lshl_add_u64 v[10:11], v[6:7], 3, v[10:11]
	s_cbranch_vccnz .LBB54_17
; %bb.16:
	global_load_dwordx2 v[12:13], v[10:11], off
	s_waitcnt vmcnt(0)
	v_fmac_f64_e32 v[4:5], s[10:11], v[12:13]
.LBB54_17:
	global_store_dwordx2 v[10:11], v[4:5], off
.LBB54_18:
	s_or_b64 exec, exec, s[2:3]
	v_add_u32_e32 v10, 16, v14
	v_cmp_gt_i32_e64 s[2:3], s20, v10
	v_mad_i64_i32 v[4:5], s[6:7], v10, s8, 0
	v_cmp_le_i32_e32 vcc, v8, v10
	v_lshl_add_u64 v[4:5], v[4:5], 3, s[4:5]
	s_and_b64 s[6:7], s[2:3], vcc
	s_and_saveexec_b64 s[4:5], s[6:7]
	s_cbranch_execz .LBB54_22
; %bb.19:
	v_mul_f64 v[2:3], s[12:13], v[2:3]
	s_and_b64 vcc, exec, s[0:1]
	v_lshl_add_u64 v[8:9], v[8:9], 3, v[4:5]
	s_cbranch_vccnz .LBB54_21
; %bb.20:
	global_load_dwordx2 v[12:13], v[8:9], off
	s_waitcnt vmcnt(0)
	v_fmac_f64_e32 v[2:3], s[10:11], v[12:13]
.LBB54_21:
	global_store_dwordx2 v[8:9], v[2:3], off
.LBB54_22:
	s_or_b64 exec, exec, s[4:5]
	v_cmp_le_i32_e32 vcc, v6, v10
	s_and_b64 s[2:3], s[2:3], vcc
	s_and_saveexec_b64 s[4:5], s[2:3]
	s_cbranch_execz .LBB54_26
; %bb.23:
	v_mul_f64 v[0:1], s[12:13], v[0:1]
	s_and_b64 vcc, exec, s[0:1]
	v_lshl_add_u64 v[2:3], v[6:7], 3, v[4:5]
	s_cbranch_vccnz .LBB54_25
; %bb.24:
	global_load_dwordx2 v[4:5], v[2:3], off
	s_waitcnt vmcnt(0)
	v_fmac_f64_e32 v[0:1], s[10:11], v[4:5]
.LBB54_25:
	global_store_dwordx2 v[2:3], v[0:1], off
.LBB54_26:
	s_endpgm
	.section	.rodata,"a",@progbits
	.p2align	6, 0x0
	.amdhsa_kernel _ZL29rocblas_internal_gemmt_kernelIiLi16ELi32ELi8ELc78ELc78ELc85ELb0ELb0EddPKdPdEviT_T9_T10_S3_lS5_S3_lS4_T11_S3_li
		.amdhsa_group_segment_fixed_size 4096
		.amdhsa_private_segment_fixed_size 0
		.amdhsa_kernarg_size 100
		.amdhsa_user_sgpr_count 2
		.amdhsa_user_sgpr_dispatch_ptr 0
		.amdhsa_user_sgpr_queue_ptr 0
		.amdhsa_user_sgpr_kernarg_segment_ptr 1
		.amdhsa_user_sgpr_dispatch_id 0
		.amdhsa_user_sgpr_kernarg_preload_length 0
		.amdhsa_user_sgpr_kernarg_preload_offset 0
		.amdhsa_user_sgpr_private_segment_size 0
		.amdhsa_uses_dynamic_stack 0
		.amdhsa_enable_private_segment 0
		.amdhsa_system_sgpr_workgroup_id_x 1
		.amdhsa_system_sgpr_workgroup_id_y 1
		.amdhsa_system_sgpr_workgroup_id_z 1
		.amdhsa_system_sgpr_workgroup_info 0
		.amdhsa_system_vgpr_workitem_id 1
		.amdhsa_next_free_vgpr 52
		.amdhsa_next_free_sgpr 29
		.amdhsa_accum_offset 52
		.amdhsa_reserve_vcc 1
		.amdhsa_float_round_mode_32 0
		.amdhsa_float_round_mode_16_64 0
		.amdhsa_float_denorm_mode_32 3
		.amdhsa_float_denorm_mode_16_64 3
		.amdhsa_dx10_clamp 1
		.amdhsa_ieee_mode 1
		.amdhsa_fp16_overflow 0
		.amdhsa_tg_split 0
		.amdhsa_exception_fp_ieee_invalid_op 0
		.amdhsa_exception_fp_denorm_src 0
		.amdhsa_exception_fp_ieee_div_zero 0
		.amdhsa_exception_fp_ieee_overflow 0
		.amdhsa_exception_fp_ieee_underflow 0
		.amdhsa_exception_fp_ieee_inexact 0
		.amdhsa_exception_int_div_zero 0
	.end_amdhsa_kernel
	.section	.text._ZL29rocblas_internal_gemmt_kernelIiLi16ELi32ELi8ELc78ELc78ELc85ELb0ELb0EddPKdPdEviT_T9_T10_S3_lS5_S3_lS4_T11_S3_li,"axG",@progbits,_ZL29rocblas_internal_gemmt_kernelIiLi16ELi32ELi8ELc78ELc78ELc85ELb0ELb0EddPKdPdEviT_T9_T10_S3_lS5_S3_lS4_T11_S3_li,comdat
.Lfunc_end54:
	.size	_ZL29rocblas_internal_gemmt_kernelIiLi16ELi32ELi8ELc78ELc78ELc85ELb0ELb0EddPKdPdEviT_T9_T10_S3_lS5_S3_lS4_T11_S3_li, .Lfunc_end54-_ZL29rocblas_internal_gemmt_kernelIiLi16ELi32ELi8ELc78ELc78ELc85ELb0ELb0EddPKdPdEviT_T9_T10_S3_lS5_S3_lS4_T11_S3_li
                                        ; -- End function
	.set _ZL29rocblas_internal_gemmt_kernelIiLi16ELi32ELi8ELc78ELc78ELc85ELb0ELb0EddPKdPdEviT_T9_T10_S3_lS5_S3_lS4_T11_S3_li.num_vgpr, 52
	.set _ZL29rocblas_internal_gemmt_kernelIiLi16ELi32ELi8ELc78ELc78ELc85ELb0ELb0EddPKdPdEviT_T9_T10_S3_lS5_S3_lS4_T11_S3_li.num_agpr, 0
	.set _ZL29rocblas_internal_gemmt_kernelIiLi16ELi32ELi8ELc78ELc78ELc85ELb0ELb0EddPKdPdEviT_T9_T10_S3_lS5_S3_lS4_T11_S3_li.numbered_sgpr, 29
	.set _ZL29rocblas_internal_gemmt_kernelIiLi16ELi32ELi8ELc78ELc78ELc85ELb0ELb0EddPKdPdEviT_T9_T10_S3_lS5_S3_lS4_T11_S3_li.num_named_barrier, 0
	.set _ZL29rocblas_internal_gemmt_kernelIiLi16ELi32ELi8ELc78ELc78ELc85ELb0ELb0EddPKdPdEviT_T9_T10_S3_lS5_S3_lS4_T11_S3_li.private_seg_size, 0
	.set _ZL29rocblas_internal_gemmt_kernelIiLi16ELi32ELi8ELc78ELc78ELc85ELb0ELb0EddPKdPdEviT_T9_T10_S3_lS5_S3_lS4_T11_S3_li.uses_vcc, 1
	.set _ZL29rocblas_internal_gemmt_kernelIiLi16ELi32ELi8ELc78ELc78ELc85ELb0ELb0EddPKdPdEviT_T9_T10_S3_lS5_S3_lS4_T11_S3_li.uses_flat_scratch, 0
	.set _ZL29rocblas_internal_gemmt_kernelIiLi16ELi32ELi8ELc78ELc78ELc85ELb0ELb0EddPKdPdEviT_T9_T10_S3_lS5_S3_lS4_T11_S3_li.has_dyn_sized_stack, 0
	.set _ZL29rocblas_internal_gemmt_kernelIiLi16ELi32ELi8ELc78ELc78ELc85ELb0ELb0EddPKdPdEviT_T9_T10_S3_lS5_S3_lS4_T11_S3_li.has_recursion, 0
	.set _ZL29rocblas_internal_gemmt_kernelIiLi16ELi32ELi8ELc78ELc78ELc85ELb0ELb0EddPKdPdEviT_T9_T10_S3_lS5_S3_lS4_T11_S3_li.has_indirect_call, 0
	.section	.AMDGPU.csdata,"",@progbits
; Kernel info:
; codeLenInByte = 1280
; TotalNumSgprs: 35
; NumVgprs: 52
; NumAgprs: 0
; TotalNumVgprs: 52
; ScratchSize: 0
; MemoryBound: 0
; FloatMode: 240
; IeeeMode: 1
; LDSByteSize: 4096 bytes/workgroup (compile time only)
; SGPRBlocks: 4
; VGPRBlocks: 6
; NumSGPRsForWavesPerEU: 35
; NumVGPRsForWavesPerEU: 52
; AccumOffset: 52
; Occupancy: 8
; WaveLimiterHint : 0
; COMPUTE_PGM_RSRC2:SCRATCH_EN: 0
; COMPUTE_PGM_RSRC2:USER_SGPR: 2
; COMPUTE_PGM_RSRC2:TRAP_HANDLER: 0
; COMPUTE_PGM_RSRC2:TGID_X_EN: 1
; COMPUTE_PGM_RSRC2:TGID_Y_EN: 1
; COMPUTE_PGM_RSRC2:TGID_Z_EN: 1
; COMPUTE_PGM_RSRC2:TIDIG_COMP_CNT: 1
; COMPUTE_PGM_RSRC3_GFX90A:ACCUM_OFFSET: 12
; COMPUTE_PGM_RSRC3_GFX90A:TG_SPLIT: 0
	.section	.text._ZL29rocblas_internal_gemmt_kernelIiLi16ELi32ELi8ELc78ELc84ELc85ELb0ELb0EddPKdPdEviT_T9_T10_S3_lS5_S3_lS4_T11_S3_li,"axG",@progbits,_ZL29rocblas_internal_gemmt_kernelIiLi16ELi32ELi8ELc78ELc84ELc85ELb0ELb0EddPKdPdEviT_T9_T10_S3_lS5_S3_lS4_T11_S3_li,comdat
	.globl	_ZL29rocblas_internal_gemmt_kernelIiLi16ELi32ELi8ELc78ELc84ELc85ELb0ELb0EddPKdPdEviT_T9_T10_S3_lS5_S3_lS4_T11_S3_li ; -- Begin function _ZL29rocblas_internal_gemmt_kernelIiLi16ELi32ELi8ELc78ELc84ELc85ELb0ELb0EddPKdPdEviT_T9_T10_S3_lS5_S3_lS4_T11_S3_li
	.p2align	8
	.type	_ZL29rocblas_internal_gemmt_kernelIiLi16ELi32ELi8ELc78ELc84ELc85ELb0ELb0EddPKdPdEviT_T9_T10_S3_lS5_S3_lS4_T11_S3_li,@function
_ZL29rocblas_internal_gemmt_kernelIiLi16ELi32ELi8ELc78ELc84ELc85ELb0ELb0EddPKdPdEviT_T9_T10_S3_lS5_S3_lS4_T11_S3_li: ; @_ZL29rocblas_internal_gemmt_kernelIiLi16ELi32ELi8ELc78ELc84ELc85ELb0ELb0EddPKdPdEviT_T9_T10_S3_lS5_S3_lS4_T11_S3_li
; %bb.0:
	s_load_dwordx4 s[8:11], s[0:1], 0x38
	s_load_dwordx2 s[20:21], s[0:1], 0x0
	s_load_dwordx4 s[12:15], s[0:1], 0x8
	s_waitcnt lgkmcnt(0)
	v_cmp_neq_f64_e64 s[6:7], s[10:11], 1.0
	s_and_b64 vcc, exec, s[6:7]
	s_cbranch_vccnz .LBB55_2
; %bb.1:
	s_cmp_lg_u32 s21, 0
	s_cselect_b64 s[6:7], -1, 0
	v_cmp_neq_f64_e64 s[16:17], s[12:13], 0
	s_and_b64 s[6:7], s[6:7], s[16:17]
.LBB55_2:
	s_andn2_b64 vcc, exec, s[6:7]
	s_cbranch_vccnz .LBB55_26
; %bb.3:
	s_load_dwordx2 s[22:23], s[0:1], 0x48
	s_lshl_b32 s5, s2, 5
	s_lshl_b32 s24, s3, 5
	s_cmp_lt_i32 s21, 1
	v_cmp_eq_f64_e64 s[2:3], s[12:13], 0
	s_cselect_b64 s[6:7], -1, 0
	s_or_b64 s[2:3], s[2:3], s[6:7]
	v_and_b32_e32 v13, 0x3ff, v0
	v_bfe_u32 v12, v0, 10, 10
	s_mov_b32 s25, 0
	v_mov_b64_e32 v[6:7], 0
	s_and_b64 vcc, exec, s[2:3]
	v_mov_b64_e32 v[4:5], 0
	v_mov_b64_e32 v[2:3], 0
	;; [unrolled: 1-line block ×3, first 2 shown]
	s_cbranch_vccnz .LBB55_10
; %bb.4:
	v_lshl_add_u32 v1, v12, 4, v13
	v_and_b32_e32 v4, 31, v1
	v_lshrrev_b32_e32 v15, 5, v1
	v_lshrrev_b32_e32 v2, 3, v1
	v_or_b32_e32 v1, s5, v4
	s_load_dword s6, s[0:1], 0x18
	s_load_dwordx4 s[16:19], s[0:1], 0x20
	s_load_dword s26, s[0:1], 0x30
	v_and_b32_e32 v14, 7, v13
	v_cmp_gt_i32_e32 vcc, s20, v1
	v_lshlrev_b32_e32 v1, 3, v4
	v_lshl_or_b32 v16, v15, 8, v1
	v_lshlrev_b32_e32 v1, 3, v14
	v_add_u32_e32 v0, s24, v2
	v_lshl_or_b32 v1, v2, 6, v1
	v_mov_b32_e32 v2, 0x800
	v_lshl_add_u32 v19, v12, 6, v2
	s_waitcnt lgkmcnt(0)
	v_mad_i64_i32 v[2:3], s[28:29], v15, s6, 0
	s_mul_i32 s17, s17, s4
	s_mul_hi_u32 s28, s16, s4
	s_add_i32 s17, s28, s17
	s_mul_i32 s16, s16, s4
	s_lshl_b64 s[16:17], s[16:17], 3
	v_add_u32_e32 v4, s5, v4
	v_lshl_add_u64 v[2:3], v[2:3], 3, s[16:17]
	v_ashrrev_i32_e32 v5, 31, v4
	s_ashr_i32 s7, s6, 31
	v_lshl_add_u64 v[2:3], v[4:5], 3, v[2:3]
	v_lshl_add_u64 v[8:9], s[14:15], 0, v[2:3]
	s_lshl_b64 s[14:15], s[6:7], 6
	s_mul_i32 s6, s9, s4
	s_mul_hi_u32 s7, s8, s4
	s_add_i32 s7, s7, s6
	s_mul_i32 s6, s8, s4
	v_mad_i64_i32 v[2:3], s[8:9], s26, v14, 0
	v_lshlrev_b64 v[2:3], 3, v[2:3]
	v_add_u32_e32 v17, 0x800, v1
	v_ashrrev_i32_e32 v1, 31, v0
	v_lshl_add_u64 v[2:3], s[6:7], 3, v[2:3]
	s_ashr_i32 s27, s26, 31
	v_cmp_gt_i32_e64 s[2:3], s20, v0
	v_lshl_add_u64 v[0:1], v[0:1], 3, v[2:3]
	v_lshlrev_b32_e32 v18, 3, v13
	v_lshl_add_u64 v[10:11], s[18:19], 0, v[0:1]
	s_lshl_b64 s[8:9], s[26:27], 6
	v_mov_b64_e32 v[0:1], 0
	v_mov_b64_e32 v[2:3], 0
	v_mov_b64_e32 v[4:5], 0
	v_mov_b64_e32 v[6:7], 0
	s_branch .LBB55_6
.LBB55_5:                               ;   in Loop: Header=BB55_6 Depth=1
	s_or_b64 exec, exec, s[6:7]
	s_waitcnt vmcnt(0)
	ds_write_b64 v17, v[20:21]
	s_waitcnt lgkmcnt(0)
	s_barrier
	ds_read2_b64 v[20:23], v18 offset1:16
	ds_read_b128 v[24:27], v19
	ds_read_b128 v[28:31], v19 offset:16
	ds_read_b128 v[32:35], v19 offset:32
	;; [unrolled: 1-line block ×4, first 2 shown]
	ds_read2_b64 v[44:47], v18 offset0:32 offset1:48
	s_waitcnt lgkmcnt(5)
	v_fmac_f64_e32 v[6:7], v[20:21], v[24:25]
	v_fmac_f64_e32 v[4:5], v[22:23], v[24:25]
	ds_read_b128 v[48:51], v19 offset:1040
	s_waitcnt lgkmcnt(2)
	v_fmac_f64_e32 v[2:3], v[20:21], v[40:41]
	v_fmac_f64_e32 v[0:1], v[22:23], v[40:41]
	ds_read2_b64 v[20:23], v18 offset0:64 offset1:80
	s_waitcnt lgkmcnt(2)
	v_fmac_f64_e32 v[6:7], v[44:45], v[26:27]
	v_fmac_f64_e32 v[4:5], v[46:47], v[26:27]
	ds_read2_b64 v[24:27], v18 offset0:96 offset1:112
	v_fmac_f64_e32 v[2:3], v[44:45], v[42:43]
	v_fmac_f64_e32 v[0:1], v[46:47], v[42:43]
	s_waitcnt lgkmcnt(1)
	v_fmac_f64_e32 v[6:7], v[20:21], v[28:29]
	v_fmac_f64_e32 v[4:5], v[22:23], v[28:29]
	ds_read_b128 v[40:43], v19 offset:1072
	v_fmac_f64_e32 v[2:3], v[20:21], v[48:49]
	v_fmac_f64_e32 v[0:1], v[22:23], v[48:49]
	s_waitcnt lgkmcnt(1)
	v_fmac_f64_e32 v[6:7], v[24:25], v[30:31]
	ds_read2_b64 v[20:23], v18 offset0:128 offset1:144
	v_fmac_f64_e32 v[4:5], v[26:27], v[30:31]
	v_fmac_f64_e32 v[2:3], v[24:25], v[50:51]
	;; [unrolled: 1-line block ×3, first 2 shown]
	ds_read_b128 v[24:27], v19 offset:1056
	ds_read2_b64 v[28:31], v18 offset0:160 offset1:176
	s_waitcnt lgkmcnt(2)
	v_fmac_f64_e32 v[6:7], v[20:21], v[32:33]
	v_fmac_f64_e32 v[4:5], v[22:23], v[32:33]
	s_add_i32 s25, s25, 8
	s_waitcnt lgkmcnt(1)
	v_fmac_f64_e32 v[2:3], v[20:21], v[24:25]
	v_fmac_f64_e32 v[0:1], v[22:23], v[24:25]
	ds_read2_b64 v[20:23], v18 offset0:192 offset1:208
	s_waitcnt lgkmcnt(1)
	v_fmac_f64_e32 v[2:3], v[28:29], v[26:27]
	v_fmac_f64_e32 v[0:1], v[30:31], v[26:27]
	ds_read2_b64 v[24:27], v18 offset0:224 offset1:240
	v_fmac_f64_e32 v[6:7], v[28:29], v[34:35]
	v_fmac_f64_e32 v[4:5], v[30:31], v[34:35]
	s_waitcnt lgkmcnt(1)
	v_fmac_f64_e32 v[6:7], v[20:21], v[36:37]
	v_fmac_f64_e32 v[4:5], v[22:23], v[36:37]
	;; [unrolled: 1-line block ×4, first 2 shown]
	s_waitcnt lgkmcnt(0)
	v_fmac_f64_e32 v[6:7], v[24:25], v[38:39]
	v_fmac_f64_e32 v[4:5], v[26:27], v[38:39]
	;; [unrolled: 1-line block ×4, first 2 shown]
	v_lshl_add_u64 v[8:9], v[8:9], 0, s[14:15]
	s_cmp_lt_i32 s25, s21
	v_lshl_add_u64 v[10:11], v[10:11], 0, s[8:9]
	s_barrier
	s_cbranch_scc0 .LBB55_10
.LBB55_6:                               ; =>This Inner Loop Header: Depth=1
	v_add_u32_e32 v20, s25, v15
	v_cmp_gt_i32_e64 s[6:7], s21, v20
	s_and_b64 s[16:17], vcc, s[6:7]
	v_mov_b64_e32 v[20:21], 0
	s_and_saveexec_b64 s[6:7], s[16:17]
	s_cbranch_execz .LBB55_8
; %bb.7:                                ;   in Loop: Header=BB55_6 Depth=1
	global_load_dwordx2 v[20:21], v[8:9], off
.LBB55_8:                               ;   in Loop: Header=BB55_6 Depth=1
	s_or_b64 exec, exec, s[6:7]
	s_waitcnt vmcnt(0)
	ds_write_b64 v16, v[20:21]
	v_add_u32_e32 v20, s25, v14
	v_cmp_gt_i32_e64 s[6:7], s21, v20
	s_and_b64 s[16:17], s[6:7], s[2:3]
	v_mov_b64_e32 v[20:21], 0
	s_and_saveexec_b64 s[6:7], s[16:17]
	s_cbranch_execz .LBB55_5
; %bb.9:                                ;   in Loop: Header=BB55_6 Depth=1
	global_load_dwordx2 v[20:21], v[10:11], off
	s_branch .LBB55_5
.LBB55_10:
	s_load_dwordx2 s[2:3], s[0:1], 0x58
	s_load_dword s8, s[0:1], 0x50
	v_add_u32_e32 v14, s24, v12
	v_add_u32_e32 v8, s5, v13
	v_cmp_le_i32_e32 vcc, v8, v14
	s_waitcnt lgkmcnt(0)
	s_mul_i32 s1, s3, s4
	s_mul_hi_u32 s3, s2, s4
	s_mul_i32 s0, s2, s4
	s_add_i32 s1, s3, s1
	s_lshl_b64 s[0:1], s[0:1], 3
	s_add_u32 s4, s22, s0
	s_addc_u32 s5, s23, s1
	v_mad_i64_i32 v[10:11], s[0:1], v14, s8, 0
	v_cmp_neq_f64_e64 s[0:1], s[10:11], 0
	v_cmp_gt_i32_e64 s[2:3], s20, v14
	v_lshl_add_u64 v[10:11], v[10:11], 3, s[4:5]
	v_cndmask_b32_e64 v12, 0, 1, s[0:1]
	s_and_b64 s[14:15], s[2:3], vcc
	v_ashrrev_i32_e32 v9, 31, v8
	v_cmp_ne_u32_e64 s[0:1], 1, v12
	s_and_saveexec_b64 s[6:7], s[14:15]
	s_cbranch_execz .LBB55_14
; %bb.11:
	v_mul_f64 v[6:7], s[12:13], v[6:7]
	s_and_b64 vcc, exec, s[0:1]
	v_lshl_add_u64 v[12:13], v[8:9], 3, v[10:11]
	s_cbranch_vccnz .LBB55_13
; %bb.12:
	global_load_dwordx2 v[16:17], v[12:13], off
	s_waitcnt vmcnt(0)
	v_fmac_f64_e32 v[6:7], s[10:11], v[16:17]
.LBB55_13:
	global_store_dwordx2 v[12:13], v[6:7], off
.LBB55_14:
	s_or_b64 exec, exec, s[6:7]
	v_add_u32_e32 v6, 16, v8
	v_cmp_le_i32_e32 vcc, v6, v14
	s_and_b64 s[6:7], s[2:3], vcc
	v_ashrrev_i32_e32 v7, 31, v6
	s_and_saveexec_b64 s[2:3], s[6:7]
	s_cbranch_execz .LBB55_18
; %bb.15:
	v_mul_f64 v[4:5], s[12:13], v[4:5]
	s_and_b64 vcc, exec, s[0:1]
	v_lshl_add_u64 v[10:11], v[6:7], 3, v[10:11]
	s_cbranch_vccnz .LBB55_17
; %bb.16:
	global_load_dwordx2 v[12:13], v[10:11], off
	s_waitcnt vmcnt(0)
	v_fmac_f64_e32 v[4:5], s[10:11], v[12:13]
.LBB55_17:
	global_store_dwordx2 v[10:11], v[4:5], off
.LBB55_18:
	s_or_b64 exec, exec, s[2:3]
	v_add_u32_e32 v10, 16, v14
	v_cmp_gt_i32_e64 s[2:3], s20, v10
	v_mad_i64_i32 v[4:5], s[6:7], v10, s8, 0
	v_cmp_le_i32_e32 vcc, v8, v10
	v_lshl_add_u64 v[4:5], v[4:5], 3, s[4:5]
	s_and_b64 s[6:7], s[2:3], vcc
	s_and_saveexec_b64 s[4:5], s[6:7]
	s_cbranch_execz .LBB55_22
; %bb.19:
	v_mul_f64 v[2:3], s[12:13], v[2:3]
	s_and_b64 vcc, exec, s[0:1]
	v_lshl_add_u64 v[8:9], v[8:9], 3, v[4:5]
	s_cbranch_vccnz .LBB55_21
; %bb.20:
	global_load_dwordx2 v[12:13], v[8:9], off
	s_waitcnt vmcnt(0)
	v_fmac_f64_e32 v[2:3], s[10:11], v[12:13]
.LBB55_21:
	global_store_dwordx2 v[8:9], v[2:3], off
.LBB55_22:
	s_or_b64 exec, exec, s[4:5]
	v_cmp_le_i32_e32 vcc, v6, v10
	s_and_b64 s[2:3], s[2:3], vcc
	s_and_saveexec_b64 s[4:5], s[2:3]
	s_cbranch_execz .LBB55_26
; %bb.23:
	v_mul_f64 v[0:1], s[12:13], v[0:1]
	s_and_b64 vcc, exec, s[0:1]
	v_lshl_add_u64 v[2:3], v[6:7], 3, v[4:5]
	s_cbranch_vccnz .LBB55_25
; %bb.24:
	global_load_dwordx2 v[4:5], v[2:3], off
	s_waitcnt vmcnt(0)
	v_fmac_f64_e32 v[0:1], s[10:11], v[4:5]
.LBB55_25:
	global_store_dwordx2 v[2:3], v[0:1], off
.LBB55_26:
	s_endpgm
	.section	.rodata,"a",@progbits
	.p2align	6, 0x0
	.amdhsa_kernel _ZL29rocblas_internal_gemmt_kernelIiLi16ELi32ELi8ELc78ELc84ELc85ELb0ELb0EddPKdPdEviT_T9_T10_S3_lS5_S3_lS4_T11_S3_li
		.amdhsa_group_segment_fixed_size 4096
		.amdhsa_private_segment_fixed_size 0
		.amdhsa_kernarg_size 100
		.amdhsa_user_sgpr_count 2
		.amdhsa_user_sgpr_dispatch_ptr 0
		.amdhsa_user_sgpr_queue_ptr 0
		.amdhsa_user_sgpr_kernarg_segment_ptr 1
		.amdhsa_user_sgpr_dispatch_id 0
		.amdhsa_user_sgpr_kernarg_preload_length 0
		.amdhsa_user_sgpr_kernarg_preload_offset 0
		.amdhsa_user_sgpr_private_segment_size 0
		.amdhsa_uses_dynamic_stack 0
		.amdhsa_enable_private_segment 0
		.amdhsa_system_sgpr_workgroup_id_x 1
		.amdhsa_system_sgpr_workgroup_id_y 1
		.amdhsa_system_sgpr_workgroup_id_z 1
		.amdhsa_system_sgpr_workgroup_info 0
		.amdhsa_system_vgpr_workitem_id 1
		.amdhsa_next_free_vgpr 52
		.amdhsa_next_free_sgpr 30
		.amdhsa_accum_offset 52
		.amdhsa_reserve_vcc 1
		.amdhsa_float_round_mode_32 0
		.amdhsa_float_round_mode_16_64 0
		.amdhsa_float_denorm_mode_32 3
		.amdhsa_float_denorm_mode_16_64 3
		.amdhsa_dx10_clamp 1
		.amdhsa_ieee_mode 1
		.amdhsa_fp16_overflow 0
		.amdhsa_tg_split 0
		.amdhsa_exception_fp_ieee_invalid_op 0
		.amdhsa_exception_fp_denorm_src 0
		.amdhsa_exception_fp_ieee_div_zero 0
		.amdhsa_exception_fp_ieee_overflow 0
		.amdhsa_exception_fp_ieee_underflow 0
		.amdhsa_exception_fp_ieee_inexact 0
		.amdhsa_exception_int_div_zero 0
	.end_amdhsa_kernel
	.section	.text._ZL29rocblas_internal_gemmt_kernelIiLi16ELi32ELi8ELc78ELc84ELc85ELb0ELb0EddPKdPdEviT_T9_T10_S3_lS5_S3_lS4_T11_S3_li,"axG",@progbits,_ZL29rocblas_internal_gemmt_kernelIiLi16ELi32ELi8ELc78ELc84ELc85ELb0ELb0EddPKdPdEviT_T9_T10_S3_lS5_S3_lS4_T11_S3_li,comdat
.Lfunc_end55:
	.size	_ZL29rocblas_internal_gemmt_kernelIiLi16ELi32ELi8ELc78ELc84ELc85ELb0ELb0EddPKdPdEviT_T9_T10_S3_lS5_S3_lS4_T11_S3_li, .Lfunc_end55-_ZL29rocblas_internal_gemmt_kernelIiLi16ELi32ELi8ELc78ELc84ELc85ELb0ELb0EddPKdPdEviT_T9_T10_S3_lS5_S3_lS4_T11_S3_li
                                        ; -- End function
	.set _ZL29rocblas_internal_gemmt_kernelIiLi16ELi32ELi8ELc78ELc84ELc85ELb0ELb0EddPKdPdEviT_T9_T10_S3_lS5_S3_lS4_T11_S3_li.num_vgpr, 52
	.set _ZL29rocblas_internal_gemmt_kernelIiLi16ELi32ELi8ELc78ELc84ELc85ELb0ELb0EddPKdPdEviT_T9_T10_S3_lS5_S3_lS4_T11_S3_li.num_agpr, 0
	.set _ZL29rocblas_internal_gemmt_kernelIiLi16ELi32ELi8ELc78ELc84ELc85ELb0ELb0EddPKdPdEviT_T9_T10_S3_lS5_S3_lS4_T11_S3_li.numbered_sgpr, 30
	.set _ZL29rocblas_internal_gemmt_kernelIiLi16ELi32ELi8ELc78ELc84ELc85ELb0ELb0EddPKdPdEviT_T9_T10_S3_lS5_S3_lS4_T11_S3_li.num_named_barrier, 0
	.set _ZL29rocblas_internal_gemmt_kernelIiLi16ELi32ELi8ELc78ELc84ELc85ELb0ELb0EddPKdPdEviT_T9_T10_S3_lS5_S3_lS4_T11_S3_li.private_seg_size, 0
	.set _ZL29rocblas_internal_gemmt_kernelIiLi16ELi32ELi8ELc78ELc84ELc85ELb0ELb0EddPKdPdEviT_T9_T10_S3_lS5_S3_lS4_T11_S3_li.uses_vcc, 1
	.set _ZL29rocblas_internal_gemmt_kernelIiLi16ELi32ELi8ELc78ELc84ELc85ELb0ELb0EddPKdPdEviT_T9_T10_S3_lS5_S3_lS4_T11_S3_li.uses_flat_scratch, 0
	.set _ZL29rocblas_internal_gemmt_kernelIiLi16ELi32ELi8ELc78ELc84ELc85ELb0ELb0EddPKdPdEviT_T9_T10_S3_lS5_S3_lS4_T11_S3_li.has_dyn_sized_stack, 0
	.set _ZL29rocblas_internal_gemmt_kernelIiLi16ELi32ELi8ELc78ELc84ELc85ELb0ELb0EddPKdPdEviT_T9_T10_S3_lS5_S3_lS4_T11_S3_li.has_recursion, 0
	.set _ZL29rocblas_internal_gemmt_kernelIiLi16ELi32ELi8ELc78ELc84ELc85ELb0ELb0EddPKdPdEviT_T9_T10_S3_lS5_S3_lS4_T11_S3_li.has_indirect_call, 0
	.section	.AMDGPU.csdata,"",@progbits
; Kernel info:
; codeLenInByte = 1292
; TotalNumSgprs: 36
; NumVgprs: 52
; NumAgprs: 0
; TotalNumVgprs: 52
; ScratchSize: 0
; MemoryBound: 0
; FloatMode: 240
; IeeeMode: 1
; LDSByteSize: 4096 bytes/workgroup (compile time only)
; SGPRBlocks: 4
; VGPRBlocks: 6
; NumSGPRsForWavesPerEU: 36
; NumVGPRsForWavesPerEU: 52
; AccumOffset: 52
; Occupancy: 8
; WaveLimiterHint : 0
; COMPUTE_PGM_RSRC2:SCRATCH_EN: 0
; COMPUTE_PGM_RSRC2:USER_SGPR: 2
; COMPUTE_PGM_RSRC2:TRAP_HANDLER: 0
; COMPUTE_PGM_RSRC2:TGID_X_EN: 1
; COMPUTE_PGM_RSRC2:TGID_Y_EN: 1
; COMPUTE_PGM_RSRC2:TGID_Z_EN: 1
; COMPUTE_PGM_RSRC2:TIDIG_COMP_CNT: 1
; COMPUTE_PGM_RSRC3_GFX90A:ACCUM_OFFSET: 12
; COMPUTE_PGM_RSRC3_GFX90A:TG_SPLIT: 0
	.section	.text._ZL29rocblas_internal_gemmt_kernelIiLi16ELi32ELi8ELc78ELc67ELc85ELb0ELb0EddPKdPdEviT_T9_T10_S3_lS5_S3_lS4_T11_S3_li,"axG",@progbits,_ZL29rocblas_internal_gemmt_kernelIiLi16ELi32ELi8ELc78ELc67ELc85ELb0ELb0EddPKdPdEviT_T9_T10_S3_lS5_S3_lS4_T11_S3_li,comdat
	.globl	_ZL29rocblas_internal_gemmt_kernelIiLi16ELi32ELi8ELc78ELc67ELc85ELb0ELb0EddPKdPdEviT_T9_T10_S3_lS5_S3_lS4_T11_S3_li ; -- Begin function _ZL29rocblas_internal_gemmt_kernelIiLi16ELi32ELi8ELc78ELc67ELc85ELb0ELb0EddPKdPdEviT_T9_T10_S3_lS5_S3_lS4_T11_S3_li
	.p2align	8
	.type	_ZL29rocblas_internal_gemmt_kernelIiLi16ELi32ELi8ELc78ELc67ELc85ELb0ELb0EddPKdPdEviT_T9_T10_S3_lS5_S3_lS4_T11_S3_li,@function
_ZL29rocblas_internal_gemmt_kernelIiLi16ELi32ELi8ELc78ELc67ELc85ELb0ELb0EddPKdPdEviT_T9_T10_S3_lS5_S3_lS4_T11_S3_li: ; @_ZL29rocblas_internal_gemmt_kernelIiLi16ELi32ELi8ELc78ELc67ELc85ELb0ELb0EddPKdPdEviT_T9_T10_S3_lS5_S3_lS4_T11_S3_li
; %bb.0:
	s_load_dwordx4 s[8:11], s[0:1], 0x38
	s_load_dwordx2 s[20:21], s[0:1], 0x0
	s_load_dwordx4 s[12:15], s[0:1], 0x8
	s_waitcnt lgkmcnt(0)
	v_cmp_neq_f64_e64 s[6:7], s[10:11], 1.0
	s_and_b64 vcc, exec, s[6:7]
	s_cbranch_vccnz .LBB56_2
; %bb.1:
	s_cmp_lg_u32 s21, 0
	s_cselect_b64 s[6:7], -1, 0
	v_cmp_neq_f64_e64 s[16:17], s[12:13], 0
	s_and_b64 s[6:7], s[6:7], s[16:17]
.LBB56_2:
	s_andn2_b64 vcc, exec, s[6:7]
	s_cbranch_vccnz .LBB56_26
; %bb.3:
	s_load_dwordx2 s[22:23], s[0:1], 0x48
	s_lshl_b32 s5, s2, 5
	s_lshl_b32 s24, s3, 5
	s_cmp_lt_i32 s21, 1
	v_cmp_eq_f64_e64 s[2:3], s[12:13], 0
	s_cselect_b64 s[6:7], -1, 0
	s_or_b64 s[2:3], s[2:3], s[6:7]
	v_and_b32_e32 v13, 0x3ff, v0
	v_bfe_u32 v12, v0, 10, 10
	s_mov_b32 s25, 0
	v_mov_b64_e32 v[6:7], 0
	s_and_b64 vcc, exec, s[2:3]
	v_mov_b64_e32 v[4:5], 0
	v_mov_b64_e32 v[2:3], 0
	v_mov_b64_e32 v[0:1], 0
	s_cbranch_vccnz .LBB56_10
; %bb.4:
	v_lshl_add_u32 v1, v12, 4, v13
	v_and_b32_e32 v4, 31, v1
	v_lshrrev_b32_e32 v15, 5, v1
	v_lshrrev_b32_e32 v2, 3, v1
	v_or_b32_e32 v1, s5, v4
	s_load_dword s6, s[0:1], 0x18
	s_load_dwordx4 s[16:19], s[0:1], 0x20
	s_load_dword s26, s[0:1], 0x30
	v_and_b32_e32 v14, 7, v13
	v_cmp_gt_i32_e32 vcc, s20, v1
	v_lshlrev_b32_e32 v1, 3, v4
	v_lshl_or_b32 v16, v15, 8, v1
	v_lshlrev_b32_e32 v1, 3, v14
	v_add_u32_e32 v0, s24, v2
	v_lshl_or_b32 v1, v2, 6, v1
	v_mov_b32_e32 v2, 0x800
	v_lshl_add_u32 v19, v12, 6, v2
	s_waitcnt lgkmcnt(0)
	v_mad_i64_i32 v[2:3], s[28:29], v15, s6, 0
	s_mul_i32 s17, s17, s4
	s_mul_hi_u32 s28, s16, s4
	s_add_i32 s17, s28, s17
	s_mul_i32 s16, s16, s4
	s_lshl_b64 s[16:17], s[16:17], 3
	v_add_u32_e32 v4, s5, v4
	v_lshl_add_u64 v[2:3], v[2:3], 3, s[16:17]
	v_ashrrev_i32_e32 v5, 31, v4
	s_ashr_i32 s7, s6, 31
	v_lshl_add_u64 v[2:3], v[4:5], 3, v[2:3]
	v_lshl_add_u64 v[8:9], s[14:15], 0, v[2:3]
	s_lshl_b64 s[14:15], s[6:7], 6
	s_mul_i32 s6, s9, s4
	s_mul_hi_u32 s7, s8, s4
	s_add_i32 s7, s7, s6
	s_mul_i32 s6, s8, s4
	v_mad_i64_i32 v[2:3], s[8:9], s26, v14, 0
	v_lshlrev_b64 v[2:3], 3, v[2:3]
	v_add_u32_e32 v17, 0x800, v1
	v_ashrrev_i32_e32 v1, 31, v0
	v_lshl_add_u64 v[2:3], s[6:7], 3, v[2:3]
	s_ashr_i32 s27, s26, 31
	v_cmp_gt_i32_e64 s[2:3], s20, v0
	v_lshl_add_u64 v[0:1], v[0:1], 3, v[2:3]
	v_lshlrev_b32_e32 v18, 3, v13
	v_lshl_add_u64 v[10:11], s[18:19], 0, v[0:1]
	s_lshl_b64 s[8:9], s[26:27], 6
	v_mov_b64_e32 v[0:1], 0
	v_mov_b64_e32 v[2:3], 0
	;; [unrolled: 1-line block ×4, first 2 shown]
	s_branch .LBB56_6
.LBB56_5:                               ;   in Loop: Header=BB56_6 Depth=1
	s_or_b64 exec, exec, s[6:7]
	s_waitcnt vmcnt(0)
	ds_write_b64 v17, v[20:21]
	s_waitcnt lgkmcnt(0)
	s_barrier
	ds_read2_b64 v[20:23], v18 offset1:16
	ds_read_b128 v[24:27], v19
	ds_read_b128 v[28:31], v19 offset:16
	ds_read_b128 v[32:35], v19 offset:32
	;; [unrolled: 1-line block ×4, first 2 shown]
	ds_read2_b64 v[44:47], v18 offset0:32 offset1:48
	s_waitcnt lgkmcnt(5)
	v_fmac_f64_e32 v[6:7], v[20:21], v[24:25]
	v_fmac_f64_e32 v[4:5], v[22:23], v[24:25]
	ds_read_b128 v[48:51], v19 offset:1040
	s_waitcnt lgkmcnt(2)
	v_fmac_f64_e32 v[2:3], v[20:21], v[40:41]
	v_fmac_f64_e32 v[0:1], v[22:23], v[40:41]
	ds_read2_b64 v[20:23], v18 offset0:64 offset1:80
	s_waitcnt lgkmcnt(2)
	v_fmac_f64_e32 v[6:7], v[44:45], v[26:27]
	v_fmac_f64_e32 v[4:5], v[46:47], v[26:27]
	ds_read2_b64 v[24:27], v18 offset0:96 offset1:112
	v_fmac_f64_e32 v[2:3], v[44:45], v[42:43]
	v_fmac_f64_e32 v[0:1], v[46:47], v[42:43]
	s_waitcnt lgkmcnt(1)
	v_fmac_f64_e32 v[6:7], v[20:21], v[28:29]
	v_fmac_f64_e32 v[4:5], v[22:23], v[28:29]
	ds_read_b128 v[40:43], v19 offset:1072
	v_fmac_f64_e32 v[2:3], v[20:21], v[48:49]
	v_fmac_f64_e32 v[0:1], v[22:23], v[48:49]
	s_waitcnt lgkmcnt(1)
	v_fmac_f64_e32 v[6:7], v[24:25], v[30:31]
	ds_read2_b64 v[20:23], v18 offset0:128 offset1:144
	v_fmac_f64_e32 v[4:5], v[26:27], v[30:31]
	v_fmac_f64_e32 v[2:3], v[24:25], v[50:51]
	;; [unrolled: 1-line block ×3, first 2 shown]
	ds_read_b128 v[24:27], v19 offset:1056
	ds_read2_b64 v[28:31], v18 offset0:160 offset1:176
	s_waitcnt lgkmcnt(2)
	v_fmac_f64_e32 v[6:7], v[20:21], v[32:33]
	v_fmac_f64_e32 v[4:5], v[22:23], v[32:33]
	s_add_i32 s25, s25, 8
	s_waitcnt lgkmcnt(1)
	v_fmac_f64_e32 v[2:3], v[20:21], v[24:25]
	v_fmac_f64_e32 v[0:1], v[22:23], v[24:25]
	ds_read2_b64 v[20:23], v18 offset0:192 offset1:208
	s_waitcnt lgkmcnt(1)
	v_fmac_f64_e32 v[2:3], v[28:29], v[26:27]
	v_fmac_f64_e32 v[0:1], v[30:31], v[26:27]
	ds_read2_b64 v[24:27], v18 offset0:224 offset1:240
	v_fmac_f64_e32 v[6:7], v[28:29], v[34:35]
	v_fmac_f64_e32 v[4:5], v[30:31], v[34:35]
	s_waitcnt lgkmcnt(1)
	v_fmac_f64_e32 v[6:7], v[20:21], v[36:37]
	v_fmac_f64_e32 v[4:5], v[22:23], v[36:37]
	;; [unrolled: 1-line block ×4, first 2 shown]
	s_waitcnt lgkmcnt(0)
	v_fmac_f64_e32 v[6:7], v[24:25], v[38:39]
	v_fmac_f64_e32 v[4:5], v[26:27], v[38:39]
	;; [unrolled: 1-line block ×4, first 2 shown]
	v_lshl_add_u64 v[8:9], v[8:9], 0, s[14:15]
	s_cmp_lt_i32 s25, s21
	v_lshl_add_u64 v[10:11], v[10:11], 0, s[8:9]
	s_barrier
	s_cbranch_scc0 .LBB56_10
.LBB56_6:                               ; =>This Inner Loop Header: Depth=1
	v_add_u32_e32 v20, s25, v15
	v_cmp_gt_i32_e64 s[6:7], s21, v20
	s_and_b64 s[16:17], vcc, s[6:7]
	v_mov_b64_e32 v[20:21], 0
	s_and_saveexec_b64 s[6:7], s[16:17]
	s_cbranch_execz .LBB56_8
; %bb.7:                                ;   in Loop: Header=BB56_6 Depth=1
	global_load_dwordx2 v[20:21], v[8:9], off
.LBB56_8:                               ;   in Loop: Header=BB56_6 Depth=1
	s_or_b64 exec, exec, s[6:7]
	s_waitcnt vmcnt(0)
	ds_write_b64 v16, v[20:21]
	v_add_u32_e32 v20, s25, v14
	v_cmp_gt_i32_e64 s[6:7], s21, v20
	s_and_b64 s[16:17], s[6:7], s[2:3]
	v_mov_b64_e32 v[20:21], 0
	s_and_saveexec_b64 s[6:7], s[16:17]
	s_cbranch_execz .LBB56_5
; %bb.9:                                ;   in Loop: Header=BB56_6 Depth=1
	global_load_dwordx2 v[20:21], v[10:11], off
	s_branch .LBB56_5
.LBB56_10:
	s_load_dwordx2 s[2:3], s[0:1], 0x58
	s_load_dword s8, s[0:1], 0x50
	v_add_u32_e32 v14, s24, v12
	v_add_u32_e32 v8, s5, v13
	v_cmp_le_i32_e32 vcc, v8, v14
	s_waitcnt lgkmcnt(0)
	s_mul_i32 s1, s3, s4
	s_mul_hi_u32 s3, s2, s4
	s_mul_i32 s0, s2, s4
	s_add_i32 s1, s3, s1
	s_lshl_b64 s[0:1], s[0:1], 3
	s_add_u32 s4, s22, s0
	s_addc_u32 s5, s23, s1
	v_mad_i64_i32 v[10:11], s[0:1], v14, s8, 0
	v_cmp_neq_f64_e64 s[0:1], s[10:11], 0
	v_cmp_gt_i32_e64 s[2:3], s20, v14
	v_lshl_add_u64 v[10:11], v[10:11], 3, s[4:5]
	v_cndmask_b32_e64 v12, 0, 1, s[0:1]
	s_and_b64 s[14:15], s[2:3], vcc
	v_ashrrev_i32_e32 v9, 31, v8
	v_cmp_ne_u32_e64 s[0:1], 1, v12
	s_and_saveexec_b64 s[6:7], s[14:15]
	s_cbranch_execz .LBB56_14
; %bb.11:
	v_mul_f64 v[6:7], s[12:13], v[6:7]
	s_and_b64 vcc, exec, s[0:1]
	v_lshl_add_u64 v[12:13], v[8:9], 3, v[10:11]
	s_cbranch_vccnz .LBB56_13
; %bb.12:
	global_load_dwordx2 v[16:17], v[12:13], off
	s_waitcnt vmcnt(0)
	v_fmac_f64_e32 v[6:7], s[10:11], v[16:17]
.LBB56_13:
	global_store_dwordx2 v[12:13], v[6:7], off
.LBB56_14:
	s_or_b64 exec, exec, s[6:7]
	v_add_u32_e32 v6, 16, v8
	v_cmp_le_i32_e32 vcc, v6, v14
	s_and_b64 s[6:7], s[2:3], vcc
	v_ashrrev_i32_e32 v7, 31, v6
	s_and_saveexec_b64 s[2:3], s[6:7]
	s_cbranch_execz .LBB56_18
; %bb.15:
	v_mul_f64 v[4:5], s[12:13], v[4:5]
	s_and_b64 vcc, exec, s[0:1]
	v_lshl_add_u64 v[10:11], v[6:7], 3, v[10:11]
	s_cbranch_vccnz .LBB56_17
; %bb.16:
	global_load_dwordx2 v[12:13], v[10:11], off
	s_waitcnt vmcnt(0)
	v_fmac_f64_e32 v[4:5], s[10:11], v[12:13]
.LBB56_17:
	global_store_dwordx2 v[10:11], v[4:5], off
.LBB56_18:
	s_or_b64 exec, exec, s[2:3]
	v_add_u32_e32 v10, 16, v14
	v_cmp_gt_i32_e64 s[2:3], s20, v10
	v_mad_i64_i32 v[4:5], s[6:7], v10, s8, 0
	v_cmp_le_i32_e32 vcc, v8, v10
	v_lshl_add_u64 v[4:5], v[4:5], 3, s[4:5]
	s_and_b64 s[6:7], s[2:3], vcc
	s_and_saveexec_b64 s[4:5], s[6:7]
	s_cbranch_execz .LBB56_22
; %bb.19:
	v_mul_f64 v[2:3], s[12:13], v[2:3]
	s_and_b64 vcc, exec, s[0:1]
	v_lshl_add_u64 v[8:9], v[8:9], 3, v[4:5]
	s_cbranch_vccnz .LBB56_21
; %bb.20:
	global_load_dwordx2 v[12:13], v[8:9], off
	s_waitcnt vmcnt(0)
	v_fmac_f64_e32 v[2:3], s[10:11], v[12:13]
.LBB56_21:
	global_store_dwordx2 v[8:9], v[2:3], off
.LBB56_22:
	s_or_b64 exec, exec, s[4:5]
	v_cmp_le_i32_e32 vcc, v6, v10
	s_and_b64 s[2:3], s[2:3], vcc
	s_and_saveexec_b64 s[4:5], s[2:3]
	s_cbranch_execz .LBB56_26
; %bb.23:
	v_mul_f64 v[0:1], s[12:13], v[0:1]
	s_and_b64 vcc, exec, s[0:1]
	v_lshl_add_u64 v[2:3], v[6:7], 3, v[4:5]
	s_cbranch_vccnz .LBB56_25
; %bb.24:
	global_load_dwordx2 v[4:5], v[2:3], off
	s_waitcnt vmcnt(0)
	v_fmac_f64_e32 v[0:1], s[10:11], v[4:5]
.LBB56_25:
	global_store_dwordx2 v[2:3], v[0:1], off
.LBB56_26:
	s_endpgm
	.section	.rodata,"a",@progbits
	.p2align	6, 0x0
	.amdhsa_kernel _ZL29rocblas_internal_gemmt_kernelIiLi16ELi32ELi8ELc78ELc67ELc85ELb0ELb0EddPKdPdEviT_T9_T10_S3_lS5_S3_lS4_T11_S3_li
		.amdhsa_group_segment_fixed_size 4096
		.amdhsa_private_segment_fixed_size 0
		.amdhsa_kernarg_size 100
		.amdhsa_user_sgpr_count 2
		.amdhsa_user_sgpr_dispatch_ptr 0
		.amdhsa_user_sgpr_queue_ptr 0
		.amdhsa_user_sgpr_kernarg_segment_ptr 1
		.amdhsa_user_sgpr_dispatch_id 0
		.amdhsa_user_sgpr_kernarg_preload_length 0
		.amdhsa_user_sgpr_kernarg_preload_offset 0
		.amdhsa_user_sgpr_private_segment_size 0
		.amdhsa_uses_dynamic_stack 0
		.amdhsa_enable_private_segment 0
		.amdhsa_system_sgpr_workgroup_id_x 1
		.amdhsa_system_sgpr_workgroup_id_y 1
		.amdhsa_system_sgpr_workgroup_id_z 1
		.amdhsa_system_sgpr_workgroup_info 0
		.amdhsa_system_vgpr_workitem_id 1
		.amdhsa_next_free_vgpr 52
		.amdhsa_next_free_sgpr 30
		.amdhsa_accum_offset 52
		.amdhsa_reserve_vcc 1
		.amdhsa_float_round_mode_32 0
		.amdhsa_float_round_mode_16_64 0
		.amdhsa_float_denorm_mode_32 3
		.amdhsa_float_denorm_mode_16_64 3
		.amdhsa_dx10_clamp 1
		.amdhsa_ieee_mode 1
		.amdhsa_fp16_overflow 0
		.amdhsa_tg_split 0
		.amdhsa_exception_fp_ieee_invalid_op 0
		.amdhsa_exception_fp_denorm_src 0
		.amdhsa_exception_fp_ieee_div_zero 0
		.amdhsa_exception_fp_ieee_overflow 0
		.amdhsa_exception_fp_ieee_underflow 0
		.amdhsa_exception_fp_ieee_inexact 0
		.amdhsa_exception_int_div_zero 0
	.end_amdhsa_kernel
	.section	.text._ZL29rocblas_internal_gemmt_kernelIiLi16ELi32ELi8ELc78ELc67ELc85ELb0ELb0EddPKdPdEviT_T9_T10_S3_lS5_S3_lS4_T11_S3_li,"axG",@progbits,_ZL29rocblas_internal_gemmt_kernelIiLi16ELi32ELi8ELc78ELc67ELc85ELb0ELb0EddPKdPdEviT_T9_T10_S3_lS5_S3_lS4_T11_S3_li,comdat
.Lfunc_end56:
	.size	_ZL29rocblas_internal_gemmt_kernelIiLi16ELi32ELi8ELc78ELc67ELc85ELb0ELb0EddPKdPdEviT_T9_T10_S3_lS5_S3_lS4_T11_S3_li, .Lfunc_end56-_ZL29rocblas_internal_gemmt_kernelIiLi16ELi32ELi8ELc78ELc67ELc85ELb0ELb0EddPKdPdEviT_T9_T10_S3_lS5_S3_lS4_T11_S3_li
                                        ; -- End function
	.set _ZL29rocblas_internal_gemmt_kernelIiLi16ELi32ELi8ELc78ELc67ELc85ELb0ELb0EddPKdPdEviT_T9_T10_S3_lS5_S3_lS4_T11_S3_li.num_vgpr, 52
	.set _ZL29rocblas_internal_gemmt_kernelIiLi16ELi32ELi8ELc78ELc67ELc85ELb0ELb0EddPKdPdEviT_T9_T10_S3_lS5_S3_lS4_T11_S3_li.num_agpr, 0
	.set _ZL29rocblas_internal_gemmt_kernelIiLi16ELi32ELi8ELc78ELc67ELc85ELb0ELb0EddPKdPdEviT_T9_T10_S3_lS5_S3_lS4_T11_S3_li.numbered_sgpr, 30
	.set _ZL29rocblas_internal_gemmt_kernelIiLi16ELi32ELi8ELc78ELc67ELc85ELb0ELb0EddPKdPdEviT_T9_T10_S3_lS5_S3_lS4_T11_S3_li.num_named_barrier, 0
	.set _ZL29rocblas_internal_gemmt_kernelIiLi16ELi32ELi8ELc78ELc67ELc85ELb0ELb0EddPKdPdEviT_T9_T10_S3_lS5_S3_lS4_T11_S3_li.private_seg_size, 0
	.set _ZL29rocblas_internal_gemmt_kernelIiLi16ELi32ELi8ELc78ELc67ELc85ELb0ELb0EddPKdPdEviT_T9_T10_S3_lS5_S3_lS4_T11_S3_li.uses_vcc, 1
	.set _ZL29rocblas_internal_gemmt_kernelIiLi16ELi32ELi8ELc78ELc67ELc85ELb0ELb0EddPKdPdEviT_T9_T10_S3_lS5_S3_lS4_T11_S3_li.uses_flat_scratch, 0
	.set _ZL29rocblas_internal_gemmt_kernelIiLi16ELi32ELi8ELc78ELc67ELc85ELb0ELb0EddPKdPdEviT_T9_T10_S3_lS5_S3_lS4_T11_S3_li.has_dyn_sized_stack, 0
	.set _ZL29rocblas_internal_gemmt_kernelIiLi16ELi32ELi8ELc78ELc67ELc85ELb0ELb0EddPKdPdEviT_T9_T10_S3_lS5_S3_lS4_T11_S3_li.has_recursion, 0
	.set _ZL29rocblas_internal_gemmt_kernelIiLi16ELi32ELi8ELc78ELc67ELc85ELb0ELb0EddPKdPdEviT_T9_T10_S3_lS5_S3_lS4_T11_S3_li.has_indirect_call, 0
	.section	.AMDGPU.csdata,"",@progbits
; Kernel info:
; codeLenInByte = 1292
; TotalNumSgprs: 36
; NumVgprs: 52
; NumAgprs: 0
; TotalNumVgprs: 52
; ScratchSize: 0
; MemoryBound: 0
; FloatMode: 240
; IeeeMode: 1
; LDSByteSize: 4096 bytes/workgroup (compile time only)
; SGPRBlocks: 4
; VGPRBlocks: 6
; NumSGPRsForWavesPerEU: 36
; NumVGPRsForWavesPerEU: 52
; AccumOffset: 52
; Occupancy: 8
; WaveLimiterHint : 0
; COMPUTE_PGM_RSRC2:SCRATCH_EN: 0
; COMPUTE_PGM_RSRC2:USER_SGPR: 2
; COMPUTE_PGM_RSRC2:TRAP_HANDLER: 0
; COMPUTE_PGM_RSRC2:TGID_X_EN: 1
; COMPUTE_PGM_RSRC2:TGID_Y_EN: 1
; COMPUTE_PGM_RSRC2:TGID_Z_EN: 1
; COMPUTE_PGM_RSRC2:TIDIG_COMP_CNT: 1
; COMPUTE_PGM_RSRC3_GFX90A:ACCUM_OFFSET: 12
; COMPUTE_PGM_RSRC3_GFX90A:TG_SPLIT: 0
	.section	.text._ZL29rocblas_internal_gemmt_kernelIiLi16ELi32ELi8ELc84ELc78ELc85ELb0ELb0EddPKdPdEviT_T9_T10_S3_lS5_S3_lS4_T11_S3_li,"axG",@progbits,_ZL29rocblas_internal_gemmt_kernelIiLi16ELi32ELi8ELc84ELc78ELc85ELb0ELb0EddPKdPdEviT_T9_T10_S3_lS5_S3_lS4_T11_S3_li,comdat
	.globl	_ZL29rocblas_internal_gemmt_kernelIiLi16ELi32ELi8ELc84ELc78ELc85ELb0ELb0EddPKdPdEviT_T9_T10_S3_lS5_S3_lS4_T11_S3_li ; -- Begin function _ZL29rocblas_internal_gemmt_kernelIiLi16ELi32ELi8ELc84ELc78ELc85ELb0ELb0EddPKdPdEviT_T9_T10_S3_lS5_S3_lS4_T11_S3_li
	.p2align	8
	.type	_ZL29rocblas_internal_gemmt_kernelIiLi16ELi32ELi8ELc84ELc78ELc85ELb0ELb0EddPKdPdEviT_T9_T10_S3_lS5_S3_lS4_T11_S3_li,@function
_ZL29rocblas_internal_gemmt_kernelIiLi16ELi32ELi8ELc84ELc78ELc85ELb0ELb0EddPKdPdEviT_T9_T10_S3_lS5_S3_lS4_T11_S3_li: ; @_ZL29rocblas_internal_gemmt_kernelIiLi16ELi32ELi8ELc84ELc78ELc85ELb0ELb0EddPKdPdEviT_T9_T10_S3_lS5_S3_lS4_T11_S3_li
; %bb.0:
	s_load_dwordx4 s[8:11], s[0:1], 0x38
	s_load_dwordx2 s[20:21], s[0:1], 0x0
	s_load_dwordx4 s[12:15], s[0:1], 0x8
	s_waitcnt lgkmcnt(0)
	v_cmp_neq_f64_e64 s[6:7], s[10:11], 1.0
	s_and_b64 vcc, exec, s[6:7]
	s_cbranch_vccnz .LBB57_2
; %bb.1:
	s_cmp_lg_u32 s21, 0
	s_cselect_b64 s[6:7], -1, 0
	v_cmp_neq_f64_e64 s[16:17], s[12:13], 0
	s_and_b64 s[6:7], s[6:7], s[16:17]
.LBB57_2:
	s_andn2_b64 vcc, exec, s[6:7]
	s_cbranch_vccnz .LBB57_26
; %bb.3:
	s_load_dwordx2 s[22:23], s[0:1], 0x48
	s_lshl_b32 s5, s2, 5
	s_lshl_b32 s24, s3, 5
	s_cmp_lt_i32 s21, 1
	v_cmp_eq_f64_e64 s[2:3], s[12:13], 0
	s_cselect_b64 s[6:7], -1, 0
	s_or_b64 s[2:3], s[2:3], s[6:7]
	v_and_b32_e32 v13, 0x3ff, v0
	v_bfe_u32 v12, v0, 10, 10
	s_mov_b32 s25, 0
	v_mov_b64_e32 v[6:7], 0
	s_and_b64 vcc, exec, s[2:3]
	v_mov_b64_e32 v[4:5], 0
	v_mov_b64_e32 v[2:3], 0
	;; [unrolled: 1-line block ×3, first 2 shown]
	s_cbranch_vccnz .LBB57_10
; %bb.4:
	v_lshl_add_u32 v0, v12, 4, v13
	v_and_b32_e32 v2, 31, v0
	v_lshrrev_b32_e32 v15, 5, v0
	v_lshrrev_b32_e32 v1, 3, v0
	v_or_b32_e32 v0, s5, v2
	v_and_b32_e32 v14, 7, v13
	v_cmp_gt_i32_e32 vcc, s20, v0
	v_lshlrev_b32_e32 v0, 3, v2
	v_lshl_or_b32 v16, v15, 8, v0
	v_lshlrev_b32_e32 v0, 3, v14
	s_load_dword s6, s[0:1], 0x18
	s_load_dwordx4 s[16:19], s[0:1], 0x20
	s_load_dword s26, s[0:1], 0x30
	v_add_u32_e32 v6, s24, v1
	v_lshl_or_b32 v1, v1, 6, v0
	v_add_u32_e32 v17, 0x800, v1
	v_mov_b32_e32 v1, 0x800
	v_lshl_add_u32 v19, v12, 6, v1
	v_add_u32_e32 v1, s5, v2
	s_waitcnt lgkmcnt(0)
	v_mad_i64_i32 v[2:3], s[6:7], s6, v1, 0
	s_mul_i32 s6, s17, s4
	s_mul_hi_u32 s7, s16, s4
	s_add_i32 s7, s7, s6
	s_mul_i32 s6, s16, s4
	s_lshl_b64 s[6:7], s[6:7], 3
	v_lshl_add_u64 v[2:3], v[2:3], 3, s[6:7]
	v_lshlrev_b32_e32 v4, 3, v15
	v_mov_b32_e32 v5, 0
	v_lshl_add_u64 v[2:3], v[2:3], 0, v[4:5]
	v_lshl_add_u64 v[8:9], s[14:15], 0, v[2:3]
	v_mad_i64_i32 v[2:3], s[6:7], s26, v6, 0
	s_mul_i32 s6, s9, s4
	s_mul_hi_u32 s7, s8, s4
	s_add_i32 s7, s7, s6
	s_mul_i32 s6, s8, s4
	s_lshl_b64 s[6:7], s[6:7], 3
	v_lshl_add_u64 v[2:3], v[2:3], 3, s[6:7]
	v_mov_b32_e32 v1, v5
	v_lshl_add_u64 v[0:1], v[2:3], 0, v[0:1]
	v_cmp_gt_i32_e64 s[2:3], s20, v6
	v_lshlrev_b32_e32 v18, 3, v13
	v_lshl_add_u64 v[10:11], s[18:19], 0, v[0:1]
	v_mov_b64_e32 v[0:1], 0
	v_mov_b64_e32 v[2:3], 0
	;; [unrolled: 1-line block ×4, first 2 shown]
	s_branch .LBB57_6
.LBB57_5:                               ;   in Loop: Header=BB57_6 Depth=1
	s_or_b64 exec, exec, s[6:7]
	s_waitcnt vmcnt(0)
	ds_write_b64 v17, v[20:21]
	s_waitcnt lgkmcnt(0)
	s_barrier
	ds_read2_b64 v[20:23], v18 offset1:16
	ds_read_b128 v[24:27], v19
	ds_read_b128 v[28:31], v19 offset:16
	ds_read_b128 v[32:35], v19 offset:32
	;; [unrolled: 1-line block ×4, first 2 shown]
	ds_read2_b64 v[44:47], v18 offset0:32 offset1:48
	s_waitcnt lgkmcnt(5)
	v_fmac_f64_e32 v[6:7], v[20:21], v[24:25]
	v_fmac_f64_e32 v[4:5], v[22:23], v[24:25]
	ds_read_b128 v[48:51], v19 offset:1040
	s_waitcnt lgkmcnt(2)
	v_fmac_f64_e32 v[2:3], v[20:21], v[40:41]
	v_fmac_f64_e32 v[0:1], v[22:23], v[40:41]
	ds_read2_b64 v[20:23], v18 offset0:64 offset1:80
	s_waitcnt lgkmcnt(2)
	v_fmac_f64_e32 v[6:7], v[44:45], v[26:27]
	v_fmac_f64_e32 v[4:5], v[46:47], v[26:27]
	ds_read2_b64 v[24:27], v18 offset0:96 offset1:112
	v_fmac_f64_e32 v[2:3], v[44:45], v[42:43]
	v_fmac_f64_e32 v[0:1], v[46:47], v[42:43]
	s_waitcnt lgkmcnt(1)
	v_fmac_f64_e32 v[6:7], v[20:21], v[28:29]
	v_fmac_f64_e32 v[4:5], v[22:23], v[28:29]
	ds_read_b128 v[40:43], v19 offset:1072
	v_fmac_f64_e32 v[2:3], v[20:21], v[48:49]
	v_fmac_f64_e32 v[0:1], v[22:23], v[48:49]
	s_waitcnt lgkmcnt(1)
	v_fmac_f64_e32 v[6:7], v[24:25], v[30:31]
	ds_read2_b64 v[20:23], v18 offset0:128 offset1:144
	v_fmac_f64_e32 v[4:5], v[26:27], v[30:31]
	v_fmac_f64_e32 v[2:3], v[24:25], v[50:51]
	;; [unrolled: 1-line block ×3, first 2 shown]
	ds_read_b128 v[24:27], v19 offset:1056
	ds_read2_b64 v[28:31], v18 offset0:160 offset1:176
	s_waitcnt lgkmcnt(2)
	v_fmac_f64_e32 v[6:7], v[20:21], v[32:33]
	v_fmac_f64_e32 v[4:5], v[22:23], v[32:33]
	s_add_i32 s25, s25, 8
	s_waitcnt lgkmcnt(1)
	v_fmac_f64_e32 v[2:3], v[20:21], v[24:25]
	v_fmac_f64_e32 v[0:1], v[22:23], v[24:25]
	ds_read2_b64 v[20:23], v18 offset0:192 offset1:208
	s_waitcnt lgkmcnt(1)
	v_fmac_f64_e32 v[2:3], v[28:29], v[26:27]
	v_fmac_f64_e32 v[0:1], v[30:31], v[26:27]
	ds_read2_b64 v[24:27], v18 offset0:224 offset1:240
	v_fmac_f64_e32 v[6:7], v[28:29], v[34:35]
	v_fmac_f64_e32 v[4:5], v[30:31], v[34:35]
	s_waitcnt lgkmcnt(1)
	v_fmac_f64_e32 v[6:7], v[20:21], v[36:37]
	v_fmac_f64_e32 v[4:5], v[22:23], v[36:37]
	;; [unrolled: 1-line block ×4, first 2 shown]
	s_waitcnt lgkmcnt(0)
	v_fmac_f64_e32 v[6:7], v[24:25], v[38:39]
	v_fmac_f64_e32 v[4:5], v[26:27], v[38:39]
	;; [unrolled: 1-line block ×4, first 2 shown]
	v_lshl_add_u64 v[8:9], v[8:9], 0, 64
	s_cmp_lt_i32 s25, s21
	v_lshl_add_u64 v[10:11], v[10:11], 0, 64
	s_barrier
	s_cbranch_scc0 .LBB57_10
.LBB57_6:                               ; =>This Inner Loop Header: Depth=1
	v_add_u32_e32 v20, s25, v15
	v_cmp_gt_i32_e64 s[6:7], s21, v20
	s_and_b64 s[8:9], vcc, s[6:7]
	v_mov_b64_e32 v[20:21], 0
	s_and_saveexec_b64 s[6:7], s[8:9]
	s_cbranch_execz .LBB57_8
; %bb.7:                                ;   in Loop: Header=BB57_6 Depth=1
	global_load_dwordx2 v[20:21], v[8:9], off
.LBB57_8:                               ;   in Loop: Header=BB57_6 Depth=1
	s_or_b64 exec, exec, s[6:7]
	s_waitcnt vmcnt(0)
	ds_write_b64 v16, v[20:21]
	v_add_u32_e32 v20, s25, v14
	v_cmp_gt_i32_e64 s[6:7], s21, v20
	s_and_b64 s[8:9], s[6:7], s[2:3]
	v_mov_b64_e32 v[20:21], 0
	s_and_saveexec_b64 s[6:7], s[8:9]
	s_cbranch_execz .LBB57_5
; %bb.9:                                ;   in Loop: Header=BB57_6 Depth=1
	global_load_dwordx2 v[20:21], v[10:11], off
	s_branch .LBB57_5
.LBB57_10:
	s_load_dwordx2 s[2:3], s[0:1], 0x58
	s_load_dword s8, s[0:1], 0x50
	v_add_u32_e32 v14, s24, v12
	v_add_u32_e32 v8, s5, v13
	v_cmp_le_i32_e32 vcc, v8, v14
	s_waitcnt lgkmcnt(0)
	s_mul_i32 s1, s3, s4
	s_mul_hi_u32 s3, s2, s4
	s_mul_i32 s0, s2, s4
	s_add_i32 s1, s3, s1
	s_lshl_b64 s[0:1], s[0:1], 3
	s_add_u32 s4, s22, s0
	s_addc_u32 s5, s23, s1
	v_mad_i64_i32 v[10:11], s[0:1], v14, s8, 0
	v_cmp_neq_f64_e64 s[0:1], s[10:11], 0
	v_cmp_gt_i32_e64 s[2:3], s20, v14
	v_lshl_add_u64 v[10:11], v[10:11], 3, s[4:5]
	v_cndmask_b32_e64 v12, 0, 1, s[0:1]
	s_and_b64 s[14:15], s[2:3], vcc
	v_ashrrev_i32_e32 v9, 31, v8
	v_cmp_ne_u32_e64 s[0:1], 1, v12
	s_and_saveexec_b64 s[6:7], s[14:15]
	s_cbranch_execz .LBB57_14
; %bb.11:
	v_mul_f64 v[6:7], s[12:13], v[6:7]
	s_and_b64 vcc, exec, s[0:1]
	v_lshl_add_u64 v[12:13], v[8:9], 3, v[10:11]
	s_cbranch_vccnz .LBB57_13
; %bb.12:
	global_load_dwordx2 v[16:17], v[12:13], off
	s_waitcnt vmcnt(0)
	v_fmac_f64_e32 v[6:7], s[10:11], v[16:17]
.LBB57_13:
	global_store_dwordx2 v[12:13], v[6:7], off
.LBB57_14:
	s_or_b64 exec, exec, s[6:7]
	v_add_u32_e32 v6, 16, v8
	v_cmp_le_i32_e32 vcc, v6, v14
	s_and_b64 s[6:7], s[2:3], vcc
	v_ashrrev_i32_e32 v7, 31, v6
	s_and_saveexec_b64 s[2:3], s[6:7]
	s_cbranch_execz .LBB57_18
; %bb.15:
	v_mul_f64 v[4:5], s[12:13], v[4:5]
	s_and_b64 vcc, exec, s[0:1]
	v_lshl_add_u64 v[10:11], v[6:7], 3, v[10:11]
	s_cbranch_vccnz .LBB57_17
; %bb.16:
	global_load_dwordx2 v[12:13], v[10:11], off
	s_waitcnt vmcnt(0)
	v_fmac_f64_e32 v[4:5], s[10:11], v[12:13]
.LBB57_17:
	global_store_dwordx2 v[10:11], v[4:5], off
.LBB57_18:
	s_or_b64 exec, exec, s[2:3]
	v_add_u32_e32 v10, 16, v14
	v_cmp_gt_i32_e64 s[2:3], s20, v10
	v_mad_i64_i32 v[4:5], s[6:7], v10, s8, 0
	v_cmp_le_i32_e32 vcc, v8, v10
	v_lshl_add_u64 v[4:5], v[4:5], 3, s[4:5]
	s_and_b64 s[6:7], s[2:3], vcc
	s_and_saveexec_b64 s[4:5], s[6:7]
	s_cbranch_execz .LBB57_22
; %bb.19:
	v_mul_f64 v[2:3], s[12:13], v[2:3]
	s_and_b64 vcc, exec, s[0:1]
	v_lshl_add_u64 v[8:9], v[8:9], 3, v[4:5]
	s_cbranch_vccnz .LBB57_21
; %bb.20:
	global_load_dwordx2 v[12:13], v[8:9], off
	s_waitcnt vmcnt(0)
	v_fmac_f64_e32 v[2:3], s[10:11], v[12:13]
.LBB57_21:
	global_store_dwordx2 v[8:9], v[2:3], off
.LBB57_22:
	s_or_b64 exec, exec, s[4:5]
	v_cmp_le_i32_e32 vcc, v6, v10
	s_and_b64 s[2:3], s[2:3], vcc
	s_and_saveexec_b64 s[4:5], s[2:3]
	s_cbranch_execz .LBB57_26
; %bb.23:
	v_mul_f64 v[0:1], s[12:13], v[0:1]
	s_and_b64 vcc, exec, s[0:1]
	v_lshl_add_u64 v[2:3], v[6:7], 3, v[4:5]
	s_cbranch_vccnz .LBB57_25
; %bb.24:
	global_load_dwordx2 v[4:5], v[2:3], off
	s_waitcnt vmcnt(0)
	v_fmac_f64_e32 v[0:1], s[10:11], v[4:5]
.LBB57_25:
	global_store_dwordx2 v[2:3], v[0:1], off
.LBB57_26:
	s_endpgm
	.section	.rodata,"a",@progbits
	.p2align	6, 0x0
	.amdhsa_kernel _ZL29rocblas_internal_gemmt_kernelIiLi16ELi32ELi8ELc84ELc78ELc85ELb0ELb0EddPKdPdEviT_T9_T10_S3_lS5_S3_lS4_T11_S3_li
		.amdhsa_group_segment_fixed_size 4096
		.amdhsa_private_segment_fixed_size 0
		.amdhsa_kernarg_size 100
		.amdhsa_user_sgpr_count 2
		.amdhsa_user_sgpr_dispatch_ptr 0
		.amdhsa_user_sgpr_queue_ptr 0
		.amdhsa_user_sgpr_kernarg_segment_ptr 1
		.amdhsa_user_sgpr_dispatch_id 0
		.amdhsa_user_sgpr_kernarg_preload_length 0
		.amdhsa_user_sgpr_kernarg_preload_offset 0
		.amdhsa_user_sgpr_private_segment_size 0
		.amdhsa_uses_dynamic_stack 0
		.amdhsa_enable_private_segment 0
		.amdhsa_system_sgpr_workgroup_id_x 1
		.amdhsa_system_sgpr_workgroup_id_y 1
		.amdhsa_system_sgpr_workgroup_id_z 1
		.amdhsa_system_sgpr_workgroup_info 0
		.amdhsa_system_vgpr_workitem_id 1
		.amdhsa_next_free_vgpr 52
		.amdhsa_next_free_sgpr 27
		.amdhsa_accum_offset 52
		.amdhsa_reserve_vcc 1
		.amdhsa_float_round_mode_32 0
		.amdhsa_float_round_mode_16_64 0
		.amdhsa_float_denorm_mode_32 3
		.amdhsa_float_denorm_mode_16_64 3
		.amdhsa_dx10_clamp 1
		.amdhsa_ieee_mode 1
		.amdhsa_fp16_overflow 0
		.amdhsa_tg_split 0
		.amdhsa_exception_fp_ieee_invalid_op 0
		.amdhsa_exception_fp_denorm_src 0
		.amdhsa_exception_fp_ieee_div_zero 0
		.amdhsa_exception_fp_ieee_overflow 0
		.amdhsa_exception_fp_ieee_underflow 0
		.amdhsa_exception_fp_ieee_inexact 0
		.amdhsa_exception_int_div_zero 0
	.end_amdhsa_kernel
	.section	.text._ZL29rocblas_internal_gemmt_kernelIiLi16ELi32ELi8ELc84ELc78ELc85ELb0ELb0EddPKdPdEviT_T9_T10_S3_lS5_S3_lS4_T11_S3_li,"axG",@progbits,_ZL29rocblas_internal_gemmt_kernelIiLi16ELi32ELi8ELc84ELc78ELc85ELb0ELb0EddPKdPdEviT_T9_T10_S3_lS5_S3_lS4_T11_S3_li,comdat
.Lfunc_end57:
	.size	_ZL29rocblas_internal_gemmt_kernelIiLi16ELi32ELi8ELc84ELc78ELc85ELb0ELb0EddPKdPdEviT_T9_T10_S3_lS5_S3_lS4_T11_S3_li, .Lfunc_end57-_ZL29rocblas_internal_gemmt_kernelIiLi16ELi32ELi8ELc84ELc78ELc85ELb0ELb0EddPKdPdEviT_T9_T10_S3_lS5_S3_lS4_T11_S3_li
                                        ; -- End function
	.set _ZL29rocblas_internal_gemmt_kernelIiLi16ELi32ELi8ELc84ELc78ELc85ELb0ELb0EddPKdPdEviT_T9_T10_S3_lS5_S3_lS4_T11_S3_li.num_vgpr, 52
	.set _ZL29rocblas_internal_gemmt_kernelIiLi16ELi32ELi8ELc84ELc78ELc85ELb0ELb0EddPKdPdEviT_T9_T10_S3_lS5_S3_lS4_T11_S3_li.num_agpr, 0
	.set _ZL29rocblas_internal_gemmt_kernelIiLi16ELi32ELi8ELc84ELc78ELc85ELb0ELb0EddPKdPdEviT_T9_T10_S3_lS5_S3_lS4_T11_S3_li.numbered_sgpr, 27
	.set _ZL29rocblas_internal_gemmt_kernelIiLi16ELi32ELi8ELc84ELc78ELc85ELb0ELb0EddPKdPdEviT_T9_T10_S3_lS5_S3_lS4_T11_S3_li.num_named_barrier, 0
	.set _ZL29rocblas_internal_gemmt_kernelIiLi16ELi32ELi8ELc84ELc78ELc85ELb0ELb0EddPKdPdEviT_T9_T10_S3_lS5_S3_lS4_T11_S3_li.private_seg_size, 0
	.set _ZL29rocblas_internal_gemmt_kernelIiLi16ELi32ELi8ELc84ELc78ELc85ELb0ELb0EddPKdPdEviT_T9_T10_S3_lS5_S3_lS4_T11_S3_li.uses_vcc, 1
	.set _ZL29rocblas_internal_gemmt_kernelIiLi16ELi32ELi8ELc84ELc78ELc85ELb0ELb0EddPKdPdEviT_T9_T10_S3_lS5_S3_lS4_T11_S3_li.uses_flat_scratch, 0
	.set _ZL29rocblas_internal_gemmt_kernelIiLi16ELi32ELi8ELc84ELc78ELc85ELb0ELb0EddPKdPdEviT_T9_T10_S3_lS5_S3_lS4_T11_S3_li.has_dyn_sized_stack, 0
	.set _ZL29rocblas_internal_gemmt_kernelIiLi16ELi32ELi8ELc84ELc78ELc85ELb0ELb0EddPKdPdEviT_T9_T10_S3_lS5_S3_lS4_T11_S3_li.has_recursion, 0
	.set _ZL29rocblas_internal_gemmt_kernelIiLi16ELi32ELi8ELc84ELc78ELc85ELb0ELb0EddPKdPdEviT_T9_T10_S3_lS5_S3_lS4_T11_S3_li.has_indirect_call, 0
	.section	.AMDGPU.csdata,"",@progbits
; Kernel info:
; codeLenInByte = 1276
; TotalNumSgprs: 33
; NumVgprs: 52
; NumAgprs: 0
; TotalNumVgprs: 52
; ScratchSize: 0
; MemoryBound: 0
; FloatMode: 240
; IeeeMode: 1
; LDSByteSize: 4096 bytes/workgroup (compile time only)
; SGPRBlocks: 4
; VGPRBlocks: 6
; NumSGPRsForWavesPerEU: 33
; NumVGPRsForWavesPerEU: 52
; AccumOffset: 52
; Occupancy: 8
; WaveLimiterHint : 0
; COMPUTE_PGM_RSRC2:SCRATCH_EN: 0
; COMPUTE_PGM_RSRC2:USER_SGPR: 2
; COMPUTE_PGM_RSRC2:TRAP_HANDLER: 0
; COMPUTE_PGM_RSRC2:TGID_X_EN: 1
; COMPUTE_PGM_RSRC2:TGID_Y_EN: 1
; COMPUTE_PGM_RSRC2:TGID_Z_EN: 1
; COMPUTE_PGM_RSRC2:TIDIG_COMP_CNT: 1
; COMPUTE_PGM_RSRC3_GFX90A:ACCUM_OFFSET: 12
; COMPUTE_PGM_RSRC3_GFX90A:TG_SPLIT: 0
	.section	.text._ZL29rocblas_internal_gemmt_kernelIiLi16ELi32ELi8ELc84ELc84ELc85ELb0ELb0EddPKdPdEviT_T9_T10_S3_lS5_S3_lS4_T11_S3_li,"axG",@progbits,_ZL29rocblas_internal_gemmt_kernelIiLi16ELi32ELi8ELc84ELc84ELc85ELb0ELb0EddPKdPdEviT_T9_T10_S3_lS5_S3_lS4_T11_S3_li,comdat
	.globl	_ZL29rocblas_internal_gemmt_kernelIiLi16ELi32ELi8ELc84ELc84ELc85ELb0ELb0EddPKdPdEviT_T9_T10_S3_lS5_S3_lS4_T11_S3_li ; -- Begin function _ZL29rocblas_internal_gemmt_kernelIiLi16ELi32ELi8ELc84ELc84ELc85ELb0ELb0EddPKdPdEviT_T9_T10_S3_lS5_S3_lS4_T11_S3_li
	.p2align	8
	.type	_ZL29rocblas_internal_gemmt_kernelIiLi16ELi32ELi8ELc84ELc84ELc85ELb0ELb0EddPKdPdEviT_T9_T10_S3_lS5_S3_lS4_T11_S3_li,@function
_ZL29rocblas_internal_gemmt_kernelIiLi16ELi32ELi8ELc84ELc84ELc85ELb0ELb0EddPKdPdEviT_T9_T10_S3_lS5_S3_lS4_T11_S3_li: ; @_ZL29rocblas_internal_gemmt_kernelIiLi16ELi32ELi8ELc84ELc84ELc85ELb0ELb0EddPKdPdEviT_T9_T10_S3_lS5_S3_lS4_T11_S3_li
; %bb.0:
	s_load_dwordx4 s[8:11], s[0:1], 0x38
	s_load_dwordx2 s[20:21], s[0:1], 0x0
	s_load_dwordx4 s[12:15], s[0:1], 0x8
	s_waitcnt lgkmcnt(0)
	v_cmp_neq_f64_e64 s[6:7], s[10:11], 1.0
	s_and_b64 vcc, exec, s[6:7]
	s_cbranch_vccnz .LBB58_2
; %bb.1:
	s_cmp_lg_u32 s21, 0
	s_cselect_b64 s[6:7], -1, 0
	v_cmp_neq_f64_e64 s[16:17], s[12:13], 0
	s_and_b64 s[6:7], s[6:7], s[16:17]
.LBB58_2:
	s_andn2_b64 vcc, exec, s[6:7]
	s_cbranch_vccnz .LBB58_26
; %bb.3:
	s_load_dwordx2 s[22:23], s[0:1], 0x48
	s_lshl_b32 s5, s2, 5
	s_lshl_b32 s24, s3, 5
	s_cmp_lt_i32 s21, 1
	v_cmp_eq_f64_e64 s[2:3], s[12:13], 0
	s_cselect_b64 s[6:7], -1, 0
	s_or_b64 s[2:3], s[2:3], s[6:7]
	v_and_b32_e32 v13, 0x3ff, v0
	v_bfe_u32 v12, v0, 10, 10
	s_mov_b32 s25, 0
	v_mov_b64_e32 v[6:7], 0
	s_and_b64 vcc, exec, s[2:3]
	v_mov_b64_e32 v[4:5], 0
	v_mov_b64_e32 v[2:3], 0
	v_mov_b64_e32 v[0:1], 0
	s_cbranch_vccnz .LBB58_10
; %bb.4:
	v_lshl_add_u32 v1, v12, 4, v13
	v_and_b32_e32 v3, 31, v1
	v_lshrrev_b32_e32 v15, 5, v1
	v_lshrrev_b32_e32 v2, 3, v1
	v_or_b32_e32 v1, s5, v3
	s_load_dword s26, s[0:1], 0x18
	s_load_dword s6, s[0:1], 0x30
	s_load_dwordx4 s[16:19], s[0:1], 0x20
	v_and_b32_e32 v14, 7, v13
	v_cmp_gt_i32_e32 vcc, s20, v1
	v_lshlrev_b32_e32 v1, 3, v3
	v_lshl_or_b32 v16, v15, 8, v1
	v_lshlrev_b32_e32 v1, 3, v14
	v_add_u32_e32 v0, s24, v2
	v_lshl_or_b32 v1, v2, 6, v1
	v_mov_b32_e32 v2, 0x800
	v_lshl_add_u32 v19, v12, 6, v2
	v_add_u32_e32 v2, s5, v3
	s_waitcnt lgkmcnt(0)
	v_mad_i64_i32 v[2:3], s[26:27], s26, v2, 0
	s_mul_i32 s17, s17, s4
	s_mul_hi_u32 s26, s16, s4
	s_add_i32 s17, s26, s17
	s_mul_i32 s16, s16, s4
	s_lshl_b64 s[16:17], s[16:17], 3
	v_lshl_add_u64 v[2:3], v[2:3], 3, s[16:17]
	v_lshlrev_b32_e32 v4, 3, v15
	v_mov_b32_e32 v5, 0
	v_lshl_add_u64 v[2:3], v[2:3], 0, v[4:5]
	v_lshl_add_u64 v[8:9], s[14:15], 0, v[2:3]
	s_mul_i32 s9, s9, s4
	s_mul_hi_u32 s14, s8, s4
	s_add_i32 s9, s14, s9
	v_mad_i64_i32 v[2:3], s[14:15], s6, v14, 0
	s_mul_i32 s8, s8, s4
	v_lshlrev_b64 v[2:3], 3, v[2:3]
	v_add_u32_e32 v17, 0x800, v1
	v_ashrrev_i32_e32 v1, 31, v0
	v_lshl_add_u64 v[2:3], s[8:9], 3, v[2:3]
	s_ashr_i32 s7, s6, 31
	v_cmp_gt_i32_e64 s[2:3], s20, v0
	v_lshl_add_u64 v[0:1], v[0:1], 3, v[2:3]
	v_lshlrev_b32_e32 v18, 3, v13
	v_lshl_add_u64 v[10:11], s[18:19], 0, v[0:1]
	s_lshl_b64 s[8:9], s[6:7], 6
	v_mov_b64_e32 v[0:1], 0
	v_mov_b64_e32 v[2:3], 0
	;; [unrolled: 1-line block ×4, first 2 shown]
	s_branch .LBB58_6
.LBB58_5:                               ;   in Loop: Header=BB58_6 Depth=1
	s_or_b64 exec, exec, s[6:7]
	s_waitcnt vmcnt(0)
	ds_write_b64 v17, v[20:21]
	s_waitcnt lgkmcnt(0)
	s_barrier
	ds_read2_b64 v[20:23], v18 offset1:16
	ds_read_b128 v[24:27], v19
	ds_read_b128 v[28:31], v19 offset:16
	ds_read_b128 v[32:35], v19 offset:32
	;; [unrolled: 1-line block ×4, first 2 shown]
	ds_read2_b64 v[44:47], v18 offset0:32 offset1:48
	s_waitcnt lgkmcnt(5)
	v_fmac_f64_e32 v[6:7], v[20:21], v[24:25]
	v_fmac_f64_e32 v[4:5], v[22:23], v[24:25]
	ds_read_b128 v[48:51], v19 offset:1040
	s_waitcnt lgkmcnt(2)
	v_fmac_f64_e32 v[2:3], v[20:21], v[40:41]
	v_fmac_f64_e32 v[0:1], v[22:23], v[40:41]
	ds_read2_b64 v[20:23], v18 offset0:64 offset1:80
	s_waitcnt lgkmcnt(2)
	v_fmac_f64_e32 v[6:7], v[44:45], v[26:27]
	v_fmac_f64_e32 v[4:5], v[46:47], v[26:27]
	ds_read2_b64 v[24:27], v18 offset0:96 offset1:112
	v_fmac_f64_e32 v[2:3], v[44:45], v[42:43]
	v_fmac_f64_e32 v[0:1], v[46:47], v[42:43]
	s_waitcnt lgkmcnt(1)
	v_fmac_f64_e32 v[6:7], v[20:21], v[28:29]
	v_fmac_f64_e32 v[4:5], v[22:23], v[28:29]
	ds_read_b128 v[40:43], v19 offset:1072
	v_fmac_f64_e32 v[2:3], v[20:21], v[48:49]
	v_fmac_f64_e32 v[0:1], v[22:23], v[48:49]
	s_waitcnt lgkmcnt(1)
	v_fmac_f64_e32 v[6:7], v[24:25], v[30:31]
	ds_read2_b64 v[20:23], v18 offset0:128 offset1:144
	v_fmac_f64_e32 v[4:5], v[26:27], v[30:31]
	v_fmac_f64_e32 v[2:3], v[24:25], v[50:51]
	;; [unrolled: 1-line block ×3, first 2 shown]
	ds_read_b128 v[24:27], v19 offset:1056
	ds_read2_b64 v[28:31], v18 offset0:160 offset1:176
	s_waitcnt lgkmcnt(2)
	v_fmac_f64_e32 v[6:7], v[20:21], v[32:33]
	v_fmac_f64_e32 v[4:5], v[22:23], v[32:33]
	s_add_i32 s25, s25, 8
	s_waitcnt lgkmcnt(1)
	v_fmac_f64_e32 v[2:3], v[20:21], v[24:25]
	v_fmac_f64_e32 v[0:1], v[22:23], v[24:25]
	ds_read2_b64 v[20:23], v18 offset0:192 offset1:208
	s_waitcnt lgkmcnt(1)
	v_fmac_f64_e32 v[2:3], v[28:29], v[26:27]
	v_fmac_f64_e32 v[0:1], v[30:31], v[26:27]
	ds_read2_b64 v[24:27], v18 offset0:224 offset1:240
	v_fmac_f64_e32 v[6:7], v[28:29], v[34:35]
	v_fmac_f64_e32 v[4:5], v[30:31], v[34:35]
	s_waitcnt lgkmcnt(1)
	v_fmac_f64_e32 v[6:7], v[20:21], v[36:37]
	v_fmac_f64_e32 v[4:5], v[22:23], v[36:37]
	;; [unrolled: 1-line block ×4, first 2 shown]
	s_waitcnt lgkmcnt(0)
	v_fmac_f64_e32 v[6:7], v[24:25], v[38:39]
	v_fmac_f64_e32 v[4:5], v[26:27], v[38:39]
	;; [unrolled: 1-line block ×4, first 2 shown]
	v_lshl_add_u64 v[8:9], v[8:9], 0, 64
	s_cmp_lt_i32 s25, s21
	v_lshl_add_u64 v[10:11], v[10:11], 0, s[8:9]
	s_barrier
	s_cbranch_scc0 .LBB58_10
.LBB58_6:                               ; =>This Inner Loop Header: Depth=1
	v_add_u32_e32 v20, s25, v15
	v_cmp_gt_i32_e64 s[6:7], s21, v20
	s_and_b64 s[14:15], vcc, s[6:7]
	v_mov_b64_e32 v[20:21], 0
	s_and_saveexec_b64 s[6:7], s[14:15]
	s_cbranch_execz .LBB58_8
; %bb.7:                                ;   in Loop: Header=BB58_6 Depth=1
	global_load_dwordx2 v[20:21], v[8:9], off
.LBB58_8:                               ;   in Loop: Header=BB58_6 Depth=1
	s_or_b64 exec, exec, s[6:7]
	s_waitcnt vmcnt(0)
	ds_write_b64 v16, v[20:21]
	v_add_u32_e32 v20, s25, v14
	v_cmp_gt_i32_e64 s[6:7], s21, v20
	s_and_b64 s[14:15], s[6:7], s[2:3]
	v_mov_b64_e32 v[20:21], 0
	s_and_saveexec_b64 s[6:7], s[14:15]
	s_cbranch_execz .LBB58_5
; %bb.9:                                ;   in Loop: Header=BB58_6 Depth=1
	global_load_dwordx2 v[20:21], v[10:11], off
	s_branch .LBB58_5
.LBB58_10:
	s_load_dwordx2 s[2:3], s[0:1], 0x58
	s_load_dword s8, s[0:1], 0x50
	v_add_u32_e32 v14, s24, v12
	v_add_u32_e32 v8, s5, v13
	v_cmp_le_i32_e32 vcc, v8, v14
	s_waitcnt lgkmcnt(0)
	s_mul_i32 s1, s3, s4
	s_mul_hi_u32 s3, s2, s4
	s_mul_i32 s0, s2, s4
	s_add_i32 s1, s3, s1
	s_lshl_b64 s[0:1], s[0:1], 3
	s_add_u32 s4, s22, s0
	s_addc_u32 s5, s23, s1
	v_mad_i64_i32 v[10:11], s[0:1], v14, s8, 0
	v_cmp_neq_f64_e64 s[0:1], s[10:11], 0
	v_cmp_gt_i32_e64 s[2:3], s20, v14
	v_lshl_add_u64 v[10:11], v[10:11], 3, s[4:5]
	v_cndmask_b32_e64 v12, 0, 1, s[0:1]
	s_and_b64 s[14:15], s[2:3], vcc
	v_ashrrev_i32_e32 v9, 31, v8
	v_cmp_ne_u32_e64 s[0:1], 1, v12
	s_and_saveexec_b64 s[6:7], s[14:15]
	s_cbranch_execz .LBB58_14
; %bb.11:
	v_mul_f64 v[6:7], s[12:13], v[6:7]
	s_and_b64 vcc, exec, s[0:1]
	v_lshl_add_u64 v[12:13], v[8:9], 3, v[10:11]
	s_cbranch_vccnz .LBB58_13
; %bb.12:
	global_load_dwordx2 v[16:17], v[12:13], off
	s_waitcnt vmcnt(0)
	v_fmac_f64_e32 v[6:7], s[10:11], v[16:17]
.LBB58_13:
	global_store_dwordx2 v[12:13], v[6:7], off
.LBB58_14:
	s_or_b64 exec, exec, s[6:7]
	v_add_u32_e32 v6, 16, v8
	v_cmp_le_i32_e32 vcc, v6, v14
	s_and_b64 s[6:7], s[2:3], vcc
	v_ashrrev_i32_e32 v7, 31, v6
	s_and_saveexec_b64 s[2:3], s[6:7]
	s_cbranch_execz .LBB58_18
; %bb.15:
	v_mul_f64 v[4:5], s[12:13], v[4:5]
	s_and_b64 vcc, exec, s[0:1]
	v_lshl_add_u64 v[10:11], v[6:7], 3, v[10:11]
	s_cbranch_vccnz .LBB58_17
; %bb.16:
	global_load_dwordx2 v[12:13], v[10:11], off
	s_waitcnt vmcnt(0)
	v_fmac_f64_e32 v[4:5], s[10:11], v[12:13]
.LBB58_17:
	global_store_dwordx2 v[10:11], v[4:5], off
.LBB58_18:
	s_or_b64 exec, exec, s[2:3]
	v_add_u32_e32 v10, 16, v14
	v_cmp_gt_i32_e64 s[2:3], s20, v10
	v_mad_i64_i32 v[4:5], s[6:7], v10, s8, 0
	v_cmp_le_i32_e32 vcc, v8, v10
	v_lshl_add_u64 v[4:5], v[4:5], 3, s[4:5]
	s_and_b64 s[6:7], s[2:3], vcc
	s_and_saveexec_b64 s[4:5], s[6:7]
	s_cbranch_execz .LBB58_22
; %bb.19:
	v_mul_f64 v[2:3], s[12:13], v[2:3]
	s_and_b64 vcc, exec, s[0:1]
	v_lshl_add_u64 v[8:9], v[8:9], 3, v[4:5]
	s_cbranch_vccnz .LBB58_21
; %bb.20:
	global_load_dwordx2 v[12:13], v[8:9], off
	s_waitcnt vmcnt(0)
	v_fmac_f64_e32 v[2:3], s[10:11], v[12:13]
.LBB58_21:
	global_store_dwordx2 v[8:9], v[2:3], off
.LBB58_22:
	s_or_b64 exec, exec, s[4:5]
	v_cmp_le_i32_e32 vcc, v6, v10
	s_and_b64 s[2:3], s[2:3], vcc
	s_and_saveexec_b64 s[4:5], s[2:3]
	s_cbranch_execz .LBB58_26
; %bb.23:
	v_mul_f64 v[0:1], s[12:13], v[0:1]
	s_and_b64 vcc, exec, s[0:1]
	v_lshl_add_u64 v[2:3], v[6:7], 3, v[4:5]
	s_cbranch_vccnz .LBB58_25
; %bb.24:
	global_load_dwordx2 v[4:5], v[2:3], off
	s_waitcnt vmcnt(0)
	v_fmac_f64_e32 v[0:1], s[10:11], v[4:5]
.LBB58_25:
	global_store_dwordx2 v[2:3], v[0:1], off
.LBB58_26:
	s_endpgm
	.section	.rodata,"a",@progbits
	.p2align	6, 0x0
	.amdhsa_kernel _ZL29rocblas_internal_gemmt_kernelIiLi16ELi32ELi8ELc84ELc84ELc85ELb0ELb0EddPKdPdEviT_T9_T10_S3_lS5_S3_lS4_T11_S3_li
		.amdhsa_group_segment_fixed_size 4096
		.amdhsa_private_segment_fixed_size 0
		.amdhsa_kernarg_size 100
		.amdhsa_user_sgpr_count 2
		.amdhsa_user_sgpr_dispatch_ptr 0
		.amdhsa_user_sgpr_queue_ptr 0
		.amdhsa_user_sgpr_kernarg_segment_ptr 1
		.amdhsa_user_sgpr_dispatch_id 0
		.amdhsa_user_sgpr_kernarg_preload_length 0
		.amdhsa_user_sgpr_kernarg_preload_offset 0
		.amdhsa_user_sgpr_private_segment_size 0
		.amdhsa_uses_dynamic_stack 0
		.amdhsa_enable_private_segment 0
		.amdhsa_system_sgpr_workgroup_id_x 1
		.amdhsa_system_sgpr_workgroup_id_y 1
		.amdhsa_system_sgpr_workgroup_id_z 1
		.amdhsa_system_sgpr_workgroup_info 0
		.amdhsa_system_vgpr_workitem_id 1
		.amdhsa_next_free_vgpr 52
		.amdhsa_next_free_sgpr 28
		.amdhsa_accum_offset 52
		.amdhsa_reserve_vcc 1
		.amdhsa_float_round_mode_32 0
		.amdhsa_float_round_mode_16_64 0
		.amdhsa_float_denorm_mode_32 3
		.amdhsa_float_denorm_mode_16_64 3
		.amdhsa_dx10_clamp 1
		.amdhsa_ieee_mode 1
		.amdhsa_fp16_overflow 0
		.amdhsa_tg_split 0
		.amdhsa_exception_fp_ieee_invalid_op 0
		.amdhsa_exception_fp_denorm_src 0
		.amdhsa_exception_fp_ieee_div_zero 0
		.amdhsa_exception_fp_ieee_overflow 0
		.amdhsa_exception_fp_ieee_underflow 0
		.amdhsa_exception_fp_ieee_inexact 0
		.amdhsa_exception_int_div_zero 0
	.end_amdhsa_kernel
	.section	.text._ZL29rocblas_internal_gemmt_kernelIiLi16ELi32ELi8ELc84ELc84ELc85ELb0ELb0EddPKdPdEviT_T9_T10_S3_lS5_S3_lS4_T11_S3_li,"axG",@progbits,_ZL29rocblas_internal_gemmt_kernelIiLi16ELi32ELi8ELc84ELc84ELc85ELb0ELb0EddPKdPdEviT_T9_T10_S3_lS5_S3_lS4_T11_S3_li,comdat
.Lfunc_end58:
	.size	_ZL29rocblas_internal_gemmt_kernelIiLi16ELi32ELi8ELc84ELc84ELc85ELb0ELb0EddPKdPdEviT_T9_T10_S3_lS5_S3_lS4_T11_S3_li, .Lfunc_end58-_ZL29rocblas_internal_gemmt_kernelIiLi16ELi32ELi8ELc84ELc84ELc85ELb0ELb0EddPKdPdEviT_T9_T10_S3_lS5_S3_lS4_T11_S3_li
                                        ; -- End function
	.set _ZL29rocblas_internal_gemmt_kernelIiLi16ELi32ELi8ELc84ELc84ELc85ELb0ELb0EddPKdPdEviT_T9_T10_S3_lS5_S3_lS4_T11_S3_li.num_vgpr, 52
	.set _ZL29rocblas_internal_gemmt_kernelIiLi16ELi32ELi8ELc84ELc84ELc85ELb0ELb0EddPKdPdEviT_T9_T10_S3_lS5_S3_lS4_T11_S3_li.num_agpr, 0
	.set _ZL29rocblas_internal_gemmt_kernelIiLi16ELi32ELi8ELc84ELc84ELc85ELb0ELb0EddPKdPdEviT_T9_T10_S3_lS5_S3_lS4_T11_S3_li.numbered_sgpr, 28
	.set _ZL29rocblas_internal_gemmt_kernelIiLi16ELi32ELi8ELc84ELc84ELc85ELb0ELb0EddPKdPdEviT_T9_T10_S3_lS5_S3_lS4_T11_S3_li.num_named_barrier, 0
	.set _ZL29rocblas_internal_gemmt_kernelIiLi16ELi32ELi8ELc84ELc84ELc85ELb0ELb0EddPKdPdEviT_T9_T10_S3_lS5_S3_lS4_T11_S3_li.private_seg_size, 0
	.set _ZL29rocblas_internal_gemmt_kernelIiLi16ELi32ELi8ELc84ELc84ELc85ELb0ELb0EddPKdPdEviT_T9_T10_S3_lS5_S3_lS4_T11_S3_li.uses_vcc, 1
	.set _ZL29rocblas_internal_gemmt_kernelIiLi16ELi32ELi8ELc84ELc84ELc85ELb0ELb0EddPKdPdEviT_T9_T10_S3_lS5_S3_lS4_T11_S3_li.uses_flat_scratch, 0
	.set _ZL29rocblas_internal_gemmt_kernelIiLi16ELi32ELi8ELc84ELc84ELc85ELb0ELb0EddPKdPdEviT_T9_T10_S3_lS5_S3_lS4_T11_S3_li.has_dyn_sized_stack, 0
	.set _ZL29rocblas_internal_gemmt_kernelIiLi16ELi32ELi8ELc84ELc84ELc85ELb0ELb0EddPKdPdEviT_T9_T10_S3_lS5_S3_lS4_T11_S3_li.has_recursion, 0
	.set _ZL29rocblas_internal_gemmt_kernelIiLi16ELi32ELi8ELc84ELc84ELc85ELb0ELb0EddPKdPdEviT_T9_T10_S3_lS5_S3_lS4_T11_S3_li.has_indirect_call, 0
	.section	.AMDGPU.csdata,"",@progbits
; Kernel info:
; codeLenInByte = 1288
; TotalNumSgprs: 34
; NumVgprs: 52
; NumAgprs: 0
; TotalNumVgprs: 52
; ScratchSize: 0
; MemoryBound: 0
; FloatMode: 240
; IeeeMode: 1
; LDSByteSize: 4096 bytes/workgroup (compile time only)
; SGPRBlocks: 4
; VGPRBlocks: 6
; NumSGPRsForWavesPerEU: 34
; NumVGPRsForWavesPerEU: 52
; AccumOffset: 52
; Occupancy: 8
; WaveLimiterHint : 0
; COMPUTE_PGM_RSRC2:SCRATCH_EN: 0
; COMPUTE_PGM_RSRC2:USER_SGPR: 2
; COMPUTE_PGM_RSRC2:TRAP_HANDLER: 0
; COMPUTE_PGM_RSRC2:TGID_X_EN: 1
; COMPUTE_PGM_RSRC2:TGID_Y_EN: 1
; COMPUTE_PGM_RSRC2:TGID_Z_EN: 1
; COMPUTE_PGM_RSRC2:TIDIG_COMP_CNT: 1
; COMPUTE_PGM_RSRC3_GFX90A:ACCUM_OFFSET: 12
; COMPUTE_PGM_RSRC3_GFX90A:TG_SPLIT: 0
	.section	.text._ZL29rocblas_internal_gemmt_kernelIiLi16ELi32ELi8ELc84ELc67ELc85ELb0ELb0EddPKdPdEviT_T9_T10_S3_lS5_S3_lS4_T11_S3_li,"axG",@progbits,_ZL29rocblas_internal_gemmt_kernelIiLi16ELi32ELi8ELc84ELc67ELc85ELb0ELb0EddPKdPdEviT_T9_T10_S3_lS5_S3_lS4_T11_S3_li,comdat
	.globl	_ZL29rocblas_internal_gemmt_kernelIiLi16ELi32ELi8ELc84ELc67ELc85ELb0ELb0EddPKdPdEviT_T9_T10_S3_lS5_S3_lS4_T11_S3_li ; -- Begin function _ZL29rocblas_internal_gemmt_kernelIiLi16ELi32ELi8ELc84ELc67ELc85ELb0ELb0EddPKdPdEviT_T9_T10_S3_lS5_S3_lS4_T11_S3_li
	.p2align	8
	.type	_ZL29rocblas_internal_gemmt_kernelIiLi16ELi32ELi8ELc84ELc67ELc85ELb0ELb0EddPKdPdEviT_T9_T10_S3_lS5_S3_lS4_T11_S3_li,@function
_ZL29rocblas_internal_gemmt_kernelIiLi16ELi32ELi8ELc84ELc67ELc85ELb0ELb0EddPKdPdEviT_T9_T10_S3_lS5_S3_lS4_T11_S3_li: ; @_ZL29rocblas_internal_gemmt_kernelIiLi16ELi32ELi8ELc84ELc67ELc85ELb0ELb0EddPKdPdEviT_T9_T10_S3_lS5_S3_lS4_T11_S3_li
; %bb.0:
	s_load_dwordx4 s[8:11], s[0:1], 0x38
	s_load_dwordx2 s[20:21], s[0:1], 0x0
	s_load_dwordx4 s[12:15], s[0:1], 0x8
	s_waitcnt lgkmcnt(0)
	v_cmp_neq_f64_e64 s[6:7], s[10:11], 1.0
	s_and_b64 vcc, exec, s[6:7]
	s_cbranch_vccnz .LBB59_2
; %bb.1:
	s_cmp_lg_u32 s21, 0
	s_cselect_b64 s[6:7], -1, 0
	v_cmp_neq_f64_e64 s[16:17], s[12:13], 0
	s_and_b64 s[6:7], s[6:7], s[16:17]
.LBB59_2:
	s_andn2_b64 vcc, exec, s[6:7]
	s_cbranch_vccnz .LBB59_26
; %bb.3:
	s_load_dwordx2 s[22:23], s[0:1], 0x48
	s_lshl_b32 s5, s2, 5
	s_lshl_b32 s24, s3, 5
	s_cmp_lt_i32 s21, 1
	v_cmp_eq_f64_e64 s[2:3], s[12:13], 0
	s_cselect_b64 s[6:7], -1, 0
	s_or_b64 s[2:3], s[2:3], s[6:7]
	v_and_b32_e32 v13, 0x3ff, v0
	v_bfe_u32 v12, v0, 10, 10
	s_mov_b32 s25, 0
	v_mov_b64_e32 v[6:7], 0
	s_and_b64 vcc, exec, s[2:3]
	v_mov_b64_e32 v[4:5], 0
	v_mov_b64_e32 v[2:3], 0
	v_mov_b64_e32 v[0:1], 0
	s_cbranch_vccnz .LBB59_10
; %bb.4:
	v_lshl_add_u32 v1, v12, 4, v13
	v_and_b32_e32 v3, 31, v1
	v_lshrrev_b32_e32 v15, 5, v1
	v_lshrrev_b32_e32 v2, 3, v1
	v_or_b32_e32 v1, s5, v3
	s_load_dword s26, s[0:1], 0x18
	s_load_dword s6, s[0:1], 0x30
	s_load_dwordx4 s[16:19], s[0:1], 0x20
	v_and_b32_e32 v14, 7, v13
	v_cmp_gt_i32_e32 vcc, s20, v1
	v_lshlrev_b32_e32 v1, 3, v3
	v_lshl_or_b32 v16, v15, 8, v1
	v_lshlrev_b32_e32 v1, 3, v14
	v_add_u32_e32 v0, s24, v2
	v_lshl_or_b32 v1, v2, 6, v1
	v_mov_b32_e32 v2, 0x800
	v_lshl_add_u32 v19, v12, 6, v2
	v_add_u32_e32 v2, s5, v3
	s_waitcnt lgkmcnt(0)
	v_mad_i64_i32 v[2:3], s[26:27], s26, v2, 0
	s_mul_i32 s17, s17, s4
	s_mul_hi_u32 s26, s16, s4
	s_add_i32 s17, s26, s17
	s_mul_i32 s16, s16, s4
	s_lshl_b64 s[16:17], s[16:17], 3
	v_lshl_add_u64 v[2:3], v[2:3], 3, s[16:17]
	v_lshlrev_b32_e32 v4, 3, v15
	v_mov_b32_e32 v5, 0
	v_lshl_add_u64 v[2:3], v[2:3], 0, v[4:5]
	v_lshl_add_u64 v[8:9], s[14:15], 0, v[2:3]
	s_mul_i32 s9, s9, s4
	s_mul_hi_u32 s14, s8, s4
	s_add_i32 s9, s14, s9
	v_mad_i64_i32 v[2:3], s[14:15], s6, v14, 0
	s_mul_i32 s8, s8, s4
	v_lshlrev_b64 v[2:3], 3, v[2:3]
	v_add_u32_e32 v17, 0x800, v1
	v_ashrrev_i32_e32 v1, 31, v0
	v_lshl_add_u64 v[2:3], s[8:9], 3, v[2:3]
	s_ashr_i32 s7, s6, 31
	v_cmp_gt_i32_e64 s[2:3], s20, v0
	v_lshl_add_u64 v[0:1], v[0:1], 3, v[2:3]
	v_lshlrev_b32_e32 v18, 3, v13
	v_lshl_add_u64 v[10:11], s[18:19], 0, v[0:1]
	s_lshl_b64 s[8:9], s[6:7], 6
	v_mov_b64_e32 v[0:1], 0
	v_mov_b64_e32 v[2:3], 0
	;; [unrolled: 1-line block ×4, first 2 shown]
	s_branch .LBB59_6
.LBB59_5:                               ;   in Loop: Header=BB59_6 Depth=1
	s_or_b64 exec, exec, s[6:7]
	s_waitcnt vmcnt(0)
	ds_write_b64 v17, v[20:21]
	s_waitcnt lgkmcnt(0)
	s_barrier
	ds_read2_b64 v[20:23], v18 offset1:16
	ds_read_b128 v[24:27], v19
	ds_read_b128 v[28:31], v19 offset:16
	ds_read_b128 v[32:35], v19 offset:32
	;; [unrolled: 1-line block ×4, first 2 shown]
	ds_read2_b64 v[44:47], v18 offset0:32 offset1:48
	s_waitcnt lgkmcnt(5)
	v_fmac_f64_e32 v[6:7], v[20:21], v[24:25]
	v_fmac_f64_e32 v[4:5], v[22:23], v[24:25]
	ds_read_b128 v[48:51], v19 offset:1040
	s_waitcnt lgkmcnt(2)
	v_fmac_f64_e32 v[2:3], v[20:21], v[40:41]
	v_fmac_f64_e32 v[0:1], v[22:23], v[40:41]
	ds_read2_b64 v[20:23], v18 offset0:64 offset1:80
	s_waitcnt lgkmcnt(2)
	v_fmac_f64_e32 v[6:7], v[44:45], v[26:27]
	v_fmac_f64_e32 v[4:5], v[46:47], v[26:27]
	ds_read2_b64 v[24:27], v18 offset0:96 offset1:112
	v_fmac_f64_e32 v[2:3], v[44:45], v[42:43]
	v_fmac_f64_e32 v[0:1], v[46:47], v[42:43]
	s_waitcnt lgkmcnt(1)
	v_fmac_f64_e32 v[6:7], v[20:21], v[28:29]
	v_fmac_f64_e32 v[4:5], v[22:23], v[28:29]
	ds_read_b128 v[40:43], v19 offset:1072
	v_fmac_f64_e32 v[2:3], v[20:21], v[48:49]
	v_fmac_f64_e32 v[0:1], v[22:23], v[48:49]
	s_waitcnt lgkmcnt(1)
	v_fmac_f64_e32 v[6:7], v[24:25], v[30:31]
	ds_read2_b64 v[20:23], v18 offset0:128 offset1:144
	v_fmac_f64_e32 v[4:5], v[26:27], v[30:31]
	v_fmac_f64_e32 v[2:3], v[24:25], v[50:51]
	;; [unrolled: 1-line block ×3, first 2 shown]
	ds_read_b128 v[24:27], v19 offset:1056
	ds_read2_b64 v[28:31], v18 offset0:160 offset1:176
	s_waitcnt lgkmcnt(2)
	v_fmac_f64_e32 v[6:7], v[20:21], v[32:33]
	v_fmac_f64_e32 v[4:5], v[22:23], v[32:33]
	s_add_i32 s25, s25, 8
	s_waitcnt lgkmcnt(1)
	v_fmac_f64_e32 v[2:3], v[20:21], v[24:25]
	v_fmac_f64_e32 v[0:1], v[22:23], v[24:25]
	ds_read2_b64 v[20:23], v18 offset0:192 offset1:208
	s_waitcnt lgkmcnt(1)
	v_fmac_f64_e32 v[2:3], v[28:29], v[26:27]
	v_fmac_f64_e32 v[0:1], v[30:31], v[26:27]
	ds_read2_b64 v[24:27], v18 offset0:224 offset1:240
	v_fmac_f64_e32 v[6:7], v[28:29], v[34:35]
	v_fmac_f64_e32 v[4:5], v[30:31], v[34:35]
	s_waitcnt lgkmcnt(1)
	v_fmac_f64_e32 v[6:7], v[20:21], v[36:37]
	v_fmac_f64_e32 v[4:5], v[22:23], v[36:37]
	;; [unrolled: 1-line block ×4, first 2 shown]
	s_waitcnt lgkmcnt(0)
	v_fmac_f64_e32 v[6:7], v[24:25], v[38:39]
	v_fmac_f64_e32 v[4:5], v[26:27], v[38:39]
	;; [unrolled: 1-line block ×4, first 2 shown]
	v_lshl_add_u64 v[8:9], v[8:9], 0, 64
	s_cmp_lt_i32 s25, s21
	v_lshl_add_u64 v[10:11], v[10:11], 0, s[8:9]
	s_barrier
	s_cbranch_scc0 .LBB59_10
.LBB59_6:                               ; =>This Inner Loop Header: Depth=1
	v_add_u32_e32 v20, s25, v15
	v_cmp_gt_i32_e64 s[6:7], s21, v20
	s_and_b64 s[14:15], vcc, s[6:7]
	v_mov_b64_e32 v[20:21], 0
	s_and_saveexec_b64 s[6:7], s[14:15]
	s_cbranch_execz .LBB59_8
; %bb.7:                                ;   in Loop: Header=BB59_6 Depth=1
	global_load_dwordx2 v[20:21], v[8:9], off
.LBB59_8:                               ;   in Loop: Header=BB59_6 Depth=1
	s_or_b64 exec, exec, s[6:7]
	s_waitcnt vmcnt(0)
	ds_write_b64 v16, v[20:21]
	v_add_u32_e32 v20, s25, v14
	v_cmp_gt_i32_e64 s[6:7], s21, v20
	s_and_b64 s[14:15], s[6:7], s[2:3]
	v_mov_b64_e32 v[20:21], 0
	s_and_saveexec_b64 s[6:7], s[14:15]
	s_cbranch_execz .LBB59_5
; %bb.9:                                ;   in Loop: Header=BB59_6 Depth=1
	global_load_dwordx2 v[20:21], v[10:11], off
	s_branch .LBB59_5
.LBB59_10:
	s_load_dwordx2 s[2:3], s[0:1], 0x58
	s_load_dword s8, s[0:1], 0x50
	v_add_u32_e32 v14, s24, v12
	v_add_u32_e32 v8, s5, v13
	v_cmp_le_i32_e32 vcc, v8, v14
	s_waitcnt lgkmcnt(0)
	s_mul_i32 s1, s3, s4
	s_mul_hi_u32 s3, s2, s4
	s_mul_i32 s0, s2, s4
	s_add_i32 s1, s3, s1
	s_lshl_b64 s[0:1], s[0:1], 3
	s_add_u32 s4, s22, s0
	s_addc_u32 s5, s23, s1
	v_mad_i64_i32 v[10:11], s[0:1], v14, s8, 0
	v_cmp_neq_f64_e64 s[0:1], s[10:11], 0
	v_cmp_gt_i32_e64 s[2:3], s20, v14
	v_lshl_add_u64 v[10:11], v[10:11], 3, s[4:5]
	v_cndmask_b32_e64 v12, 0, 1, s[0:1]
	s_and_b64 s[14:15], s[2:3], vcc
	v_ashrrev_i32_e32 v9, 31, v8
	v_cmp_ne_u32_e64 s[0:1], 1, v12
	s_and_saveexec_b64 s[6:7], s[14:15]
	s_cbranch_execz .LBB59_14
; %bb.11:
	v_mul_f64 v[6:7], s[12:13], v[6:7]
	s_and_b64 vcc, exec, s[0:1]
	v_lshl_add_u64 v[12:13], v[8:9], 3, v[10:11]
	s_cbranch_vccnz .LBB59_13
; %bb.12:
	global_load_dwordx2 v[16:17], v[12:13], off
	s_waitcnt vmcnt(0)
	v_fmac_f64_e32 v[6:7], s[10:11], v[16:17]
.LBB59_13:
	global_store_dwordx2 v[12:13], v[6:7], off
.LBB59_14:
	s_or_b64 exec, exec, s[6:7]
	v_add_u32_e32 v6, 16, v8
	v_cmp_le_i32_e32 vcc, v6, v14
	s_and_b64 s[6:7], s[2:3], vcc
	v_ashrrev_i32_e32 v7, 31, v6
	s_and_saveexec_b64 s[2:3], s[6:7]
	s_cbranch_execz .LBB59_18
; %bb.15:
	v_mul_f64 v[4:5], s[12:13], v[4:5]
	s_and_b64 vcc, exec, s[0:1]
	v_lshl_add_u64 v[10:11], v[6:7], 3, v[10:11]
	s_cbranch_vccnz .LBB59_17
; %bb.16:
	global_load_dwordx2 v[12:13], v[10:11], off
	s_waitcnt vmcnt(0)
	v_fmac_f64_e32 v[4:5], s[10:11], v[12:13]
.LBB59_17:
	global_store_dwordx2 v[10:11], v[4:5], off
.LBB59_18:
	s_or_b64 exec, exec, s[2:3]
	v_add_u32_e32 v10, 16, v14
	v_cmp_gt_i32_e64 s[2:3], s20, v10
	v_mad_i64_i32 v[4:5], s[6:7], v10, s8, 0
	v_cmp_le_i32_e32 vcc, v8, v10
	v_lshl_add_u64 v[4:5], v[4:5], 3, s[4:5]
	s_and_b64 s[6:7], s[2:3], vcc
	s_and_saveexec_b64 s[4:5], s[6:7]
	s_cbranch_execz .LBB59_22
; %bb.19:
	v_mul_f64 v[2:3], s[12:13], v[2:3]
	s_and_b64 vcc, exec, s[0:1]
	v_lshl_add_u64 v[8:9], v[8:9], 3, v[4:5]
	s_cbranch_vccnz .LBB59_21
; %bb.20:
	global_load_dwordx2 v[12:13], v[8:9], off
	s_waitcnt vmcnt(0)
	v_fmac_f64_e32 v[2:3], s[10:11], v[12:13]
.LBB59_21:
	global_store_dwordx2 v[8:9], v[2:3], off
.LBB59_22:
	s_or_b64 exec, exec, s[4:5]
	v_cmp_le_i32_e32 vcc, v6, v10
	s_and_b64 s[2:3], s[2:3], vcc
	s_and_saveexec_b64 s[4:5], s[2:3]
	s_cbranch_execz .LBB59_26
; %bb.23:
	v_mul_f64 v[0:1], s[12:13], v[0:1]
	s_and_b64 vcc, exec, s[0:1]
	v_lshl_add_u64 v[2:3], v[6:7], 3, v[4:5]
	s_cbranch_vccnz .LBB59_25
; %bb.24:
	global_load_dwordx2 v[4:5], v[2:3], off
	s_waitcnt vmcnt(0)
	v_fmac_f64_e32 v[0:1], s[10:11], v[4:5]
.LBB59_25:
	global_store_dwordx2 v[2:3], v[0:1], off
.LBB59_26:
	s_endpgm
	.section	.rodata,"a",@progbits
	.p2align	6, 0x0
	.amdhsa_kernel _ZL29rocblas_internal_gemmt_kernelIiLi16ELi32ELi8ELc84ELc67ELc85ELb0ELb0EddPKdPdEviT_T9_T10_S3_lS5_S3_lS4_T11_S3_li
		.amdhsa_group_segment_fixed_size 4096
		.amdhsa_private_segment_fixed_size 0
		.amdhsa_kernarg_size 100
		.amdhsa_user_sgpr_count 2
		.amdhsa_user_sgpr_dispatch_ptr 0
		.amdhsa_user_sgpr_queue_ptr 0
		.amdhsa_user_sgpr_kernarg_segment_ptr 1
		.amdhsa_user_sgpr_dispatch_id 0
		.amdhsa_user_sgpr_kernarg_preload_length 0
		.amdhsa_user_sgpr_kernarg_preload_offset 0
		.amdhsa_user_sgpr_private_segment_size 0
		.amdhsa_uses_dynamic_stack 0
		.amdhsa_enable_private_segment 0
		.amdhsa_system_sgpr_workgroup_id_x 1
		.amdhsa_system_sgpr_workgroup_id_y 1
		.amdhsa_system_sgpr_workgroup_id_z 1
		.amdhsa_system_sgpr_workgroup_info 0
		.amdhsa_system_vgpr_workitem_id 1
		.amdhsa_next_free_vgpr 52
		.amdhsa_next_free_sgpr 28
		.amdhsa_accum_offset 52
		.amdhsa_reserve_vcc 1
		.amdhsa_float_round_mode_32 0
		.amdhsa_float_round_mode_16_64 0
		.amdhsa_float_denorm_mode_32 3
		.amdhsa_float_denorm_mode_16_64 3
		.amdhsa_dx10_clamp 1
		.amdhsa_ieee_mode 1
		.amdhsa_fp16_overflow 0
		.amdhsa_tg_split 0
		.amdhsa_exception_fp_ieee_invalid_op 0
		.amdhsa_exception_fp_denorm_src 0
		.amdhsa_exception_fp_ieee_div_zero 0
		.amdhsa_exception_fp_ieee_overflow 0
		.amdhsa_exception_fp_ieee_underflow 0
		.amdhsa_exception_fp_ieee_inexact 0
		.amdhsa_exception_int_div_zero 0
	.end_amdhsa_kernel
	.section	.text._ZL29rocblas_internal_gemmt_kernelIiLi16ELi32ELi8ELc84ELc67ELc85ELb0ELb0EddPKdPdEviT_T9_T10_S3_lS5_S3_lS4_T11_S3_li,"axG",@progbits,_ZL29rocblas_internal_gemmt_kernelIiLi16ELi32ELi8ELc84ELc67ELc85ELb0ELb0EddPKdPdEviT_T9_T10_S3_lS5_S3_lS4_T11_S3_li,comdat
.Lfunc_end59:
	.size	_ZL29rocblas_internal_gemmt_kernelIiLi16ELi32ELi8ELc84ELc67ELc85ELb0ELb0EddPKdPdEviT_T9_T10_S3_lS5_S3_lS4_T11_S3_li, .Lfunc_end59-_ZL29rocblas_internal_gemmt_kernelIiLi16ELi32ELi8ELc84ELc67ELc85ELb0ELb0EddPKdPdEviT_T9_T10_S3_lS5_S3_lS4_T11_S3_li
                                        ; -- End function
	.set _ZL29rocblas_internal_gemmt_kernelIiLi16ELi32ELi8ELc84ELc67ELc85ELb0ELb0EddPKdPdEviT_T9_T10_S3_lS5_S3_lS4_T11_S3_li.num_vgpr, 52
	.set _ZL29rocblas_internal_gemmt_kernelIiLi16ELi32ELi8ELc84ELc67ELc85ELb0ELb0EddPKdPdEviT_T9_T10_S3_lS5_S3_lS4_T11_S3_li.num_agpr, 0
	.set _ZL29rocblas_internal_gemmt_kernelIiLi16ELi32ELi8ELc84ELc67ELc85ELb0ELb0EddPKdPdEviT_T9_T10_S3_lS5_S3_lS4_T11_S3_li.numbered_sgpr, 28
	.set _ZL29rocblas_internal_gemmt_kernelIiLi16ELi32ELi8ELc84ELc67ELc85ELb0ELb0EddPKdPdEviT_T9_T10_S3_lS5_S3_lS4_T11_S3_li.num_named_barrier, 0
	.set _ZL29rocblas_internal_gemmt_kernelIiLi16ELi32ELi8ELc84ELc67ELc85ELb0ELb0EddPKdPdEviT_T9_T10_S3_lS5_S3_lS4_T11_S3_li.private_seg_size, 0
	.set _ZL29rocblas_internal_gemmt_kernelIiLi16ELi32ELi8ELc84ELc67ELc85ELb0ELb0EddPKdPdEviT_T9_T10_S3_lS5_S3_lS4_T11_S3_li.uses_vcc, 1
	.set _ZL29rocblas_internal_gemmt_kernelIiLi16ELi32ELi8ELc84ELc67ELc85ELb0ELb0EddPKdPdEviT_T9_T10_S3_lS5_S3_lS4_T11_S3_li.uses_flat_scratch, 0
	.set _ZL29rocblas_internal_gemmt_kernelIiLi16ELi32ELi8ELc84ELc67ELc85ELb0ELb0EddPKdPdEviT_T9_T10_S3_lS5_S3_lS4_T11_S3_li.has_dyn_sized_stack, 0
	.set _ZL29rocblas_internal_gemmt_kernelIiLi16ELi32ELi8ELc84ELc67ELc85ELb0ELb0EddPKdPdEviT_T9_T10_S3_lS5_S3_lS4_T11_S3_li.has_recursion, 0
	.set _ZL29rocblas_internal_gemmt_kernelIiLi16ELi32ELi8ELc84ELc67ELc85ELb0ELb0EddPKdPdEviT_T9_T10_S3_lS5_S3_lS4_T11_S3_li.has_indirect_call, 0
	.section	.AMDGPU.csdata,"",@progbits
; Kernel info:
; codeLenInByte = 1288
; TotalNumSgprs: 34
; NumVgprs: 52
; NumAgprs: 0
; TotalNumVgprs: 52
; ScratchSize: 0
; MemoryBound: 0
; FloatMode: 240
; IeeeMode: 1
; LDSByteSize: 4096 bytes/workgroup (compile time only)
; SGPRBlocks: 4
; VGPRBlocks: 6
; NumSGPRsForWavesPerEU: 34
; NumVGPRsForWavesPerEU: 52
; AccumOffset: 52
; Occupancy: 8
; WaveLimiterHint : 0
; COMPUTE_PGM_RSRC2:SCRATCH_EN: 0
; COMPUTE_PGM_RSRC2:USER_SGPR: 2
; COMPUTE_PGM_RSRC2:TRAP_HANDLER: 0
; COMPUTE_PGM_RSRC2:TGID_X_EN: 1
; COMPUTE_PGM_RSRC2:TGID_Y_EN: 1
; COMPUTE_PGM_RSRC2:TGID_Z_EN: 1
; COMPUTE_PGM_RSRC2:TIDIG_COMP_CNT: 1
; COMPUTE_PGM_RSRC3_GFX90A:ACCUM_OFFSET: 12
; COMPUTE_PGM_RSRC3_GFX90A:TG_SPLIT: 0
	.section	.text._ZL29rocblas_internal_gemmt_kernelIiLi16ELi32ELi8ELc67ELc78ELc85ELb0ELb0EddPKdPdEviT_T9_T10_S3_lS5_S3_lS4_T11_S3_li,"axG",@progbits,_ZL29rocblas_internal_gemmt_kernelIiLi16ELi32ELi8ELc67ELc78ELc85ELb0ELb0EddPKdPdEviT_T9_T10_S3_lS5_S3_lS4_T11_S3_li,comdat
	.globl	_ZL29rocblas_internal_gemmt_kernelIiLi16ELi32ELi8ELc67ELc78ELc85ELb0ELb0EddPKdPdEviT_T9_T10_S3_lS5_S3_lS4_T11_S3_li ; -- Begin function _ZL29rocblas_internal_gemmt_kernelIiLi16ELi32ELi8ELc67ELc78ELc85ELb0ELb0EddPKdPdEviT_T9_T10_S3_lS5_S3_lS4_T11_S3_li
	.p2align	8
	.type	_ZL29rocblas_internal_gemmt_kernelIiLi16ELi32ELi8ELc67ELc78ELc85ELb0ELb0EddPKdPdEviT_T9_T10_S3_lS5_S3_lS4_T11_S3_li,@function
_ZL29rocblas_internal_gemmt_kernelIiLi16ELi32ELi8ELc67ELc78ELc85ELb0ELb0EddPKdPdEviT_T9_T10_S3_lS5_S3_lS4_T11_S3_li: ; @_ZL29rocblas_internal_gemmt_kernelIiLi16ELi32ELi8ELc67ELc78ELc85ELb0ELb0EddPKdPdEviT_T9_T10_S3_lS5_S3_lS4_T11_S3_li
; %bb.0:
	s_load_dwordx4 s[8:11], s[0:1], 0x38
	s_load_dwordx2 s[20:21], s[0:1], 0x0
	s_load_dwordx4 s[12:15], s[0:1], 0x8
	s_waitcnt lgkmcnt(0)
	v_cmp_neq_f64_e64 s[6:7], s[10:11], 1.0
	s_and_b64 vcc, exec, s[6:7]
	s_cbranch_vccnz .LBB60_2
; %bb.1:
	s_cmp_lg_u32 s21, 0
	s_cselect_b64 s[6:7], -1, 0
	v_cmp_neq_f64_e64 s[16:17], s[12:13], 0
	s_and_b64 s[6:7], s[6:7], s[16:17]
.LBB60_2:
	s_andn2_b64 vcc, exec, s[6:7]
	s_cbranch_vccnz .LBB60_26
; %bb.3:
	s_load_dwordx2 s[22:23], s[0:1], 0x48
	s_lshl_b32 s5, s2, 5
	s_lshl_b32 s24, s3, 5
	s_cmp_lt_i32 s21, 1
	v_cmp_eq_f64_e64 s[2:3], s[12:13], 0
	s_cselect_b64 s[6:7], -1, 0
	s_or_b64 s[2:3], s[2:3], s[6:7]
	v_and_b32_e32 v13, 0x3ff, v0
	v_bfe_u32 v12, v0, 10, 10
	s_mov_b32 s25, 0
	v_mov_b64_e32 v[6:7], 0
	s_and_b64 vcc, exec, s[2:3]
	v_mov_b64_e32 v[4:5], 0
	v_mov_b64_e32 v[2:3], 0
	;; [unrolled: 1-line block ×3, first 2 shown]
	s_cbranch_vccnz .LBB60_10
; %bb.4:
	v_lshl_add_u32 v0, v12, 4, v13
	v_and_b32_e32 v2, 31, v0
	v_lshrrev_b32_e32 v15, 5, v0
	v_lshrrev_b32_e32 v1, 3, v0
	v_or_b32_e32 v0, s5, v2
	v_and_b32_e32 v14, 7, v13
	v_cmp_gt_i32_e32 vcc, s20, v0
	v_lshlrev_b32_e32 v0, 3, v2
	v_lshl_or_b32 v16, v15, 8, v0
	v_lshlrev_b32_e32 v0, 3, v14
	s_load_dword s6, s[0:1], 0x18
	s_load_dwordx4 s[16:19], s[0:1], 0x20
	s_load_dword s26, s[0:1], 0x30
	v_add_u32_e32 v6, s24, v1
	v_lshl_or_b32 v1, v1, 6, v0
	v_add_u32_e32 v17, 0x800, v1
	v_mov_b32_e32 v1, 0x800
	v_lshl_add_u32 v19, v12, 6, v1
	v_add_u32_e32 v1, s5, v2
	s_waitcnt lgkmcnt(0)
	v_mad_i64_i32 v[2:3], s[6:7], s6, v1, 0
	s_mul_i32 s6, s17, s4
	s_mul_hi_u32 s7, s16, s4
	s_add_i32 s7, s7, s6
	s_mul_i32 s6, s16, s4
	s_lshl_b64 s[6:7], s[6:7], 3
	v_lshl_add_u64 v[2:3], v[2:3], 3, s[6:7]
	v_lshlrev_b32_e32 v4, 3, v15
	v_mov_b32_e32 v5, 0
	v_lshl_add_u64 v[2:3], v[2:3], 0, v[4:5]
	v_lshl_add_u64 v[8:9], s[14:15], 0, v[2:3]
	v_mad_i64_i32 v[2:3], s[6:7], s26, v6, 0
	s_mul_i32 s6, s9, s4
	s_mul_hi_u32 s7, s8, s4
	s_add_i32 s7, s7, s6
	s_mul_i32 s6, s8, s4
	s_lshl_b64 s[6:7], s[6:7], 3
	v_lshl_add_u64 v[2:3], v[2:3], 3, s[6:7]
	v_mov_b32_e32 v1, v5
	v_lshl_add_u64 v[0:1], v[2:3], 0, v[0:1]
	v_cmp_gt_i32_e64 s[2:3], s20, v6
	v_lshlrev_b32_e32 v18, 3, v13
	v_lshl_add_u64 v[10:11], s[18:19], 0, v[0:1]
	v_mov_b64_e32 v[0:1], 0
	v_mov_b64_e32 v[2:3], 0
	;; [unrolled: 1-line block ×4, first 2 shown]
	s_branch .LBB60_6
.LBB60_5:                               ;   in Loop: Header=BB60_6 Depth=1
	s_or_b64 exec, exec, s[6:7]
	s_waitcnt vmcnt(0)
	ds_write_b64 v17, v[20:21]
	s_waitcnt lgkmcnt(0)
	s_barrier
	ds_read2_b64 v[20:23], v18 offset1:16
	ds_read_b128 v[24:27], v19
	ds_read_b128 v[28:31], v19 offset:16
	ds_read_b128 v[32:35], v19 offset:32
	;; [unrolled: 1-line block ×4, first 2 shown]
	ds_read2_b64 v[44:47], v18 offset0:32 offset1:48
	s_waitcnt lgkmcnt(5)
	v_fmac_f64_e32 v[6:7], v[20:21], v[24:25]
	v_fmac_f64_e32 v[4:5], v[22:23], v[24:25]
	ds_read_b128 v[48:51], v19 offset:1040
	s_waitcnt lgkmcnt(2)
	v_fmac_f64_e32 v[2:3], v[20:21], v[40:41]
	v_fmac_f64_e32 v[0:1], v[22:23], v[40:41]
	ds_read2_b64 v[20:23], v18 offset0:64 offset1:80
	s_waitcnt lgkmcnt(2)
	v_fmac_f64_e32 v[6:7], v[44:45], v[26:27]
	v_fmac_f64_e32 v[4:5], v[46:47], v[26:27]
	ds_read2_b64 v[24:27], v18 offset0:96 offset1:112
	v_fmac_f64_e32 v[2:3], v[44:45], v[42:43]
	v_fmac_f64_e32 v[0:1], v[46:47], v[42:43]
	s_waitcnt lgkmcnt(1)
	v_fmac_f64_e32 v[6:7], v[20:21], v[28:29]
	v_fmac_f64_e32 v[4:5], v[22:23], v[28:29]
	ds_read_b128 v[40:43], v19 offset:1072
	v_fmac_f64_e32 v[2:3], v[20:21], v[48:49]
	v_fmac_f64_e32 v[0:1], v[22:23], v[48:49]
	s_waitcnt lgkmcnt(1)
	v_fmac_f64_e32 v[6:7], v[24:25], v[30:31]
	ds_read2_b64 v[20:23], v18 offset0:128 offset1:144
	v_fmac_f64_e32 v[4:5], v[26:27], v[30:31]
	v_fmac_f64_e32 v[2:3], v[24:25], v[50:51]
	;; [unrolled: 1-line block ×3, first 2 shown]
	ds_read_b128 v[24:27], v19 offset:1056
	ds_read2_b64 v[28:31], v18 offset0:160 offset1:176
	s_waitcnt lgkmcnt(2)
	v_fmac_f64_e32 v[6:7], v[20:21], v[32:33]
	v_fmac_f64_e32 v[4:5], v[22:23], v[32:33]
	s_add_i32 s25, s25, 8
	s_waitcnt lgkmcnt(1)
	v_fmac_f64_e32 v[2:3], v[20:21], v[24:25]
	v_fmac_f64_e32 v[0:1], v[22:23], v[24:25]
	ds_read2_b64 v[20:23], v18 offset0:192 offset1:208
	s_waitcnt lgkmcnt(1)
	v_fmac_f64_e32 v[2:3], v[28:29], v[26:27]
	v_fmac_f64_e32 v[0:1], v[30:31], v[26:27]
	ds_read2_b64 v[24:27], v18 offset0:224 offset1:240
	v_fmac_f64_e32 v[6:7], v[28:29], v[34:35]
	v_fmac_f64_e32 v[4:5], v[30:31], v[34:35]
	s_waitcnt lgkmcnt(1)
	v_fmac_f64_e32 v[6:7], v[20:21], v[36:37]
	v_fmac_f64_e32 v[4:5], v[22:23], v[36:37]
	;; [unrolled: 1-line block ×4, first 2 shown]
	s_waitcnt lgkmcnt(0)
	v_fmac_f64_e32 v[6:7], v[24:25], v[38:39]
	v_fmac_f64_e32 v[4:5], v[26:27], v[38:39]
	;; [unrolled: 1-line block ×4, first 2 shown]
	v_lshl_add_u64 v[8:9], v[8:9], 0, 64
	s_cmp_lt_i32 s25, s21
	v_lshl_add_u64 v[10:11], v[10:11], 0, 64
	s_barrier
	s_cbranch_scc0 .LBB60_10
.LBB60_6:                               ; =>This Inner Loop Header: Depth=1
	v_add_u32_e32 v20, s25, v15
	v_cmp_gt_i32_e64 s[6:7], s21, v20
	s_and_b64 s[8:9], vcc, s[6:7]
	v_mov_b64_e32 v[20:21], 0
	s_and_saveexec_b64 s[6:7], s[8:9]
	s_cbranch_execz .LBB60_8
; %bb.7:                                ;   in Loop: Header=BB60_6 Depth=1
	global_load_dwordx2 v[20:21], v[8:9], off
.LBB60_8:                               ;   in Loop: Header=BB60_6 Depth=1
	s_or_b64 exec, exec, s[6:7]
	s_waitcnt vmcnt(0)
	ds_write_b64 v16, v[20:21]
	v_add_u32_e32 v20, s25, v14
	v_cmp_gt_i32_e64 s[6:7], s21, v20
	s_and_b64 s[8:9], s[6:7], s[2:3]
	v_mov_b64_e32 v[20:21], 0
	s_and_saveexec_b64 s[6:7], s[8:9]
	s_cbranch_execz .LBB60_5
; %bb.9:                                ;   in Loop: Header=BB60_6 Depth=1
	global_load_dwordx2 v[20:21], v[10:11], off
	s_branch .LBB60_5
.LBB60_10:
	s_load_dwordx2 s[2:3], s[0:1], 0x58
	s_load_dword s8, s[0:1], 0x50
	v_add_u32_e32 v14, s24, v12
	v_add_u32_e32 v8, s5, v13
	v_cmp_le_i32_e32 vcc, v8, v14
	s_waitcnt lgkmcnt(0)
	s_mul_i32 s1, s3, s4
	s_mul_hi_u32 s3, s2, s4
	s_mul_i32 s0, s2, s4
	s_add_i32 s1, s3, s1
	s_lshl_b64 s[0:1], s[0:1], 3
	s_add_u32 s4, s22, s0
	s_addc_u32 s5, s23, s1
	v_mad_i64_i32 v[10:11], s[0:1], v14, s8, 0
	v_cmp_neq_f64_e64 s[0:1], s[10:11], 0
	v_cmp_gt_i32_e64 s[2:3], s20, v14
	v_lshl_add_u64 v[10:11], v[10:11], 3, s[4:5]
	v_cndmask_b32_e64 v12, 0, 1, s[0:1]
	s_and_b64 s[14:15], s[2:3], vcc
	v_ashrrev_i32_e32 v9, 31, v8
	v_cmp_ne_u32_e64 s[0:1], 1, v12
	s_and_saveexec_b64 s[6:7], s[14:15]
	s_cbranch_execz .LBB60_14
; %bb.11:
	v_mul_f64 v[6:7], s[12:13], v[6:7]
	s_and_b64 vcc, exec, s[0:1]
	v_lshl_add_u64 v[12:13], v[8:9], 3, v[10:11]
	s_cbranch_vccnz .LBB60_13
; %bb.12:
	global_load_dwordx2 v[16:17], v[12:13], off
	s_waitcnt vmcnt(0)
	v_fmac_f64_e32 v[6:7], s[10:11], v[16:17]
.LBB60_13:
	global_store_dwordx2 v[12:13], v[6:7], off
.LBB60_14:
	s_or_b64 exec, exec, s[6:7]
	v_add_u32_e32 v6, 16, v8
	v_cmp_le_i32_e32 vcc, v6, v14
	s_and_b64 s[6:7], s[2:3], vcc
	v_ashrrev_i32_e32 v7, 31, v6
	s_and_saveexec_b64 s[2:3], s[6:7]
	s_cbranch_execz .LBB60_18
; %bb.15:
	v_mul_f64 v[4:5], s[12:13], v[4:5]
	s_and_b64 vcc, exec, s[0:1]
	v_lshl_add_u64 v[10:11], v[6:7], 3, v[10:11]
	s_cbranch_vccnz .LBB60_17
; %bb.16:
	global_load_dwordx2 v[12:13], v[10:11], off
	s_waitcnt vmcnt(0)
	v_fmac_f64_e32 v[4:5], s[10:11], v[12:13]
.LBB60_17:
	global_store_dwordx2 v[10:11], v[4:5], off
.LBB60_18:
	s_or_b64 exec, exec, s[2:3]
	v_add_u32_e32 v10, 16, v14
	v_cmp_gt_i32_e64 s[2:3], s20, v10
	v_mad_i64_i32 v[4:5], s[6:7], v10, s8, 0
	v_cmp_le_i32_e32 vcc, v8, v10
	v_lshl_add_u64 v[4:5], v[4:5], 3, s[4:5]
	s_and_b64 s[6:7], s[2:3], vcc
	s_and_saveexec_b64 s[4:5], s[6:7]
	s_cbranch_execz .LBB60_22
; %bb.19:
	v_mul_f64 v[2:3], s[12:13], v[2:3]
	s_and_b64 vcc, exec, s[0:1]
	v_lshl_add_u64 v[8:9], v[8:9], 3, v[4:5]
	s_cbranch_vccnz .LBB60_21
; %bb.20:
	global_load_dwordx2 v[12:13], v[8:9], off
	s_waitcnt vmcnt(0)
	v_fmac_f64_e32 v[2:3], s[10:11], v[12:13]
.LBB60_21:
	global_store_dwordx2 v[8:9], v[2:3], off
.LBB60_22:
	s_or_b64 exec, exec, s[4:5]
	v_cmp_le_i32_e32 vcc, v6, v10
	s_and_b64 s[2:3], s[2:3], vcc
	s_and_saveexec_b64 s[4:5], s[2:3]
	s_cbranch_execz .LBB60_26
; %bb.23:
	v_mul_f64 v[0:1], s[12:13], v[0:1]
	s_and_b64 vcc, exec, s[0:1]
	v_lshl_add_u64 v[2:3], v[6:7], 3, v[4:5]
	s_cbranch_vccnz .LBB60_25
; %bb.24:
	global_load_dwordx2 v[4:5], v[2:3], off
	s_waitcnt vmcnt(0)
	v_fmac_f64_e32 v[0:1], s[10:11], v[4:5]
.LBB60_25:
	global_store_dwordx2 v[2:3], v[0:1], off
.LBB60_26:
	s_endpgm
	.section	.rodata,"a",@progbits
	.p2align	6, 0x0
	.amdhsa_kernel _ZL29rocblas_internal_gemmt_kernelIiLi16ELi32ELi8ELc67ELc78ELc85ELb0ELb0EddPKdPdEviT_T9_T10_S3_lS5_S3_lS4_T11_S3_li
		.amdhsa_group_segment_fixed_size 4096
		.amdhsa_private_segment_fixed_size 0
		.amdhsa_kernarg_size 100
		.amdhsa_user_sgpr_count 2
		.amdhsa_user_sgpr_dispatch_ptr 0
		.amdhsa_user_sgpr_queue_ptr 0
		.amdhsa_user_sgpr_kernarg_segment_ptr 1
		.amdhsa_user_sgpr_dispatch_id 0
		.amdhsa_user_sgpr_kernarg_preload_length 0
		.amdhsa_user_sgpr_kernarg_preload_offset 0
		.amdhsa_user_sgpr_private_segment_size 0
		.amdhsa_uses_dynamic_stack 0
		.amdhsa_enable_private_segment 0
		.amdhsa_system_sgpr_workgroup_id_x 1
		.amdhsa_system_sgpr_workgroup_id_y 1
		.amdhsa_system_sgpr_workgroup_id_z 1
		.amdhsa_system_sgpr_workgroup_info 0
		.amdhsa_system_vgpr_workitem_id 1
		.amdhsa_next_free_vgpr 52
		.amdhsa_next_free_sgpr 27
		.amdhsa_accum_offset 52
		.amdhsa_reserve_vcc 1
		.amdhsa_float_round_mode_32 0
		.amdhsa_float_round_mode_16_64 0
		.amdhsa_float_denorm_mode_32 3
		.amdhsa_float_denorm_mode_16_64 3
		.amdhsa_dx10_clamp 1
		.amdhsa_ieee_mode 1
		.amdhsa_fp16_overflow 0
		.amdhsa_tg_split 0
		.amdhsa_exception_fp_ieee_invalid_op 0
		.amdhsa_exception_fp_denorm_src 0
		.amdhsa_exception_fp_ieee_div_zero 0
		.amdhsa_exception_fp_ieee_overflow 0
		.amdhsa_exception_fp_ieee_underflow 0
		.amdhsa_exception_fp_ieee_inexact 0
		.amdhsa_exception_int_div_zero 0
	.end_amdhsa_kernel
	.section	.text._ZL29rocblas_internal_gemmt_kernelIiLi16ELi32ELi8ELc67ELc78ELc85ELb0ELb0EddPKdPdEviT_T9_T10_S3_lS5_S3_lS4_T11_S3_li,"axG",@progbits,_ZL29rocblas_internal_gemmt_kernelIiLi16ELi32ELi8ELc67ELc78ELc85ELb0ELb0EddPKdPdEviT_T9_T10_S3_lS5_S3_lS4_T11_S3_li,comdat
.Lfunc_end60:
	.size	_ZL29rocblas_internal_gemmt_kernelIiLi16ELi32ELi8ELc67ELc78ELc85ELb0ELb0EddPKdPdEviT_T9_T10_S3_lS5_S3_lS4_T11_S3_li, .Lfunc_end60-_ZL29rocblas_internal_gemmt_kernelIiLi16ELi32ELi8ELc67ELc78ELc85ELb0ELb0EddPKdPdEviT_T9_T10_S3_lS5_S3_lS4_T11_S3_li
                                        ; -- End function
	.set _ZL29rocblas_internal_gemmt_kernelIiLi16ELi32ELi8ELc67ELc78ELc85ELb0ELb0EddPKdPdEviT_T9_T10_S3_lS5_S3_lS4_T11_S3_li.num_vgpr, 52
	.set _ZL29rocblas_internal_gemmt_kernelIiLi16ELi32ELi8ELc67ELc78ELc85ELb0ELb0EddPKdPdEviT_T9_T10_S3_lS5_S3_lS4_T11_S3_li.num_agpr, 0
	.set _ZL29rocblas_internal_gemmt_kernelIiLi16ELi32ELi8ELc67ELc78ELc85ELb0ELb0EddPKdPdEviT_T9_T10_S3_lS5_S3_lS4_T11_S3_li.numbered_sgpr, 27
	.set _ZL29rocblas_internal_gemmt_kernelIiLi16ELi32ELi8ELc67ELc78ELc85ELb0ELb0EddPKdPdEviT_T9_T10_S3_lS5_S3_lS4_T11_S3_li.num_named_barrier, 0
	.set _ZL29rocblas_internal_gemmt_kernelIiLi16ELi32ELi8ELc67ELc78ELc85ELb0ELb0EddPKdPdEviT_T9_T10_S3_lS5_S3_lS4_T11_S3_li.private_seg_size, 0
	.set _ZL29rocblas_internal_gemmt_kernelIiLi16ELi32ELi8ELc67ELc78ELc85ELb0ELb0EddPKdPdEviT_T9_T10_S3_lS5_S3_lS4_T11_S3_li.uses_vcc, 1
	.set _ZL29rocblas_internal_gemmt_kernelIiLi16ELi32ELi8ELc67ELc78ELc85ELb0ELb0EddPKdPdEviT_T9_T10_S3_lS5_S3_lS4_T11_S3_li.uses_flat_scratch, 0
	.set _ZL29rocblas_internal_gemmt_kernelIiLi16ELi32ELi8ELc67ELc78ELc85ELb0ELb0EddPKdPdEviT_T9_T10_S3_lS5_S3_lS4_T11_S3_li.has_dyn_sized_stack, 0
	.set _ZL29rocblas_internal_gemmt_kernelIiLi16ELi32ELi8ELc67ELc78ELc85ELb0ELb0EddPKdPdEviT_T9_T10_S3_lS5_S3_lS4_T11_S3_li.has_recursion, 0
	.set _ZL29rocblas_internal_gemmt_kernelIiLi16ELi32ELi8ELc67ELc78ELc85ELb0ELb0EddPKdPdEviT_T9_T10_S3_lS5_S3_lS4_T11_S3_li.has_indirect_call, 0
	.section	.AMDGPU.csdata,"",@progbits
; Kernel info:
; codeLenInByte = 1276
; TotalNumSgprs: 33
; NumVgprs: 52
; NumAgprs: 0
; TotalNumVgprs: 52
; ScratchSize: 0
; MemoryBound: 0
; FloatMode: 240
; IeeeMode: 1
; LDSByteSize: 4096 bytes/workgroup (compile time only)
; SGPRBlocks: 4
; VGPRBlocks: 6
; NumSGPRsForWavesPerEU: 33
; NumVGPRsForWavesPerEU: 52
; AccumOffset: 52
; Occupancy: 8
; WaveLimiterHint : 0
; COMPUTE_PGM_RSRC2:SCRATCH_EN: 0
; COMPUTE_PGM_RSRC2:USER_SGPR: 2
; COMPUTE_PGM_RSRC2:TRAP_HANDLER: 0
; COMPUTE_PGM_RSRC2:TGID_X_EN: 1
; COMPUTE_PGM_RSRC2:TGID_Y_EN: 1
; COMPUTE_PGM_RSRC2:TGID_Z_EN: 1
; COMPUTE_PGM_RSRC2:TIDIG_COMP_CNT: 1
; COMPUTE_PGM_RSRC3_GFX90A:ACCUM_OFFSET: 12
; COMPUTE_PGM_RSRC3_GFX90A:TG_SPLIT: 0
	.section	.text._ZL29rocblas_internal_gemmt_kernelIiLi16ELi32ELi8ELc67ELc84ELc85ELb0ELb0EddPKdPdEviT_T9_T10_S3_lS5_S3_lS4_T11_S3_li,"axG",@progbits,_ZL29rocblas_internal_gemmt_kernelIiLi16ELi32ELi8ELc67ELc84ELc85ELb0ELb0EddPKdPdEviT_T9_T10_S3_lS5_S3_lS4_T11_S3_li,comdat
	.globl	_ZL29rocblas_internal_gemmt_kernelIiLi16ELi32ELi8ELc67ELc84ELc85ELb0ELb0EddPKdPdEviT_T9_T10_S3_lS5_S3_lS4_T11_S3_li ; -- Begin function _ZL29rocblas_internal_gemmt_kernelIiLi16ELi32ELi8ELc67ELc84ELc85ELb0ELb0EddPKdPdEviT_T9_T10_S3_lS5_S3_lS4_T11_S3_li
	.p2align	8
	.type	_ZL29rocblas_internal_gemmt_kernelIiLi16ELi32ELi8ELc67ELc84ELc85ELb0ELb0EddPKdPdEviT_T9_T10_S3_lS5_S3_lS4_T11_S3_li,@function
_ZL29rocblas_internal_gemmt_kernelIiLi16ELi32ELi8ELc67ELc84ELc85ELb0ELb0EddPKdPdEviT_T9_T10_S3_lS5_S3_lS4_T11_S3_li: ; @_ZL29rocblas_internal_gemmt_kernelIiLi16ELi32ELi8ELc67ELc84ELc85ELb0ELb0EddPKdPdEviT_T9_T10_S3_lS5_S3_lS4_T11_S3_li
; %bb.0:
	s_load_dwordx4 s[8:11], s[0:1], 0x38
	s_load_dwordx2 s[20:21], s[0:1], 0x0
	s_load_dwordx4 s[12:15], s[0:1], 0x8
	s_waitcnt lgkmcnt(0)
	v_cmp_neq_f64_e64 s[6:7], s[10:11], 1.0
	s_and_b64 vcc, exec, s[6:7]
	s_cbranch_vccnz .LBB61_2
; %bb.1:
	s_cmp_lg_u32 s21, 0
	s_cselect_b64 s[6:7], -1, 0
	v_cmp_neq_f64_e64 s[16:17], s[12:13], 0
	s_and_b64 s[6:7], s[6:7], s[16:17]
.LBB61_2:
	s_andn2_b64 vcc, exec, s[6:7]
	s_cbranch_vccnz .LBB61_26
; %bb.3:
	s_load_dwordx2 s[22:23], s[0:1], 0x48
	s_lshl_b32 s5, s2, 5
	s_lshl_b32 s24, s3, 5
	s_cmp_lt_i32 s21, 1
	v_cmp_eq_f64_e64 s[2:3], s[12:13], 0
	s_cselect_b64 s[6:7], -1, 0
	s_or_b64 s[2:3], s[2:3], s[6:7]
	v_and_b32_e32 v13, 0x3ff, v0
	v_bfe_u32 v12, v0, 10, 10
	s_mov_b32 s25, 0
	v_mov_b64_e32 v[6:7], 0
	s_and_b64 vcc, exec, s[2:3]
	v_mov_b64_e32 v[4:5], 0
	v_mov_b64_e32 v[2:3], 0
	;; [unrolled: 1-line block ×3, first 2 shown]
	s_cbranch_vccnz .LBB61_10
; %bb.4:
	v_lshl_add_u32 v1, v12, 4, v13
	v_and_b32_e32 v3, 31, v1
	v_lshrrev_b32_e32 v15, 5, v1
	v_lshrrev_b32_e32 v2, 3, v1
	v_or_b32_e32 v1, s5, v3
	s_load_dword s26, s[0:1], 0x18
	s_load_dword s6, s[0:1], 0x30
	s_load_dwordx4 s[16:19], s[0:1], 0x20
	v_and_b32_e32 v14, 7, v13
	v_cmp_gt_i32_e32 vcc, s20, v1
	v_lshlrev_b32_e32 v1, 3, v3
	v_lshl_or_b32 v16, v15, 8, v1
	v_lshlrev_b32_e32 v1, 3, v14
	v_add_u32_e32 v0, s24, v2
	v_lshl_or_b32 v1, v2, 6, v1
	v_mov_b32_e32 v2, 0x800
	v_lshl_add_u32 v19, v12, 6, v2
	v_add_u32_e32 v2, s5, v3
	s_waitcnt lgkmcnt(0)
	v_mad_i64_i32 v[2:3], s[26:27], s26, v2, 0
	s_mul_i32 s17, s17, s4
	s_mul_hi_u32 s26, s16, s4
	s_add_i32 s17, s26, s17
	s_mul_i32 s16, s16, s4
	s_lshl_b64 s[16:17], s[16:17], 3
	v_lshl_add_u64 v[2:3], v[2:3], 3, s[16:17]
	v_lshlrev_b32_e32 v4, 3, v15
	v_mov_b32_e32 v5, 0
	v_lshl_add_u64 v[2:3], v[2:3], 0, v[4:5]
	v_lshl_add_u64 v[8:9], s[14:15], 0, v[2:3]
	s_mul_i32 s9, s9, s4
	s_mul_hi_u32 s14, s8, s4
	s_add_i32 s9, s14, s9
	v_mad_i64_i32 v[2:3], s[14:15], s6, v14, 0
	s_mul_i32 s8, s8, s4
	v_lshlrev_b64 v[2:3], 3, v[2:3]
	v_add_u32_e32 v17, 0x800, v1
	v_ashrrev_i32_e32 v1, 31, v0
	v_lshl_add_u64 v[2:3], s[8:9], 3, v[2:3]
	s_ashr_i32 s7, s6, 31
	v_cmp_gt_i32_e64 s[2:3], s20, v0
	v_lshl_add_u64 v[0:1], v[0:1], 3, v[2:3]
	v_lshlrev_b32_e32 v18, 3, v13
	v_lshl_add_u64 v[10:11], s[18:19], 0, v[0:1]
	s_lshl_b64 s[8:9], s[6:7], 6
	v_mov_b64_e32 v[0:1], 0
	v_mov_b64_e32 v[2:3], 0
	;; [unrolled: 1-line block ×4, first 2 shown]
	s_branch .LBB61_6
.LBB61_5:                               ;   in Loop: Header=BB61_6 Depth=1
	s_or_b64 exec, exec, s[6:7]
	s_waitcnt vmcnt(0)
	ds_write_b64 v17, v[20:21]
	s_waitcnt lgkmcnt(0)
	s_barrier
	ds_read2_b64 v[20:23], v18 offset1:16
	ds_read_b128 v[24:27], v19
	ds_read_b128 v[28:31], v19 offset:16
	ds_read_b128 v[32:35], v19 offset:32
	;; [unrolled: 1-line block ×4, first 2 shown]
	ds_read2_b64 v[44:47], v18 offset0:32 offset1:48
	s_waitcnt lgkmcnt(5)
	v_fmac_f64_e32 v[6:7], v[20:21], v[24:25]
	v_fmac_f64_e32 v[4:5], v[22:23], v[24:25]
	ds_read_b128 v[48:51], v19 offset:1040
	s_waitcnt lgkmcnt(2)
	v_fmac_f64_e32 v[2:3], v[20:21], v[40:41]
	v_fmac_f64_e32 v[0:1], v[22:23], v[40:41]
	ds_read2_b64 v[20:23], v18 offset0:64 offset1:80
	s_waitcnt lgkmcnt(2)
	v_fmac_f64_e32 v[6:7], v[44:45], v[26:27]
	v_fmac_f64_e32 v[4:5], v[46:47], v[26:27]
	ds_read2_b64 v[24:27], v18 offset0:96 offset1:112
	v_fmac_f64_e32 v[2:3], v[44:45], v[42:43]
	v_fmac_f64_e32 v[0:1], v[46:47], v[42:43]
	s_waitcnt lgkmcnt(1)
	v_fmac_f64_e32 v[6:7], v[20:21], v[28:29]
	v_fmac_f64_e32 v[4:5], v[22:23], v[28:29]
	ds_read_b128 v[40:43], v19 offset:1072
	v_fmac_f64_e32 v[2:3], v[20:21], v[48:49]
	v_fmac_f64_e32 v[0:1], v[22:23], v[48:49]
	s_waitcnt lgkmcnt(1)
	v_fmac_f64_e32 v[6:7], v[24:25], v[30:31]
	ds_read2_b64 v[20:23], v18 offset0:128 offset1:144
	v_fmac_f64_e32 v[4:5], v[26:27], v[30:31]
	v_fmac_f64_e32 v[2:3], v[24:25], v[50:51]
	;; [unrolled: 1-line block ×3, first 2 shown]
	ds_read_b128 v[24:27], v19 offset:1056
	ds_read2_b64 v[28:31], v18 offset0:160 offset1:176
	s_waitcnt lgkmcnt(2)
	v_fmac_f64_e32 v[6:7], v[20:21], v[32:33]
	v_fmac_f64_e32 v[4:5], v[22:23], v[32:33]
	s_add_i32 s25, s25, 8
	s_waitcnt lgkmcnt(1)
	v_fmac_f64_e32 v[2:3], v[20:21], v[24:25]
	v_fmac_f64_e32 v[0:1], v[22:23], v[24:25]
	ds_read2_b64 v[20:23], v18 offset0:192 offset1:208
	s_waitcnt lgkmcnt(1)
	v_fmac_f64_e32 v[2:3], v[28:29], v[26:27]
	v_fmac_f64_e32 v[0:1], v[30:31], v[26:27]
	ds_read2_b64 v[24:27], v18 offset0:224 offset1:240
	v_fmac_f64_e32 v[6:7], v[28:29], v[34:35]
	v_fmac_f64_e32 v[4:5], v[30:31], v[34:35]
	s_waitcnt lgkmcnt(1)
	v_fmac_f64_e32 v[6:7], v[20:21], v[36:37]
	v_fmac_f64_e32 v[4:5], v[22:23], v[36:37]
	;; [unrolled: 1-line block ×4, first 2 shown]
	s_waitcnt lgkmcnt(0)
	v_fmac_f64_e32 v[6:7], v[24:25], v[38:39]
	v_fmac_f64_e32 v[4:5], v[26:27], v[38:39]
	;; [unrolled: 1-line block ×4, first 2 shown]
	v_lshl_add_u64 v[8:9], v[8:9], 0, 64
	s_cmp_lt_i32 s25, s21
	v_lshl_add_u64 v[10:11], v[10:11], 0, s[8:9]
	s_barrier
	s_cbranch_scc0 .LBB61_10
.LBB61_6:                               ; =>This Inner Loop Header: Depth=1
	v_add_u32_e32 v20, s25, v15
	v_cmp_gt_i32_e64 s[6:7], s21, v20
	s_and_b64 s[14:15], vcc, s[6:7]
	v_mov_b64_e32 v[20:21], 0
	s_and_saveexec_b64 s[6:7], s[14:15]
	s_cbranch_execz .LBB61_8
; %bb.7:                                ;   in Loop: Header=BB61_6 Depth=1
	global_load_dwordx2 v[20:21], v[8:9], off
.LBB61_8:                               ;   in Loop: Header=BB61_6 Depth=1
	s_or_b64 exec, exec, s[6:7]
	s_waitcnt vmcnt(0)
	ds_write_b64 v16, v[20:21]
	v_add_u32_e32 v20, s25, v14
	v_cmp_gt_i32_e64 s[6:7], s21, v20
	s_and_b64 s[14:15], s[6:7], s[2:3]
	v_mov_b64_e32 v[20:21], 0
	s_and_saveexec_b64 s[6:7], s[14:15]
	s_cbranch_execz .LBB61_5
; %bb.9:                                ;   in Loop: Header=BB61_6 Depth=1
	global_load_dwordx2 v[20:21], v[10:11], off
	s_branch .LBB61_5
.LBB61_10:
	s_load_dwordx2 s[2:3], s[0:1], 0x58
	s_load_dword s8, s[0:1], 0x50
	v_add_u32_e32 v14, s24, v12
	v_add_u32_e32 v8, s5, v13
	v_cmp_le_i32_e32 vcc, v8, v14
	s_waitcnt lgkmcnt(0)
	s_mul_i32 s1, s3, s4
	s_mul_hi_u32 s3, s2, s4
	s_mul_i32 s0, s2, s4
	s_add_i32 s1, s3, s1
	s_lshl_b64 s[0:1], s[0:1], 3
	s_add_u32 s4, s22, s0
	s_addc_u32 s5, s23, s1
	v_mad_i64_i32 v[10:11], s[0:1], v14, s8, 0
	v_cmp_neq_f64_e64 s[0:1], s[10:11], 0
	v_cmp_gt_i32_e64 s[2:3], s20, v14
	v_lshl_add_u64 v[10:11], v[10:11], 3, s[4:5]
	v_cndmask_b32_e64 v12, 0, 1, s[0:1]
	s_and_b64 s[14:15], s[2:3], vcc
	v_ashrrev_i32_e32 v9, 31, v8
	v_cmp_ne_u32_e64 s[0:1], 1, v12
	s_and_saveexec_b64 s[6:7], s[14:15]
	s_cbranch_execz .LBB61_14
; %bb.11:
	v_mul_f64 v[6:7], s[12:13], v[6:7]
	s_and_b64 vcc, exec, s[0:1]
	v_lshl_add_u64 v[12:13], v[8:9], 3, v[10:11]
	s_cbranch_vccnz .LBB61_13
; %bb.12:
	global_load_dwordx2 v[16:17], v[12:13], off
	s_waitcnt vmcnt(0)
	v_fmac_f64_e32 v[6:7], s[10:11], v[16:17]
.LBB61_13:
	global_store_dwordx2 v[12:13], v[6:7], off
.LBB61_14:
	s_or_b64 exec, exec, s[6:7]
	v_add_u32_e32 v6, 16, v8
	v_cmp_le_i32_e32 vcc, v6, v14
	s_and_b64 s[6:7], s[2:3], vcc
	v_ashrrev_i32_e32 v7, 31, v6
	s_and_saveexec_b64 s[2:3], s[6:7]
	s_cbranch_execz .LBB61_18
; %bb.15:
	v_mul_f64 v[4:5], s[12:13], v[4:5]
	s_and_b64 vcc, exec, s[0:1]
	v_lshl_add_u64 v[10:11], v[6:7], 3, v[10:11]
	s_cbranch_vccnz .LBB61_17
; %bb.16:
	global_load_dwordx2 v[12:13], v[10:11], off
	s_waitcnt vmcnt(0)
	v_fmac_f64_e32 v[4:5], s[10:11], v[12:13]
.LBB61_17:
	global_store_dwordx2 v[10:11], v[4:5], off
.LBB61_18:
	s_or_b64 exec, exec, s[2:3]
	v_add_u32_e32 v10, 16, v14
	v_cmp_gt_i32_e64 s[2:3], s20, v10
	v_mad_i64_i32 v[4:5], s[6:7], v10, s8, 0
	v_cmp_le_i32_e32 vcc, v8, v10
	v_lshl_add_u64 v[4:5], v[4:5], 3, s[4:5]
	s_and_b64 s[6:7], s[2:3], vcc
	s_and_saveexec_b64 s[4:5], s[6:7]
	s_cbranch_execz .LBB61_22
; %bb.19:
	v_mul_f64 v[2:3], s[12:13], v[2:3]
	s_and_b64 vcc, exec, s[0:1]
	v_lshl_add_u64 v[8:9], v[8:9], 3, v[4:5]
	s_cbranch_vccnz .LBB61_21
; %bb.20:
	global_load_dwordx2 v[12:13], v[8:9], off
	s_waitcnt vmcnt(0)
	v_fmac_f64_e32 v[2:3], s[10:11], v[12:13]
.LBB61_21:
	global_store_dwordx2 v[8:9], v[2:3], off
.LBB61_22:
	s_or_b64 exec, exec, s[4:5]
	v_cmp_le_i32_e32 vcc, v6, v10
	s_and_b64 s[2:3], s[2:3], vcc
	s_and_saveexec_b64 s[4:5], s[2:3]
	s_cbranch_execz .LBB61_26
; %bb.23:
	v_mul_f64 v[0:1], s[12:13], v[0:1]
	s_and_b64 vcc, exec, s[0:1]
	v_lshl_add_u64 v[2:3], v[6:7], 3, v[4:5]
	s_cbranch_vccnz .LBB61_25
; %bb.24:
	global_load_dwordx2 v[4:5], v[2:3], off
	s_waitcnt vmcnt(0)
	v_fmac_f64_e32 v[0:1], s[10:11], v[4:5]
.LBB61_25:
	global_store_dwordx2 v[2:3], v[0:1], off
.LBB61_26:
	s_endpgm
	.section	.rodata,"a",@progbits
	.p2align	6, 0x0
	.amdhsa_kernel _ZL29rocblas_internal_gemmt_kernelIiLi16ELi32ELi8ELc67ELc84ELc85ELb0ELb0EddPKdPdEviT_T9_T10_S3_lS5_S3_lS4_T11_S3_li
		.amdhsa_group_segment_fixed_size 4096
		.amdhsa_private_segment_fixed_size 0
		.amdhsa_kernarg_size 100
		.amdhsa_user_sgpr_count 2
		.amdhsa_user_sgpr_dispatch_ptr 0
		.amdhsa_user_sgpr_queue_ptr 0
		.amdhsa_user_sgpr_kernarg_segment_ptr 1
		.amdhsa_user_sgpr_dispatch_id 0
		.amdhsa_user_sgpr_kernarg_preload_length 0
		.amdhsa_user_sgpr_kernarg_preload_offset 0
		.amdhsa_user_sgpr_private_segment_size 0
		.amdhsa_uses_dynamic_stack 0
		.amdhsa_enable_private_segment 0
		.amdhsa_system_sgpr_workgroup_id_x 1
		.amdhsa_system_sgpr_workgroup_id_y 1
		.amdhsa_system_sgpr_workgroup_id_z 1
		.amdhsa_system_sgpr_workgroup_info 0
		.amdhsa_system_vgpr_workitem_id 1
		.amdhsa_next_free_vgpr 52
		.amdhsa_next_free_sgpr 28
		.amdhsa_accum_offset 52
		.amdhsa_reserve_vcc 1
		.amdhsa_float_round_mode_32 0
		.amdhsa_float_round_mode_16_64 0
		.amdhsa_float_denorm_mode_32 3
		.amdhsa_float_denorm_mode_16_64 3
		.amdhsa_dx10_clamp 1
		.amdhsa_ieee_mode 1
		.amdhsa_fp16_overflow 0
		.amdhsa_tg_split 0
		.amdhsa_exception_fp_ieee_invalid_op 0
		.amdhsa_exception_fp_denorm_src 0
		.amdhsa_exception_fp_ieee_div_zero 0
		.amdhsa_exception_fp_ieee_overflow 0
		.amdhsa_exception_fp_ieee_underflow 0
		.amdhsa_exception_fp_ieee_inexact 0
		.amdhsa_exception_int_div_zero 0
	.end_amdhsa_kernel
	.section	.text._ZL29rocblas_internal_gemmt_kernelIiLi16ELi32ELi8ELc67ELc84ELc85ELb0ELb0EddPKdPdEviT_T9_T10_S3_lS5_S3_lS4_T11_S3_li,"axG",@progbits,_ZL29rocblas_internal_gemmt_kernelIiLi16ELi32ELi8ELc67ELc84ELc85ELb0ELb0EddPKdPdEviT_T9_T10_S3_lS5_S3_lS4_T11_S3_li,comdat
.Lfunc_end61:
	.size	_ZL29rocblas_internal_gemmt_kernelIiLi16ELi32ELi8ELc67ELc84ELc85ELb0ELb0EddPKdPdEviT_T9_T10_S3_lS5_S3_lS4_T11_S3_li, .Lfunc_end61-_ZL29rocblas_internal_gemmt_kernelIiLi16ELi32ELi8ELc67ELc84ELc85ELb0ELb0EddPKdPdEviT_T9_T10_S3_lS5_S3_lS4_T11_S3_li
                                        ; -- End function
	.set _ZL29rocblas_internal_gemmt_kernelIiLi16ELi32ELi8ELc67ELc84ELc85ELb0ELb0EddPKdPdEviT_T9_T10_S3_lS5_S3_lS4_T11_S3_li.num_vgpr, 52
	.set _ZL29rocblas_internal_gemmt_kernelIiLi16ELi32ELi8ELc67ELc84ELc85ELb0ELb0EddPKdPdEviT_T9_T10_S3_lS5_S3_lS4_T11_S3_li.num_agpr, 0
	.set _ZL29rocblas_internal_gemmt_kernelIiLi16ELi32ELi8ELc67ELc84ELc85ELb0ELb0EddPKdPdEviT_T9_T10_S3_lS5_S3_lS4_T11_S3_li.numbered_sgpr, 28
	.set _ZL29rocblas_internal_gemmt_kernelIiLi16ELi32ELi8ELc67ELc84ELc85ELb0ELb0EddPKdPdEviT_T9_T10_S3_lS5_S3_lS4_T11_S3_li.num_named_barrier, 0
	.set _ZL29rocblas_internal_gemmt_kernelIiLi16ELi32ELi8ELc67ELc84ELc85ELb0ELb0EddPKdPdEviT_T9_T10_S3_lS5_S3_lS4_T11_S3_li.private_seg_size, 0
	.set _ZL29rocblas_internal_gemmt_kernelIiLi16ELi32ELi8ELc67ELc84ELc85ELb0ELb0EddPKdPdEviT_T9_T10_S3_lS5_S3_lS4_T11_S3_li.uses_vcc, 1
	.set _ZL29rocblas_internal_gemmt_kernelIiLi16ELi32ELi8ELc67ELc84ELc85ELb0ELb0EddPKdPdEviT_T9_T10_S3_lS5_S3_lS4_T11_S3_li.uses_flat_scratch, 0
	.set _ZL29rocblas_internal_gemmt_kernelIiLi16ELi32ELi8ELc67ELc84ELc85ELb0ELb0EddPKdPdEviT_T9_T10_S3_lS5_S3_lS4_T11_S3_li.has_dyn_sized_stack, 0
	.set _ZL29rocblas_internal_gemmt_kernelIiLi16ELi32ELi8ELc67ELc84ELc85ELb0ELb0EddPKdPdEviT_T9_T10_S3_lS5_S3_lS4_T11_S3_li.has_recursion, 0
	.set _ZL29rocblas_internal_gemmt_kernelIiLi16ELi32ELi8ELc67ELc84ELc85ELb0ELb0EddPKdPdEviT_T9_T10_S3_lS5_S3_lS4_T11_S3_li.has_indirect_call, 0
	.section	.AMDGPU.csdata,"",@progbits
; Kernel info:
; codeLenInByte = 1288
; TotalNumSgprs: 34
; NumVgprs: 52
; NumAgprs: 0
; TotalNumVgprs: 52
; ScratchSize: 0
; MemoryBound: 0
; FloatMode: 240
; IeeeMode: 1
; LDSByteSize: 4096 bytes/workgroup (compile time only)
; SGPRBlocks: 4
; VGPRBlocks: 6
; NumSGPRsForWavesPerEU: 34
; NumVGPRsForWavesPerEU: 52
; AccumOffset: 52
; Occupancy: 8
; WaveLimiterHint : 0
; COMPUTE_PGM_RSRC2:SCRATCH_EN: 0
; COMPUTE_PGM_RSRC2:USER_SGPR: 2
; COMPUTE_PGM_RSRC2:TRAP_HANDLER: 0
; COMPUTE_PGM_RSRC2:TGID_X_EN: 1
; COMPUTE_PGM_RSRC2:TGID_Y_EN: 1
; COMPUTE_PGM_RSRC2:TGID_Z_EN: 1
; COMPUTE_PGM_RSRC2:TIDIG_COMP_CNT: 1
; COMPUTE_PGM_RSRC3_GFX90A:ACCUM_OFFSET: 12
; COMPUTE_PGM_RSRC3_GFX90A:TG_SPLIT: 0
	.section	.text._ZL29rocblas_internal_gemmt_kernelIiLi16ELi32ELi8ELc67ELc67ELc85ELb0ELb0EddPKdPdEviT_T9_T10_S3_lS5_S3_lS4_T11_S3_li,"axG",@progbits,_ZL29rocblas_internal_gemmt_kernelIiLi16ELi32ELi8ELc67ELc67ELc85ELb0ELb0EddPKdPdEviT_T9_T10_S3_lS5_S3_lS4_T11_S3_li,comdat
	.globl	_ZL29rocblas_internal_gemmt_kernelIiLi16ELi32ELi8ELc67ELc67ELc85ELb0ELb0EddPKdPdEviT_T9_T10_S3_lS5_S3_lS4_T11_S3_li ; -- Begin function _ZL29rocblas_internal_gemmt_kernelIiLi16ELi32ELi8ELc67ELc67ELc85ELb0ELb0EddPKdPdEviT_T9_T10_S3_lS5_S3_lS4_T11_S3_li
	.p2align	8
	.type	_ZL29rocblas_internal_gemmt_kernelIiLi16ELi32ELi8ELc67ELc67ELc85ELb0ELb0EddPKdPdEviT_T9_T10_S3_lS5_S3_lS4_T11_S3_li,@function
_ZL29rocblas_internal_gemmt_kernelIiLi16ELi32ELi8ELc67ELc67ELc85ELb0ELb0EddPKdPdEviT_T9_T10_S3_lS5_S3_lS4_T11_S3_li: ; @_ZL29rocblas_internal_gemmt_kernelIiLi16ELi32ELi8ELc67ELc67ELc85ELb0ELb0EddPKdPdEviT_T9_T10_S3_lS5_S3_lS4_T11_S3_li
; %bb.0:
	s_load_dwordx4 s[8:11], s[0:1], 0x38
	s_load_dwordx2 s[20:21], s[0:1], 0x0
	s_load_dwordx4 s[12:15], s[0:1], 0x8
	s_waitcnt lgkmcnt(0)
	v_cmp_neq_f64_e64 s[6:7], s[10:11], 1.0
	s_and_b64 vcc, exec, s[6:7]
	s_cbranch_vccnz .LBB62_2
; %bb.1:
	s_cmp_lg_u32 s21, 0
	s_cselect_b64 s[6:7], -1, 0
	v_cmp_neq_f64_e64 s[16:17], s[12:13], 0
	s_and_b64 s[6:7], s[6:7], s[16:17]
.LBB62_2:
	s_andn2_b64 vcc, exec, s[6:7]
	s_cbranch_vccnz .LBB62_26
; %bb.3:
	s_load_dwordx2 s[22:23], s[0:1], 0x48
	s_lshl_b32 s5, s2, 5
	s_lshl_b32 s24, s3, 5
	s_cmp_lt_i32 s21, 1
	v_cmp_eq_f64_e64 s[2:3], s[12:13], 0
	s_cselect_b64 s[6:7], -1, 0
	s_or_b64 s[2:3], s[2:3], s[6:7]
	v_and_b32_e32 v13, 0x3ff, v0
	v_bfe_u32 v12, v0, 10, 10
	s_mov_b32 s25, 0
	v_mov_b64_e32 v[6:7], 0
	s_and_b64 vcc, exec, s[2:3]
	v_mov_b64_e32 v[4:5], 0
	v_mov_b64_e32 v[2:3], 0
	;; [unrolled: 1-line block ×3, first 2 shown]
	s_cbranch_vccnz .LBB62_10
; %bb.4:
	v_lshl_add_u32 v1, v12, 4, v13
	v_and_b32_e32 v3, 31, v1
	v_lshrrev_b32_e32 v15, 5, v1
	v_lshrrev_b32_e32 v2, 3, v1
	v_or_b32_e32 v1, s5, v3
	s_load_dword s26, s[0:1], 0x18
	s_load_dword s6, s[0:1], 0x30
	s_load_dwordx4 s[16:19], s[0:1], 0x20
	v_and_b32_e32 v14, 7, v13
	v_cmp_gt_i32_e32 vcc, s20, v1
	v_lshlrev_b32_e32 v1, 3, v3
	v_lshl_or_b32 v16, v15, 8, v1
	v_lshlrev_b32_e32 v1, 3, v14
	v_add_u32_e32 v0, s24, v2
	v_lshl_or_b32 v1, v2, 6, v1
	v_mov_b32_e32 v2, 0x800
	v_lshl_add_u32 v19, v12, 6, v2
	v_add_u32_e32 v2, s5, v3
	s_waitcnt lgkmcnt(0)
	v_mad_i64_i32 v[2:3], s[26:27], s26, v2, 0
	s_mul_i32 s17, s17, s4
	s_mul_hi_u32 s26, s16, s4
	s_add_i32 s17, s26, s17
	s_mul_i32 s16, s16, s4
	s_lshl_b64 s[16:17], s[16:17], 3
	v_lshl_add_u64 v[2:3], v[2:3], 3, s[16:17]
	v_lshlrev_b32_e32 v4, 3, v15
	v_mov_b32_e32 v5, 0
	v_lshl_add_u64 v[2:3], v[2:3], 0, v[4:5]
	v_lshl_add_u64 v[8:9], s[14:15], 0, v[2:3]
	s_mul_i32 s9, s9, s4
	s_mul_hi_u32 s14, s8, s4
	s_add_i32 s9, s14, s9
	v_mad_i64_i32 v[2:3], s[14:15], s6, v14, 0
	s_mul_i32 s8, s8, s4
	v_lshlrev_b64 v[2:3], 3, v[2:3]
	v_add_u32_e32 v17, 0x800, v1
	v_ashrrev_i32_e32 v1, 31, v0
	v_lshl_add_u64 v[2:3], s[8:9], 3, v[2:3]
	s_ashr_i32 s7, s6, 31
	v_cmp_gt_i32_e64 s[2:3], s20, v0
	v_lshl_add_u64 v[0:1], v[0:1], 3, v[2:3]
	v_lshlrev_b32_e32 v18, 3, v13
	v_lshl_add_u64 v[10:11], s[18:19], 0, v[0:1]
	s_lshl_b64 s[8:9], s[6:7], 6
	v_mov_b64_e32 v[0:1], 0
	v_mov_b64_e32 v[2:3], 0
	;; [unrolled: 1-line block ×4, first 2 shown]
	s_branch .LBB62_6
.LBB62_5:                               ;   in Loop: Header=BB62_6 Depth=1
	s_or_b64 exec, exec, s[6:7]
	s_waitcnt vmcnt(0)
	ds_write_b64 v17, v[20:21]
	s_waitcnt lgkmcnt(0)
	s_barrier
	ds_read2_b64 v[20:23], v18 offset1:16
	ds_read_b128 v[24:27], v19
	ds_read_b128 v[28:31], v19 offset:16
	ds_read_b128 v[32:35], v19 offset:32
	;; [unrolled: 1-line block ×4, first 2 shown]
	ds_read2_b64 v[44:47], v18 offset0:32 offset1:48
	s_waitcnt lgkmcnt(5)
	v_fmac_f64_e32 v[6:7], v[20:21], v[24:25]
	v_fmac_f64_e32 v[4:5], v[22:23], v[24:25]
	ds_read_b128 v[48:51], v19 offset:1040
	s_waitcnt lgkmcnt(2)
	v_fmac_f64_e32 v[2:3], v[20:21], v[40:41]
	v_fmac_f64_e32 v[0:1], v[22:23], v[40:41]
	ds_read2_b64 v[20:23], v18 offset0:64 offset1:80
	s_waitcnt lgkmcnt(2)
	v_fmac_f64_e32 v[6:7], v[44:45], v[26:27]
	v_fmac_f64_e32 v[4:5], v[46:47], v[26:27]
	ds_read2_b64 v[24:27], v18 offset0:96 offset1:112
	v_fmac_f64_e32 v[2:3], v[44:45], v[42:43]
	v_fmac_f64_e32 v[0:1], v[46:47], v[42:43]
	s_waitcnt lgkmcnt(1)
	v_fmac_f64_e32 v[6:7], v[20:21], v[28:29]
	v_fmac_f64_e32 v[4:5], v[22:23], v[28:29]
	ds_read_b128 v[40:43], v19 offset:1072
	v_fmac_f64_e32 v[2:3], v[20:21], v[48:49]
	v_fmac_f64_e32 v[0:1], v[22:23], v[48:49]
	s_waitcnt lgkmcnt(1)
	v_fmac_f64_e32 v[6:7], v[24:25], v[30:31]
	ds_read2_b64 v[20:23], v18 offset0:128 offset1:144
	v_fmac_f64_e32 v[4:5], v[26:27], v[30:31]
	v_fmac_f64_e32 v[2:3], v[24:25], v[50:51]
	v_fmac_f64_e32 v[0:1], v[26:27], v[50:51]
	ds_read_b128 v[24:27], v19 offset:1056
	ds_read2_b64 v[28:31], v18 offset0:160 offset1:176
	s_waitcnt lgkmcnt(2)
	v_fmac_f64_e32 v[6:7], v[20:21], v[32:33]
	v_fmac_f64_e32 v[4:5], v[22:23], v[32:33]
	s_add_i32 s25, s25, 8
	s_waitcnt lgkmcnt(1)
	v_fmac_f64_e32 v[2:3], v[20:21], v[24:25]
	v_fmac_f64_e32 v[0:1], v[22:23], v[24:25]
	ds_read2_b64 v[20:23], v18 offset0:192 offset1:208
	s_waitcnt lgkmcnt(1)
	v_fmac_f64_e32 v[2:3], v[28:29], v[26:27]
	v_fmac_f64_e32 v[0:1], v[30:31], v[26:27]
	ds_read2_b64 v[24:27], v18 offset0:224 offset1:240
	v_fmac_f64_e32 v[6:7], v[28:29], v[34:35]
	v_fmac_f64_e32 v[4:5], v[30:31], v[34:35]
	s_waitcnt lgkmcnt(1)
	v_fmac_f64_e32 v[6:7], v[20:21], v[36:37]
	v_fmac_f64_e32 v[4:5], v[22:23], v[36:37]
	;; [unrolled: 1-line block ×4, first 2 shown]
	s_waitcnt lgkmcnt(0)
	v_fmac_f64_e32 v[6:7], v[24:25], v[38:39]
	v_fmac_f64_e32 v[4:5], v[26:27], v[38:39]
	v_fmac_f64_e32 v[2:3], v[24:25], v[42:43]
	v_fmac_f64_e32 v[0:1], v[26:27], v[42:43]
	v_lshl_add_u64 v[8:9], v[8:9], 0, 64
	s_cmp_lt_i32 s25, s21
	v_lshl_add_u64 v[10:11], v[10:11], 0, s[8:9]
	s_barrier
	s_cbranch_scc0 .LBB62_10
.LBB62_6:                               ; =>This Inner Loop Header: Depth=1
	v_add_u32_e32 v20, s25, v15
	v_cmp_gt_i32_e64 s[6:7], s21, v20
	s_and_b64 s[14:15], vcc, s[6:7]
	v_mov_b64_e32 v[20:21], 0
	s_and_saveexec_b64 s[6:7], s[14:15]
	s_cbranch_execz .LBB62_8
; %bb.7:                                ;   in Loop: Header=BB62_6 Depth=1
	global_load_dwordx2 v[20:21], v[8:9], off
.LBB62_8:                               ;   in Loop: Header=BB62_6 Depth=1
	s_or_b64 exec, exec, s[6:7]
	s_waitcnt vmcnt(0)
	ds_write_b64 v16, v[20:21]
	v_add_u32_e32 v20, s25, v14
	v_cmp_gt_i32_e64 s[6:7], s21, v20
	s_and_b64 s[14:15], s[6:7], s[2:3]
	v_mov_b64_e32 v[20:21], 0
	s_and_saveexec_b64 s[6:7], s[14:15]
	s_cbranch_execz .LBB62_5
; %bb.9:                                ;   in Loop: Header=BB62_6 Depth=1
	global_load_dwordx2 v[20:21], v[10:11], off
	s_branch .LBB62_5
.LBB62_10:
	s_load_dwordx2 s[2:3], s[0:1], 0x58
	s_load_dword s8, s[0:1], 0x50
	v_add_u32_e32 v14, s24, v12
	v_add_u32_e32 v8, s5, v13
	v_cmp_le_i32_e32 vcc, v8, v14
	s_waitcnt lgkmcnt(0)
	s_mul_i32 s1, s3, s4
	s_mul_hi_u32 s3, s2, s4
	s_mul_i32 s0, s2, s4
	s_add_i32 s1, s3, s1
	s_lshl_b64 s[0:1], s[0:1], 3
	s_add_u32 s4, s22, s0
	s_addc_u32 s5, s23, s1
	v_mad_i64_i32 v[10:11], s[0:1], v14, s8, 0
	v_cmp_neq_f64_e64 s[0:1], s[10:11], 0
	v_cmp_gt_i32_e64 s[2:3], s20, v14
	v_lshl_add_u64 v[10:11], v[10:11], 3, s[4:5]
	v_cndmask_b32_e64 v12, 0, 1, s[0:1]
	s_and_b64 s[14:15], s[2:3], vcc
	v_ashrrev_i32_e32 v9, 31, v8
	v_cmp_ne_u32_e64 s[0:1], 1, v12
	s_and_saveexec_b64 s[6:7], s[14:15]
	s_cbranch_execz .LBB62_14
; %bb.11:
	v_mul_f64 v[6:7], s[12:13], v[6:7]
	s_and_b64 vcc, exec, s[0:1]
	v_lshl_add_u64 v[12:13], v[8:9], 3, v[10:11]
	s_cbranch_vccnz .LBB62_13
; %bb.12:
	global_load_dwordx2 v[16:17], v[12:13], off
	s_waitcnt vmcnt(0)
	v_fmac_f64_e32 v[6:7], s[10:11], v[16:17]
.LBB62_13:
	global_store_dwordx2 v[12:13], v[6:7], off
.LBB62_14:
	s_or_b64 exec, exec, s[6:7]
	v_add_u32_e32 v6, 16, v8
	v_cmp_le_i32_e32 vcc, v6, v14
	s_and_b64 s[6:7], s[2:3], vcc
	v_ashrrev_i32_e32 v7, 31, v6
	s_and_saveexec_b64 s[2:3], s[6:7]
	s_cbranch_execz .LBB62_18
; %bb.15:
	v_mul_f64 v[4:5], s[12:13], v[4:5]
	s_and_b64 vcc, exec, s[0:1]
	v_lshl_add_u64 v[10:11], v[6:7], 3, v[10:11]
	s_cbranch_vccnz .LBB62_17
; %bb.16:
	global_load_dwordx2 v[12:13], v[10:11], off
	s_waitcnt vmcnt(0)
	v_fmac_f64_e32 v[4:5], s[10:11], v[12:13]
.LBB62_17:
	global_store_dwordx2 v[10:11], v[4:5], off
.LBB62_18:
	s_or_b64 exec, exec, s[2:3]
	v_add_u32_e32 v10, 16, v14
	v_cmp_gt_i32_e64 s[2:3], s20, v10
	v_mad_i64_i32 v[4:5], s[6:7], v10, s8, 0
	v_cmp_le_i32_e32 vcc, v8, v10
	v_lshl_add_u64 v[4:5], v[4:5], 3, s[4:5]
	s_and_b64 s[6:7], s[2:3], vcc
	s_and_saveexec_b64 s[4:5], s[6:7]
	s_cbranch_execz .LBB62_22
; %bb.19:
	v_mul_f64 v[2:3], s[12:13], v[2:3]
	s_and_b64 vcc, exec, s[0:1]
	v_lshl_add_u64 v[8:9], v[8:9], 3, v[4:5]
	s_cbranch_vccnz .LBB62_21
; %bb.20:
	global_load_dwordx2 v[12:13], v[8:9], off
	s_waitcnt vmcnt(0)
	v_fmac_f64_e32 v[2:3], s[10:11], v[12:13]
.LBB62_21:
	global_store_dwordx2 v[8:9], v[2:3], off
.LBB62_22:
	s_or_b64 exec, exec, s[4:5]
	v_cmp_le_i32_e32 vcc, v6, v10
	s_and_b64 s[2:3], s[2:3], vcc
	s_and_saveexec_b64 s[4:5], s[2:3]
	s_cbranch_execz .LBB62_26
; %bb.23:
	v_mul_f64 v[0:1], s[12:13], v[0:1]
	s_and_b64 vcc, exec, s[0:1]
	v_lshl_add_u64 v[2:3], v[6:7], 3, v[4:5]
	s_cbranch_vccnz .LBB62_25
; %bb.24:
	global_load_dwordx2 v[4:5], v[2:3], off
	s_waitcnt vmcnt(0)
	v_fmac_f64_e32 v[0:1], s[10:11], v[4:5]
.LBB62_25:
	global_store_dwordx2 v[2:3], v[0:1], off
.LBB62_26:
	s_endpgm
	.section	.rodata,"a",@progbits
	.p2align	6, 0x0
	.amdhsa_kernel _ZL29rocblas_internal_gemmt_kernelIiLi16ELi32ELi8ELc67ELc67ELc85ELb0ELb0EddPKdPdEviT_T9_T10_S3_lS5_S3_lS4_T11_S3_li
		.amdhsa_group_segment_fixed_size 4096
		.amdhsa_private_segment_fixed_size 0
		.amdhsa_kernarg_size 100
		.amdhsa_user_sgpr_count 2
		.amdhsa_user_sgpr_dispatch_ptr 0
		.amdhsa_user_sgpr_queue_ptr 0
		.amdhsa_user_sgpr_kernarg_segment_ptr 1
		.amdhsa_user_sgpr_dispatch_id 0
		.amdhsa_user_sgpr_kernarg_preload_length 0
		.amdhsa_user_sgpr_kernarg_preload_offset 0
		.amdhsa_user_sgpr_private_segment_size 0
		.amdhsa_uses_dynamic_stack 0
		.amdhsa_enable_private_segment 0
		.amdhsa_system_sgpr_workgroup_id_x 1
		.amdhsa_system_sgpr_workgroup_id_y 1
		.amdhsa_system_sgpr_workgroup_id_z 1
		.amdhsa_system_sgpr_workgroup_info 0
		.amdhsa_system_vgpr_workitem_id 1
		.amdhsa_next_free_vgpr 52
		.amdhsa_next_free_sgpr 28
		.amdhsa_accum_offset 52
		.amdhsa_reserve_vcc 1
		.amdhsa_float_round_mode_32 0
		.amdhsa_float_round_mode_16_64 0
		.amdhsa_float_denorm_mode_32 3
		.amdhsa_float_denorm_mode_16_64 3
		.amdhsa_dx10_clamp 1
		.amdhsa_ieee_mode 1
		.amdhsa_fp16_overflow 0
		.amdhsa_tg_split 0
		.amdhsa_exception_fp_ieee_invalid_op 0
		.amdhsa_exception_fp_denorm_src 0
		.amdhsa_exception_fp_ieee_div_zero 0
		.amdhsa_exception_fp_ieee_overflow 0
		.amdhsa_exception_fp_ieee_underflow 0
		.amdhsa_exception_fp_ieee_inexact 0
		.amdhsa_exception_int_div_zero 0
	.end_amdhsa_kernel
	.section	.text._ZL29rocblas_internal_gemmt_kernelIiLi16ELi32ELi8ELc67ELc67ELc85ELb0ELb0EddPKdPdEviT_T9_T10_S3_lS5_S3_lS4_T11_S3_li,"axG",@progbits,_ZL29rocblas_internal_gemmt_kernelIiLi16ELi32ELi8ELc67ELc67ELc85ELb0ELb0EddPKdPdEviT_T9_T10_S3_lS5_S3_lS4_T11_S3_li,comdat
.Lfunc_end62:
	.size	_ZL29rocblas_internal_gemmt_kernelIiLi16ELi32ELi8ELc67ELc67ELc85ELb0ELb0EddPKdPdEviT_T9_T10_S3_lS5_S3_lS4_T11_S3_li, .Lfunc_end62-_ZL29rocblas_internal_gemmt_kernelIiLi16ELi32ELi8ELc67ELc67ELc85ELb0ELb0EddPKdPdEviT_T9_T10_S3_lS5_S3_lS4_T11_S3_li
                                        ; -- End function
	.set _ZL29rocblas_internal_gemmt_kernelIiLi16ELi32ELi8ELc67ELc67ELc85ELb0ELb0EddPKdPdEviT_T9_T10_S3_lS5_S3_lS4_T11_S3_li.num_vgpr, 52
	.set _ZL29rocblas_internal_gemmt_kernelIiLi16ELi32ELi8ELc67ELc67ELc85ELb0ELb0EddPKdPdEviT_T9_T10_S3_lS5_S3_lS4_T11_S3_li.num_agpr, 0
	.set _ZL29rocblas_internal_gemmt_kernelIiLi16ELi32ELi8ELc67ELc67ELc85ELb0ELb0EddPKdPdEviT_T9_T10_S3_lS5_S3_lS4_T11_S3_li.numbered_sgpr, 28
	.set _ZL29rocblas_internal_gemmt_kernelIiLi16ELi32ELi8ELc67ELc67ELc85ELb0ELb0EddPKdPdEviT_T9_T10_S3_lS5_S3_lS4_T11_S3_li.num_named_barrier, 0
	.set _ZL29rocblas_internal_gemmt_kernelIiLi16ELi32ELi8ELc67ELc67ELc85ELb0ELb0EddPKdPdEviT_T9_T10_S3_lS5_S3_lS4_T11_S3_li.private_seg_size, 0
	.set _ZL29rocblas_internal_gemmt_kernelIiLi16ELi32ELi8ELc67ELc67ELc85ELb0ELb0EddPKdPdEviT_T9_T10_S3_lS5_S3_lS4_T11_S3_li.uses_vcc, 1
	.set _ZL29rocblas_internal_gemmt_kernelIiLi16ELi32ELi8ELc67ELc67ELc85ELb0ELb0EddPKdPdEviT_T9_T10_S3_lS5_S3_lS4_T11_S3_li.uses_flat_scratch, 0
	.set _ZL29rocblas_internal_gemmt_kernelIiLi16ELi32ELi8ELc67ELc67ELc85ELb0ELb0EddPKdPdEviT_T9_T10_S3_lS5_S3_lS4_T11_S3_li.has_dyn_sized_stack, 0
	.set _ZL29rocblas_internal_gemmt_kernelIiLi16ELi32ELi8ELc67ELc67ELc85ELb0ELb0EddPKdPdEviT_T9_T10_S3_lS5_S3_lS4_T11_S3_li.has_recursion, 0
	.set _ZL29rocblas_internal_gemmt_kernelIiLi16ELi32ELi8ELc67ELc67ELc85ELb0ELb0EddPKdPdEviT_T9_T10_S3_lS5_S3_lS4_T11_S3_li.has_indirect_call, 0
	.section	.AMDGPU.csdata,"",@progbits
; Kernel info:
; codeLenInByte = 1288
; TotalNumSgprs: 34
; NumVgprs: 52
; NumAgprs: 0
; TotalNumVgprs: 52
; ScratchSize: 0
; MemoryBound: 0
; FloatMode: 240
; IeeeMode: 1
; LDSByteSize: 4096 bytes/workgroup (compile time only)
; SGPRBlocks: 4
; VGPRBlocks: 6
; NumSGPRsForWavesPerEU: 34
; NumVGPRsForWavesPerEU: 52
; AccumOffset: 52
; Occupancy: 8
; WaveLimiterHint : 0
; COMPUTE_PGM_RSRC2:SCRATCH_EN: 0
; COMPUTE_PGM_RSRC2:USER_SGPR: 2
; COMPUTE_PGM_RSRC2:TRAP_HANDLER: 0
; COMPUTE_PGM_RSRC2:TGID_X_EN: 1
; COMPUTE_PGM_RSRC2:TGID_Y_EN: 1
; COMPUTE_PGM_RSRC2:TGID_Z_EN: 1
; COMPUTE_PGM_RSRC2:TIDIG_COMP_CNT: 1
; COMPUTE_PGM_RSRC3_GFX90A:ACCUM_OFFSET: 12
; COMPUTE_PGM_RSRC3_GFX90A:TG_SPLIT: 0
	.section	.text._ZL29rocblas_internal_gemmt_kernelIiLi16ELi32ELi8ELc78ELc78ELc76ELb0ELb0EddPKdPdEviT_T9_T10_S3_lS5_S3_lS4_T11_S3_li,"axG",@progbits,_ZL29rocblas_internal_gemmt_kernelIiLi16ELi32ELi8ELc78ELc78ELc76ELb0ELb0EddPKdPdEviT_T9_T10_S3_lS5_S3_lS4_T11_S3_li,comdat
	.globl	_ZL29rocblas_internal_gemmt_kernelIiLi16ELi32ELi8ELc78ELc78ELc76ELb0ELb0EddPKdPdEviT_T9_T10_S3_lS5_S3_lS4_T11_S3_li ; -- Begin function _ZL29rocblas_internal_gemmt_kernelIiLi16ELi32ELi8ELc78ELc78ELc76ELb0ELb0EddPKdPdEviT_T9_T10_S3_lS5_S3_lS4_T11_S3_li
	.p2align	8
	.type	_ZL29rocblas_internal_gemmt_kernelIiLi16ELi32ELi8ELc78ELc78ELc76ELb0ELb0EddPKdPdEviT_T9_T10_S3_lS5_S3_lS4_T11_S3_li,@function
_ZL29rocblas_internal_gemmt_kernelIiLi16ELi32ELi8ELc78ELc78ELc76ELb0ELb0EddPKdPdEviT_T9_T10_S3_lS5_S3_lS4_T11_S3_li: ; @_ZL29rocblas_internal_gemmt_kernelIiLi16ELi32ELi8ELc78ELc78ELc76ELb0ELb0EddPKdPdEviT_T9_T10_S3_lS5_S3_lS4_T11_S3_li
; %bb.0:
	s_load_dwordx4 s[8:11], s[0:1], 0x38
	s_load_dwordx2 s[20:21], s[0:1], 0x0
	s_load_dwordx4 s[12:15], s[0:1], 0x8
	s_waitcnt lgkmcnt(0)
	v_cmp_neq_f64_e64 s[6:7], s[10:11], 1.0
	s_and_b64 vcc, exec, s[6:7]
	s_cbranch_vccnz .LBB63_2
; %bb.1:
	s_cmp_lg_u32 s21, 0
	s_cselect_b64 s[6:7], -1, 0
	v_cmp_neq_f64_e64 s[16:17], s[12:13], 0
	s_and_b64 s[6:7], s[6:7], s[16:17]
.LBB63_2:
	s_andn2_b64 vcc, exec, s[6:7]
	s_cbranch_vccnz .LBB63_26
; %bb.3:
	s_load_dwordx2 s[22:23], s[0:1], 0x48
	s_lshl_b32 s24, s2, 5
	s_lshl_b32 s5, s3, 5
	s_cmp_lt_i32 s21, 1
	v_cmp_eq_f64_e64 s[2:3], s[12:13], 0
	s_cselect_b64 s[6:7], -1, 0
	s_or_b64 s[2:3], s[2:3], s[6:7]
	v_and_b32_e32 v13, 0x3ff, v0
	v_bfe_u32 v12, v0, 10, 10
	s_mov_b32 s25, 0
	v_mov_b64_e32 v[6:7], 0
	s_and_b64 vcc, exec, s[2:3]
	v_mov_b64_e32 v[4:5], 0
	v_mov_b64_e32 v[2:3], 0
	v_mov_b64_e32 v[0:1], 0
	s_cbranch_vccnz .LBB63_10
; %bb.4:
	s_load_dword s6, s[0:1], 0x18
	s_load_dwordx4 s[16:19], s[0:1], 0x20
	s_load_dword s28, s[0:1], 0x30
	v_lshl_add_u32 v0, v12, 4, v13
	v_lshrrev_b32_e32 v15, 5, v0
	v_and_b32_e32 v4, 31, v0
	s_waitcnt lgkmcnt(0)
	v_mad_i64_i32 v[2:3], s[26:27], v15, s6, 0
	s_mul_i32 s17, s17, s4
	s_mul_hi_u32 s26, s16, s4
	v_lshrrev_b32_e32 v1, 3, v0
	v_or_b32_e32 v0, s24, v4
	s_add_i32 s17, s26, s17
	s_mul_i32 s16, s16, s4
	v_cmp_gt_i32_e32 vcc, s20, v0
	v_lshlrev_b32_e32 v0, 3, v4
	s_lshl_b64 s[16:17], s[16:17], 3
	v_add_u32_e32 v4, s24, v4
	v_lshl_add_u64 v[2:3], v[2:3], 3, s[16:17]
	v_ashrrev_i32_e32 v5, 31, v4
	s_ashr_i32 s7, s6, 31
	v_add_u32_e32 v6, s5, v1
	v_lshl_add_u64 v[2:3], v[4:5], 3, v[2:3]
	v_and_b32_e32 v14, 7, v13
	v_lshl_add_u64 v[8:9], s[14:15], 0, v[2:3]
	s_lshl_b64 s[14:15], s[6:7], 6
	v_mad_i64_i32 v[2:3], s[6:7], s28, v6, 0
	v_lshl_or_b32 v16, v15, 8, v0
	v_lshlrev_b32_e32 v0, 3, v14
	s_mul_i32 s6, s9, s4
	s_mul_hi_u32 s7, s8, s4
	v_lshl_or_b32 v1, v1, 6, v0
	s_add_i32 s7, s7, s6
	s_mul_i32 s6, s8, s4
	v_add_u32_e32 v17, 0x800, v1
	v_mov_b32_e32 v1, 0x800
	s_lshl_b64 s[6:7], s[6:7], 3
	v_lshl_add_u32 v19, v12, 6, v1
	v_lshl_add_u64 v[2:3], v[2:3], 3, s[6:7]
	v_mov_b32_e32 v1, 0
	v_lshl_add_u64 v[0:1], v[2:3], 0, v[0:1]
	v_cmp_gt_i32_e64 s[2:3], s20, v6
	v_lshlrev_b32_e32 v18, 3, v13
	v_lshl_add_u64 v[10:11], s[18:19], 0, v[0:1]
	v_mov_b64_e32 v[0:1], 0
	v_mov_b64_e32 v[2:3], 0
	;; [unrolled: 1-line block ×4, first 2 shown]
	s_branch .LBB63_6
.LBB63_5:                               ;   in Loop: Header=BB63_6 Depth=1
	s_or_b64 exec, exec, s[6:7]
	s_waitcnt vmcnt(0)
	ds_write_b64 v17, v[20:21]
	s_waitcnt lgkmcnt(0)
	s_barrier
	ds_read2_b64 v[20:23], v18 offset1:16
	ds_read_b128 v[24:27], v19
	ds_read_b128 v[28:31], v19 offset:16
	ds_read_b128 v[32:35], v19 offset:32
	;; [unrolled: 1-line block ×4, first 2 shown]
	ds_read2_b64 v[44:47], v18 offset0:32 offset1:48
	s_waitcnt lgkmcnt(5)
	v_fmac_f64_e32 v[6:7], v[20:21], v[24:25]
	v_fmac_f64_e32 v[4:5], v[22:23], v[24:25]
	ds_read_b128 v[48:51], v19 offset:1040
	s_waitcnt lgkmcnt(2)
	v_fmac_f64_e32 v[2:3], v[20:21], v[40:41]
	v_fmac_f64_e32 v[0:1], v[22:23], v[40:41]
	ds_read2_b64 v[20:23], v18 offset0:64 offset1:80
	s_waitcnt lgkmcnt(2)
	v_fmac_f64_e32 v[6:7], v[44:45], v[26:27]
	v_fmac_f64_e32 v[4:5], v[46:47], v[26:27]
	ds_read2_b64 v[24:27], v18 offset0:96 offset1:112
	v_fmac_f64_e32 v[2:3], v[44:45], v[42:43]
	v_fmac_f64_e32 v[0:1], v[46:47], v[42:43]
	s_waitcnt lgkmcnt(1)
	v_fmac_f64_e32 v[6:7], v[20:21], v[28:29]
	v_fmac_f64_e32 v[4:5], v[22:23], v[28:29]
	ds_read_b128 v[40:43], v19 offset:1072
	v_fmac_f64_e32 v[2:3], v[20:21], v[48:49]
	v_fmac_f64_e32 v[0:1], v[22:23], v[48:49]
	s_waitcnt lgkmcnt(1)
	v_fmac_f64_e32 v[6:7], v[24:25], v[30:31]
	ds_read2_b64 v[20:23], v18 offset0:128 offset1:144
	v_fmac_f64_e32 v[4:5], v[26:27], v[30:31]
	v_fmac_f64_e32 v[2:3], v[24:25], v[50:51]
	;; [unrolled: 1-line block ×3, first 2 shown]
	ds_read_b128 v[24:27], v19 offset:1056
	ds_read2_b64 v[28:31], v18 offset0:160 offset1:176
	s_waitcnt lgkmcnt(2)
	v_fmac_f64_e32 v[6:7], v[20:21], v[32:33]
	v_fmac_f64_e32 v[4:5], v[22:23], v[32:33]
	s_add_i32 s25, s25, 8
	s_waitcnt lgkmcnt(1)
	v_fmac_f64_e32 v[2:3], v[20:21], v[24:25]
	v_fmac_f64_e32 v[0:1], v[22:23], v[24:25]
	ds_read2_b64 v[20:23], v18 offset0:192 offset1:208
	s_waitcnt lgkmcnt(1)
	v_fmac_f64_e32 v[2:3], v[28:29], v[26:27]
	v_fmac_f64_e32 v[0:1], v[30:31], v[26:27]
	ds_read2_b64 v[24:27], v18 offset0:224 offset1:240
	v_fmac_f64_e32 v[6:7], v[28:29], v[34:35]
	v_fmac_f64_e32 v[4:5], v[30:31], v[34:35]
	s_waitcnt lgkmcnt(1)
	v_fmac_f64_e32 v[6:7], v[20:21], v[36:37]
	v_fmac_f64_e32 v[4:5], v[22:23], v[36:37]
	;; [unrolled: 1-line block ×4, first 2 shown]
	s_waitcnt lgkmcnt(0)
	v_fmac_f64_e32 v[6:7], v[24:25], v[38:39]
	v_fmac_f64_e32 v[4:5], v[26:27], v[38:39]
	v_fmac_f64_e32 v[2:3], v[24:25], v[42:43]
	v_fmac_f64_e32 v[0:1], v[26:27], v[42:43]
	v_lshl_add_u64 v[8:9], v[8:9], 0, s[14:15]
	s_cmp_lt_i32 s25, s21
	v_lshl_add_u64 v[10:11], v[10:11], 0, 64
	s_barrier
	s_cbranch_scc0 .LBB63_10
.LBB63_6:                               ; =>This Inner Loop Header: Depth=1
	v_add_u32_e32 v20, s25, v15
	v_cmp_gt_i32_e64 s[6:7], s21, v20
	s_and_b64 s[8:9], vcc, s[6:7]
	v_mov_b64_e32 v[20:21], 0
	s_and_saveexec_b64 s[6:7], s[8:9]
	s_cbranch_execz .LBB63_8
; %bb.7:                                ;   in Loop: Header=BB63_6 Depth=1
	global_load_dwordx2 v[20:21], v[8:9], off
.LBB63_8:                               ;   in Loop: Header=BB63_6 Depth=1
	s_or_b64 exec, exec, s[6:7]
	s_waitcnt vmcnt(0)
	ds_write_b64 v16, v[20:21]
	v_add_u32_e32 v20, s25, v14
	v_cmp_gt_i32_e64 s[6:7], s21, v20
	s_and_b64 s[8:9], s[6:7], s[2:3]
	v_mov_b64_e32 v[20:21], 0
	s_and_saveexec_b64 s[6:7], s[8:9]
	s_cbranch_execz .LBB63_5
; %bb.9:                                ;   in Loop: Header=BB63_6 Depth=1
	global_load_dwordx2 v[20:21], v[10:11], off
	s_branch .LBB63_5
.LBB63_10:
	s_load_dwordx2 s[2:3], s[0:1], 0x58
	s_load_dword s14, s[0:1], 0x50
	v_add_u32_e32 v14, s5, v12
	v_add_u32_e32 v8, s24, v13
	v_cmp_le_i32_e32 vcc, v14, v8
	s_waitcnt lgkmcnt(0)
	s_mul_i32 s1, s3, s4
	s_mul_hi_u32 s3, s2, s4
	s_mul_i32 s0, s2, s4
	s_add_i32 s1, s3, s1
	s_lshl_b64 s[0:1], s[0:1], 3
	s_add_u32 s6, s22, s0
	s_addc_u32 s7, s23, s1
	v_mad_i64_i32 v[10:11], s[0:1], v14, s14, 0
	v_cmp_neq_f64_e64 s[0:1], s[10:11], 0
	v_cmp_gt_i32_e64 s[2:3], s20, v8
	v_lshl_add_u64 v[10:11], v[10:11], 3, s[6:7]
	v_cndmask_b32_e64 v12, 0, 1, s[0:1]
	s_and_b64 s[8:9], vcc, s[2:3]
	v_ashrrev_i32_e32 v9, 31, v8
	v_cmp_ne_u32_e64 s[0:1], 1, v12
	s_and_saveexec_b64 s[4:5], s[8:9]
	s_cbranch_execz .LBB63_14
; %bb.11:
	v_mul_f64 v[6:7], s[12:13], v[6:7]
	s_and_b64 vcc, exec, s[0:1]
	v_lshl_add_u64 v[12:13], v[8:9], 3, v[10:11]
	s_cbranch_vccnz .LBB63_13
; %bb.12:
	global_load_dwordx2 v[16:17], v[12:13], off
	s_waitcnt vmcnt(0)
	v_fmac_f64_e32 v[6:7], s[10:11], v[16:17]
.LBB63_13:
	global_store_dwordx2 v[12:13], v[6:7], off
.LBB63_14:
	s_or_b64 exec, exec, s[4:5]
	v_add_u32_e32 v6, 16, v8
	v_cmp_le_i32_e32 vcc, v14, v6
	v_cmp_gt_i32_e64 s[4:5], s20, v6
	s_and_b64 s[16:17], vcc, s[4:5]
	v_ashrrev_i32_e32 v7, 31, v6
	s_and_saveexec_b64 s[8:9], s[16:17]
	s_cbranch_execz .LBB63_18
; %bb.15:
	v_mul_f64 v[4:5], s[12:13], v[4:5]
	s_and_b64 vcc, exec, s[0:1]
	v_lshl_add_u64 v[10:11], v[6:7], 3, v[10:11]
	s_cbranch_vccnz .LBB63_17
; %bb.16:
	global_load_dwordx2 v[12:13], v[10:11], off
	s_waitcnt vmcnt(0)
	v_fmac_f64_e32 v[4:5], s[10:11], v[12:13]
.LBB63_17:
	global_store_dwordx2 v[10:11], v[4:5], off
.LBB63_18:
	s_or_b64 exec, exec, s[8:9]
	v_add_u32_e32 v10, 16, v14
	v_mad_i64_i32 v[4:5], s[8:9], v10, s14, 0
	v_cmp_le_i32_e32 vcc, v10, v8
	v_lshl_add_u64 v[4:5], v[4:5], 3, s[6:7]
	s_and_b64 s[6:7], vcc, s[2:3]
	s_and_saveexec_b64 s[2:3], s[6:7]
	s_cbranch_execz .LBB63_22
; %bb.19:
	v_mul_f64 v[2:3], s[12:13], v[2:3]
	s_and_b64 vcc, exec, s[0:1]
	v_lshl_add_u64 v[8:9], v[8:9], 3, v[4:5]
	s_cbranch_vccnz .LBB63_21
; %bb.20:
	global_load_dwordx2 v[12:13], v[8:9], off
	s_waitcnt vmcnt(0)
	v_fmac_f64_e32 v[2:3], s[10:11], v[12:13]
.LBB63_21:
	global_store_dwordx2 v[8:9], v[2:3], off
.LBB63_22:
	s_or_b64 exec, exec, s[2:3]
	v_cmp_le_i32_e32 vcc, v10, v6
	s_and_b64 s[2:3], vcc, s[4:5]
	s_and_saveexec_b64 s[4:5], s[2:3]
	s_cbranch_execz .LBB63_26
; %bb.23:
	v_mul_f64 v[0:1], s[12:13], v[0:1]
	s_and_b64 vcc, exec, s[0:1]
	v_lshl_add_u64 v[2:3], v[6:7], 3, v[4:5]
	s_cbranch_vccnz .LBB63_25
; %bb.24:
	global_load_dwordx2 v[4:5], v[2:3], off
	s_waitcnt vmcnt(0)
	v_fmac_f64_e32 v[0:1], s[10:11], v[4:5]
.LBB63_25:
	global_store_dwordx2 v[2:3], v[0:1], off
.LBB63_26:
	s_endpgm
	.section	.rodata,"a",@progbits
	.p2align	6, 0x0
	.amdhsa_kernel _ZL29rocblas_internal_gemmt_kernelIiLi16ELi32ELi8ELc78ELc78ELc76ELb0ELb0EddPKdPdEviT_T9_T10_S3_lS5_S3_lS4_T11_S3_li
		.amdhsa_group_segment_fixed_size 4096
		.amdhsa_private_segment_fixed_size 0
		.amdhsa_kernarg_size 100
		.amdhsa_user_sgpr_count 2
		.amdhsa_user_sgpr_dispatch_ptr 0
		.amdhsa_user_sgpr_queue_ptr 0
		.amdhsa_user_sgpr_kernarg_segment_ptr 1
		.amdhsa_user_sgpr_dispatch_id 0
		.amdhsa_user_sgpr_kernarg_preload_length 0
		.amdhsa_user_sgpr_kernarg_preload_offset 0
		.amdhsa_user_sgpr_private_segment_size 0
		.amdhsa_uses_dynamic_stack 0
		.amdhsa_enable_private_segment 0
		.amdhsa_system_sgpr_workgroup_id_x 1
		.amdhsa_system_sgpr_workgroup_id_y 1
		.amdhsa_system_sgpr_workgroup_id_z 1
		.amdhsa_system_sgpr_workgroup_info 0
		.amdhsa_system_vgpr_workitem_id 1
		.amdhsa_next_free_vgpr 52
		.amdhsa_next_free_sgpr 29
		.amdhsa_accum_offset 52
		.amdhsa_reserve_vcc 1
		.amdhsa_float_round_mode_32 0
		.amdhsa_float_round_mode_16_64 0
		.amdhsa_float_denorm_mode_32 3
		.amdhsa_float_denorm_mode_16_64 3
		.amdhsa_dx10_clamp 1
		.amdhsa_ieee_mode 1
		.amdhsa_fp16_overflow 0
		.amdhsa_tg_split 0
		.amdhsa_exception_fp_ieee_invalid_op 0
		.amdhsa_exception_fp_denorm_src 0
		.amdhsa_exception_fp_ieee_div_zero 0
		.amdhsa_exception_fp_ieee_overflow 0
		.amdhsa_exception_fp_ieee_underflow 0
		.amdhsa_exception_fp_ieee_inexact 0
		.amdhsa_exception_int_div_zero 0
	.end_amdhsa_kernel
	.section	.text._ZL29rocblas_internal_gemmt_kernelIiLi16ELi32ELi8ELc78ELc78ELc76ELb0ELb0EddPKdPdEviT_T9_T10_S3_lS5_S3_lS4_T11_S3_li,"axG",@progbits,_ZL29rocblas_internal_gemmt_kernelIiLi16ELi32ELi8ELc78ELc78ELc76ELb0ELb0EddPKdPdEviT_T9_T10_S3_lS5_S3_lS4_T11_S3_li,comdat
.Lfunc_end63:
	.size	_ZL29rocblas_internal_gemmt_kernelIiLi16ELi32ELi8ELc78ELc78ELc76ELb0ELb0EddPKdPdEviT_T9_T10_S3_lS5_S3_lS4_T11_S3_li, .Lfunc_end63-_ZL29rocblas_internal_gemmt_kernelIiLi16ELi32ELi8ELc78ELc78ELc76ELb0ELb0EddPKdPdEviT_T9_T10_S3_lS5_S3_lS4_T11_S3_li
                                        ; -- End function
	.set _ZL29rocblas_internal_gemmt_kernelIiLi16ELi32ELi8ELc78ELc78ELc76ELb0ELb0EddPKdPdEviT_T9_T10_S3_lS5_S3_lS4_T11_S3_li.num_vgpr, 52
	.set _ZL29rocblas_internal_gemmt_kernelIiLi16ELi32ELi8ELc78ELc78ELc76ELb0ELb0EddPKdPdEviT_T9_T10_S3_lS5_S3_lS4_T11_S3_li.num_agpr, 0
	.set _ZL29rocblas_internal_gemmt_kernelIiLi16ELi32ELi8ELc78ELc78ELc76ELb0ELb0EddPKdPdEviT_T9_T10_S3_lS5_S3_lS4_T11_S3_li.numbered_sgpr, 29
	.set _ZL29rocblas_internal_gemmt_kernelIiLi16ELi32ELi8ELc78ELc78ELc76ELb0ELb0EddPKdPdEviT_T9_T10_S3_lS5_S3_lS4_T11_S3_li.num_named_barrier, 0
	.set _ZL29rocblas_internal_gemmt_kernelIiLi16ELi32ELi8ELc78ELc78ELc76ELb0ELb0EddPKdPdEviT_T9_T10_S3_lS5_S3_lS4_T11_S3_li.private_seg_size, 0
	.set _ZL29rocblas_internal_gemmt_kernelIiLi16ELi32ELi8ELc78ELc78ELc76ELb0ELb0EddPKdPdEviT_T9_T10_S3_lS5_S3_lS4_T11_S3_li.uses_vcc, 1
	.set _ZL29rocblas_internal_gemmt_kernelIiLi16ELi32ELi8ELc78ELc78ELc76ELb0ELb0EddPKdPdEviT_T9_T10_S3_lS5_S3_lS4_T11_S3_li.uses_flat_scratch, 0
	.set _ZL29rocblas_internal_gemmt_kernelIiLi16ELi32ELi8ELc78ELc78ELc76ELb0ELb0EddPKdPdEviT_T9_T10_S3_lS5_S3_lS4_T11_S3_li.has_dyn_sized_stack, 0
	.set _ZL29rocblas_internal_gemmt_kernelIiLi16ELi32ELi8ELc78ELc78ELc76ELb0ELb0EddPKdPdEviT_T9_T10_S3_lS5_S3_lS4_T11_S3_li.has_recursion, 0
	.set _ZL29rocblas_internal_gemmt_kernelIiLi16ELi32ELi8ELc78ELc78ELc76ELb0ELb0EddPKdPdEviT_T9_T10_S3_lS5_S3_lS4_T11_S3_li.has_indirect_call, 0
	.section	.AMDGPU.csdata,"",@progbits
; Kernel info:
; codeLenInByte = 1280
; TotalNumSgprs: 35
; NumVgprs: 52
; NumAgprs: 0
; TotalNumVgprs: 52
; ScratchSize: 0
; MemoryBound: 0
; FloatMode: 240
; IeeeMode: 1
; LDSByteSize: 4096 bytes/workgroup (compile time only)
; SGPRBlocks: 4
; VGPRBlocks: 6
; NumSGPRsForWavesPerEU: 35
; NumVGPRsForWavesPerEU: 52
; AccumOffset: 52
; Occupancy: 8
; WaveLimiterHint : 0
; COMPUTE_PGM_RSRC2:SCRATCH_EN: 0
; COMPUTE_PGM_RSRC2:USER_SGPR: 2
; COMPUTE_PGM_RSRC2:TRAP_HANDLER: 0
; COMPUTE_PGM_RSRC2:TGID_X_EN: 1
; COMPUTE_PGM_RSRC2:TGID_Y_EN: 1
; COMPUTE_PGM_RSRC2:TGID_Z_EN: 1
; COMPUTE_PGM_RSRC2:TIDIG_COMP_CNT: 1
; COMPUTE_PGM_RSRC3_GFX90A:ACCUM_OFFSET: 12
; COMPUTE_PGM_RSRC3_GFX90A:TG_SPLIT: 0
	.section	.text._ZL29rocblas_internal_gemmt_kernelIiLi16ELi32ELi8ELc78ELc84ELc76ELb0ELb0EddPKdPdEviT_T9_T10_S3_lS5_S3_lS4_T11_S3_li,"axG",@progbits,_ZL29rocblas_internal_gemmt_kernelIiLi16ELi32ELi8ELc78ELc84ELc76ELb0ELb0EddPKdPdEviT_T9_T10_S3_lS5_S3_lS4_T11_S3_li,comdat
	.globl	_ZL29rocblas_internal_gemmt_kernelIiLi16ELi32ELi8ELc78ELc84ELc76ELb0ELb0EddPKdPdEviT_T9_T10_S3_lS5_S3_lS4_T11_S3_li ; -- Begin function _ZL29rocblas_internal_gemmt_kernelIiLi16ELi32ELi8ELc78ELc84ELc76ELb0ELb0EddPKdPdEviT_T9_T10_S3_lS5_S3_lS4_T11_S3_li
	.p2align	8
	.type	_ZL29rocblas_internal_gemmt_kernelIiLi16ELi32ELi8ELc78ELc84ELc76ELb0ELb0EddPKdPdEviT_T9_T10_S3_lS5_S3_lS4_T11_S3_li,@function
_ZL29rocblas_internal_gemmt_kernelIiLi16ELi32ELi8ELc78ELc84ELc76ELb0ELb0EddPKdPdEviT_T9_T10_S3_lS5_S3_lS4_T11_S3_li: ; @_ZL29rocblas_internal_gemmt_kernelIiLi16ELi32ELi8ELc78ELc84ELc76ELb0ELb0EddPKdPdEviT_T9_T10_S3_lS5_S3_lS4_T11_S3_li
; %bb.0:
	s_load_dwordx4 s[8:11], s[0:1], 0x38
	s_load_dwordx2 s[20:21], s[0:1], 0x0
	s_load_dwordx4 s[12:15], s[0:1], 0x8
	s_waitcnt lgkmcnt(0)
	v_cmp_neq_f64_e64 s[6:7], s[10:11], 1.0
	s_and_b64 vcc, exec, s[6:7]
	s_cbranch_vccnz .LBB64_2
; %bb.1:
	s_cmp_lg_u32 s21, 0
	s_cselect_b64 s[6:7], -1, 0
	v_cmp_neq_f64_e64 s[16:17], s[12:13], 0
	s_and_b64 s[6:7], s[6:7], s[16:17]
.LBB64_2:
	s_andn2_b64 vcc, exec, s[6:7]
	s_cbranch_vccnz .LBB64_26
; %bb.3:
	s_load_dwordx2 s[22:23], s[0:1], 0x48
	s_lshl_b32 s24, s2, 5
	s_lshl_b32 s5, s3, 5
	s_cmp_lt_i32 s21, 1
	v_cmp_eq_f64_e64 s[2:3], s[12:13], 0
	s_cselect_b64 s[6:7], -1, 0
	s_or_b64 s[2:3], s[2:3], s[6:7]
	v_and_b32_e32 v13, 0x3ff, v0
	v_bfe_u32 v12, v0, 10, 10
	s_mov_b32 s25, 0
	v_mov_b64_e32 v[6:7], 0
	s_and_b64 vcc, exec, s[2:3]
	v_mov_b64_e32 v[4:5], 0
	v_mov_b64_e32 v[2:3], 0
	;; [unrolled: 1-line block ×3, first 2 shown]
	s_cbranch_vccnz .LBB64_10
; %bb.4:
	v_lshl_add_u32 v1, v12, 4, v13
	v_and_b32_e32 v4, 31, v1
	v_lshrrev_b32_e32 v15, 5, v1
	v_lshrrev_b32_e32 v2, 3, v1
	v_or_b32_e32 v1, s24, v4
	s_load_dword s6, s[0:1], 0x18
	s_load_dwordx4 s[16:19], s[0:1], 0x20
	s_load_dword s26, s[0:1], 0x30
	v_and_b32_e32 v14, 7, v13
	v_cmp_gt_i32_e32 vcc, s20, v1
	v_lshlrev_b32_e32 v1, 3, v4
	v_lshl_or_b32 v16, v15, 8, v1
	v_lshlrev_b32_e32 v1, 3, v14
	v_add_u32_e32 v0, s5, v2
	v_lshl_or_b32 v1, v2, 6, v1
	v_mov_b32_e32 v2, 0x800
	v_lshl_add_u32 v19, v12, 6, v2
	s_waitcnt lgkmcnt(0)
	v_mad_i64_i32 v[2:3], s[28:29], v15, s6, 0
	s_mul_i32 s17, s17, s4
	s_mul_hi_u32 s28, s16, s4
	s_add_i32 s17, s28, s17
	s_mul_i32 s16, s16, s4
	s_lshl_b64 s[16:17], s[16:17], 3
	v_add_u32_e32 v4, s24, v4
	v_lshl_add_u64 v[2:3], v[2:3], 3, s[16:17]
	v_ashrrev_i32_e32 v5, 31, v4
	s_ashr_i32 s7, s6, 31
	v_lshl_add_u64 v[2:3], v[4:5], 3, v[2:3]
	v_lshl_add_u64 v[8:9], s[14:15], 0, v[2:3]
	s_lshl_b64 s[14:15], s[6:7], 6
	s_mul_i32 s6, s9, s4
	s_mul_hi_u32 s7, s8, s4
	s_add_i32 s7, s7, s6
	s_mul_i32 s6, s8, s4
	v_mad_i64_i32 v[2:3], s[8:9], s26, v14, 0
	v_lshlrev_b64 v[2:3], 3, v[2:3]
	v_add_u32_e32 v17, 0x800, v1
	v_ashrrev_i32_e32 v1, 31, v0
	v_lshl_add_u64 v[2:3], s[6:7], 3, v[2:3]
	s_ashr_i32 s27, s26, 31
	v_cmp_gt_i32_e64 s[2:3], s20, v0
	v_lshl_add_u64 v[0:1], v[0:1], 3, v[2:3]
	v_lshlrev_b32_e32 v18, 3, v13
	v_lshl_add_u64 v[10:11], s[18:19], 0, v[0:1]
	s_lshl_b64 s[8:9], s[26:27], 6
	v_mov_b64_e32 v[0:1], 0
	v_mov_b64_e32 v[2:3], 0
	;; [unrolled: 1-line block ×4, first 2 shown]
	s_branch .LBB64_6
.LBB64_5:                               ;   in Loop: Header=BB64_6 Depth=1
	s_or_b64 exec, exec, s[6:7]
	s_waitcnt vmcnt(0)
	ds_write_b64 v17, v[20:21]
	s_waitcnt lgkmcnt(0)
	s_barrier
	ds_read2_b64 v[20:23], v18 offset1:16
	ds_read_b128 v[24:27], v19
	ds_read_b128 v[28:31], v19 offset:16
	ds_read_b128 v[32:35], v19 offset:32
	;; [unrolled: 1-line block ×4, first 2 shown]
	ds_read2_b64 v[44:47], v18 offset0:32 offset1:48
	s_waitcnt lgkmcnt(5)
	v_fmac_f64_e32 v[6:7], v[20:21], v[24:25]
	v_fmac_f64_e32 v[4:5], v[22:23], v[24:25]
	ds_read_b128 v[48:51], v19 offset:1040
	s_waitcnt lgkmcnt(2)
	v_fmac_f64_e32 v[2:3], v[20:21], v[40:41]
	v_fmac_f64_e32 v[0:1], v[22:23], v[40:41]
	ds_read2_b64 v[20:23], v18 offset0:64 offset1:80
	s_waitcnt lgkmcnt(2)
	v_fmac_f64_e32 v[6:7], v[44:45], v[26:27]
	v_fmac_f64_e32 v[4:5], v[46:47], v[26:27]
	ds_read2_b64 v[24:27], v18 offset0:96 offset1:112
	v_fmac_f64_e32 v[2:3], v[44:45], v[42:43]
	v_fmac_f64_e32 v[0:1], v[46:47], v[42:43]
	s_waitcnt lgkmcnt(1)
	v_fmac_f64_e32 v[6:7], v[20:21], v[28:29]
	v_fmac_f64_e32 v[4:5], v[22:23], v[28:29]
	ds_read_b128 v[40:43], v19 offset:1072
	v_fmac_f64_e32 v[2:3], v[20:21], v[48:49]
	v_fmac_f64_e32 v[0:1], v[22:23], v[48:49]
	s_waitcnt lgkmcnt(1)
	v_fmac_f64_e32 v[6:7], v[24:25], v[30:31]
	ds_read2_b64 v[20:23], v18 offset0:128 offset1:144
	v_fmac_f64_e32 v[4:5], v[26:27], v[30:31]
	v_fmac_f64_e32 v[2:3], v[24:25], v[50:51]
	;; [unrolled: 1-line block ×3, first 2 shown]
	ds_read_b128 v[24:27], v19 offset:1056
	ds_read2_b64 v[28:31], v18 offset0:160 offset1:176
	s_waitcnt lgkmcnt(2)
	v_fmac_f64_e32 v[6:7], v[20:21], v[32:33]
	v_fmac_f64_e32 v[4:5], v[22:23], v[32:33]
	s_add_i32 s25, s25, 8
	s_waitcnt lgkmcnt(1)
	v_fmac_f64_e32 v[2:3], v[20:21], v[24:25]
	v_fmac_f64_e32 v[0:1], v[22:23], v[24:25]
	ds_read2_b64 v[20:23], v18 offset0:192 offset1:208
	s_waitcnt lgkmcnt(1)
	v_fmac_f64_e32 v[2:3], v[28:29], v[26:27]
	v_fmac_f64_e32 v[0:1], v[30:31], v[26:27]
	ds_read2_b64 v[24:27], v18 offset0:224 offset1:240
	v_fmac_f64_e32 v[6:7], v[28:29], v[34:35]
	v_fmac_f64_e32 v[4:5], v[30:31], v[34:35]
	s_waitcnt lgkmcnt(1)
	v_fmac_f64_e32 v[6:7], v[20:21], v[36:37]
	v_fmac_f64_e32 v[4:5], v[22:23], v[36:37]
	;; [unrolled: 1-line block ×4, first 2 shown]
	s_waitcnt lgkmcnt(0)
	v_fmac_f64_e32 v[6:7], v[24:25], v[38:39]
	v_fmac_f64_e32 v[4:5], v[26:27], v[38:39]
	;; [unrolled: 1-line block ×4, first 2 shown]
	v_lshl_add_u64 v[8:9], v[8:9], 0, s[14:15]
	s_cmp_lt_i32 s25, s21
	v_lshl_add_u64 v[10:11], v[10:11], 0, s[8:9]
	s_barrier
	s_cbranch_scc0 .LBB64_10
.LBB64_6:                               ; =>This Inner Loop Header: Depth=1
	v_add_u32_e32 v20, s25, v15
	v_cmp_gt_i32_e64 s[6:7], s21, v20
	s_and_b64 s[16:17], vcc, s[6:7]
	v_mov_b64_e32 v[20:21], 0
	s_and_saveexec_b64 s[6:7], s[16:17]
	s_cbranch_execz .LBB64_8
; %bb.7:                                ;   in Loop: Header=BB64_6 Depth=1
	global_load_dwordx2 v[20:21], v[8:9], off
.LBB64_8:                               ;   in Loop: Header=BB64_6 Depth=1
	s_or_b64 exec, exec, s[6:7]
	s_waitcnt vmcnt(0)
	ds_write_b64 v16, v[20:21]
	v_add_u32_e32 v20, s25, v14
	v_cmp_gt_i32_e64 s[6:7], s21, v20
	s_and_b64 s[16:17], s[6:7], s[2:3]
	v_mov_b64_e32 v[20:21], 0
	s_and_saveexec_b64 s[6:7], s[16:17]
	s_cbranch_execz .LBB64_5
; %bb.9:                                ;   in Loop: Header=BB64_6 Depth=1
	global_load_dwordx2 v[20:21], v[10:11], off
	s_branch .LBB64_5
.LBB64_10:
	s_load_dwordx2 s[2:3], s[0:1], 0x58
	s_load_dword s14, s[0:1], 0x50
	v_add_u32_e32 v14, s5, v12
	v_add_u32_e32 v8, s24, v13
	v_cmp_le_i32_e32 vcc, v14, v8
	s_waitcnt lgkmcnt(0)
	s_mul_i32 s1, s3, s4
	s_mul_hi_u32 s3, s2, s4
	s_mul_i32 s0, s2, s4
	s_add_i32 s1, s3, s1
	s_lshl_b64 s[0:1], s[0:1], 3
	s_add_u32 s6, s22, s0
	s_addc_u32 s7, s23, s1
	v_mad_i64_i32 v[10:11], s[0:1], v14, s14, 0
	v_cmp_neq_f64_e64 s[0:1], s[10:11], 0
	v_cmp_gt_i32_e64 s[2:3], s20, v8
	v_lshl_add_u64 v[10:11], v[10:11], 3, s[6:7]
	v_cndmask_b32_e64 v12, 0, 1, s[0:1]
	s_and_b64 s[8:9], vcc, s[2:3]
	v_ashrrev_i32_e32 v9, 31, v8
	v_cmp_ne_u32_e64 s[0:1], 1, v12
	s_and_saveexec_b64 s[4:5], s[8:9]
	s_cbranch_execz .LBB64_14
; %bb.11:
	v_mul_f64 v[6:7], s[12:13], v[6:7]
	s_and_b64 vcc, exec, s[0:1]
	v_lshl_add_u64 v[12:13], v[8:9], 3, v[10:11]
	s_cbranch_vccnz .LBB64_13
; %bb.12:
	global_load_dwordx2 v[16:17], v[12:13], off
	s_waitcnt vmcnt(0)
	v_fmac_f64_e32 v[6:7], s[10:11], v[16:17]
.LBB64_13:
	global_store_dwordx2 v[12:13], v[6:7], off
.LBB64_14:
	s_or_b64 exec, exec, s[4:5]
	v_add_u32_e32 v6, 16, v8
	v_cmp_le_i32_e32 vcc, v14, v6
	v_cmp_gt_i32_e64 s[4:5], s20, v6
	s_and_b64 s[16:17], vcc, s[4:5]
	v_ashrrev_i32_e32 v7, 31, v6
	s_and_saveexec_b64 s[8:9], s[16:17]
	s_cbranch_execz .LBB64_18
; %bb.15:
	v_mul_f64 v[4:5], s[12:13], v[4:5]
	s_and_b64 vcc, exec, s[0:1]
	v_lshl_add_u64 v[10:11], v[6:7], 3, v[10:11]
	s_cbranch_vccnz .LBB64_17
; %bb.16:
	global_load_dwordx2 v[12:13], v[10:11], off
	s_waitcnt vmcnt(0)
	v_fmac_f64_e32 v[4:5], s[10:11], v[12:13]
.LBB64_17:
	global_store_dwordx2 v[10:11], v[4:5], off
.LBB64_18:
	s_or_b64 exec, exec, s[8:9]
	v_add_u32_e32 v10, 16, v14
	v_mad_i64_i32 v[4:5], s[8:9], v10, s14, 0
	v_cmp_le_i32_e32 vcc, v10, v8
	v_lshl_add_u64 v[4:5], v[4:5], 3, s[6:7]
	s_and_b64 s[6:7], vcc, s[2:3]
	s_and_saveexec_b64 s[2:3], s[6:7]
	s_cbranch_execz .LBB64_22
; %bb.19:
	v_mul_f64 v[2:3], s[12:13], v[2:3]
	s_and_b64 vcc, exec, s[0:1]
	v_lshl_add_u64 v[8:9], v[8:9], 3, v[4:5]
	s_cbranch_vccnz .LBB64_21
; %bb.20:
	global_load_dwordx2 v[12:13], v[8:9], off
	s_waitcnt vmcnt(0)
	v_fmac_f64_e32 v[2:3], s[10:11], v[12:13]
.LBB64_21:
	global_store_dwordx2 v[8:9], v[2:3], off
.LBB64_22:
	s_or_b64 exec, exec, s[2:3]
	v_cmp_le_i32_e32 vcc, v10, v6
	s_and_b64 s[2:3], vcc, s[4:5]
	s_and_saveexec_b64 s[4:5], s[2:3]
	s_cbranch_execz .LBB64_26
; %bb.23:
	v_mul_f64 v[0:1], s[12:13], v[0:1]
	s_and_b64 vcc, exec, s[0:1]
	v_lshl_add_u64 v[2:3], v[6:7], 3, v[4:5]
	s_cbranch_vccnz .LBB64_25
; %bb.24:
	global_load_dwordx2 v[4:5], v[2:3], off
	s_waitcnt vmcnt(0)
	v_fmac_f64_e32 v[0:1], s[10:11], v[4:5]
.LBB64_25:
	global_store_dwordx2 v[2:3], v[0:1], off
.LBB64_26:
	s_endpgm
	.section	.rodata,"a",@progbits
	.p2align	6, 0x0
	.amdhsa_kernel _ZL29rocblas_internal_gemmt_kernelIiLi16ELi32ELi8ELc78ELc84ELc76ELb0ELb0EddPKdPdEviT_T9_T10_S3_lS5_S3_lS4_T11_S3_li
		.amdhsa_group_segment_fixed_size 4096
		.amdhsa_private_segment_fixed_size 0
		.amdhsa_kernarg_size 100
		.amdhsa_user_sgpr_count 2
		.amdhsa_user_sgpr_dispatch_ptr 0
		.amdhsa_user_sgpr_queue_ptr 0
		.amdhsa_user_sgpr_kernarg_segment_ptr 1
		.amdhsa_user_sgpr_dispatch_id 0
		.amdhsa_user_sgpr_kernarg_preload_length 0
		.amdhsa_user_sgpr_kernarg_preload_offset 0
		.amdhsa_user_sgpr_private_segment_size 0
		.amdhsa_uses_dynamic_stack 0
		.amdhsa_enable_private_segment 0
		.amdhsa_system_sgpr_workgroup_id_x 1
		.amdhsa_system_sgpr_workgroup_id_y 1
		.amdhsa_system_sgpr_workgroup_id_z 1
		.amdhsa_system_sgpr_workgroup_info 0
		.amdhsa_system_vgpr_workitem_id 1
		.amdhsa_next_free_vgpr 52
		.amdhsa_next_free_sgpr 30
		.amdhsa_accum_offset 52
		.amdhsa_reserve_vcc 1
		.amdhsa_float_round_mode_32 0
		.amdhsa_float_round_mode_16_64 0
		.amdhsa_float_denorm_mode_32 3
		.amdhsa_float_denorm_mode_16_64 3
		.amdhsa_dx10_clamp 1
		.amdhsa_ieee_mode 1
		.amdhsa_fp16_overflow 0
		.amdhsa_tg_split 0
		.amdhsa_exception_fp_ieee_invalid_op 0
		.amdhsa_exception_fp_denorm_src 0
		.amdhsa_exception_fp_ieee_div_zero 0
		.amdhsa_exception_fp_ieee_overflow 0
		.amdhsa_exception_fp_ieee_underflow 0
		.amdhsa_exception_fp_ieee_inexact 0
		.amdhsa_exception_int_div_zero 0
	.end_amdhsa_kernel
	.section	.text._ZL29rocblas_internal_gemmt_kernelIiLi16ELi32ELi8ELc78ELc84ELc76ELb0ELb0EddPKdPdEviT_T9_T10_S3_lS5_S3_lS4_T11_S3_li,"axG",@progbits,_ZL29rocblas_internal_gemmt_kernelIiLi16ELi32ELi8ELc78ELc84ELc76ELb0ELb0EddPKdPdEviT_T9_T10_S3_lS5_S3_lS4_T11_S3_li,comdat
.Lfunc_end64:
	.size	_ZL29rocblas_internal_gemmt_kernelIiLi16ELi32ELi8ELc78ELc84ELc76ELb0ELb0EddPKdPdEviT_T9_T10_S3_lS5_S3_lS4_T11_S3_li, .Lfunc_end64-_ZL29rocblas_internal_gemmt_kernelIiLi16ELi32ELi8ELc78ELc84ELc76ELb0ELb0EddPKdPdEviT_T9_T10_S3_lS5_S3_lS4_T11_S3_li
                                        ; -- End function
	.set _ZL29rocblas_internal_gemmt_kernelIiLi16ELi32ELi8ELc78ELc84ELc76ELb0ELb0EddPKdPdEviT_T9_T10_S3_lS5_S3_lS4_T11_S3_li.num_vgpr, 52
	.set _ZL29rocblas_internal_gemmt_kernelIiLi16ELi32ELi8ELc78ELc84ELc76ELb0ELb0EddPKdPdEviT_T9_T10_S3_lS5_S3_lS4_T11_S3_li.num_agpr, 0
	.set _ZL29rocblas_internal_gemmt_kernelIiLi16ELi32ELi8ELc78ELc84ELc76ELb0ELb0EddPKdPdEviT_T9_T10_S3_lS5_S3_lS4_T11_S3_li.numbered_sgpr, 30
	.set _ZL29rocblas_internal_gemmt_kernelIiLi16ELi32ELi8ELc78ELc84ELc76ELb0ELb0EddPKdPdEviT_T9_T10_S3_lS5_S3_lS4_T11_S3_li.num_named_barrier, 0
	.set _ZL29rocblas_internal_gemmt_kernelIiLi16ELi32ELi8ELc78ELc84ELc76ELb0ELb0EddPKdPdEviT_T9_T10_S3_lS5_S3_lS4_T11_S3_li.private_seg_size, 0
	.set _ZL29rocblas_internal_gemmt_kernelIiLi16ELi32ELi8ELc78ELc84ELc76ELb0ELb0EddPKdPdEviT_T9_T10_S3_lS5_S3_lS4_T11_S3_li.uses_vcc, 1
	.set _ZL29rocblas_internal_gemmt_kernelIiLi16ELi32ELi8ELc78ELc84ELc76ELb0ELb0EddPKdPdEviT_T9_T10_S3_lS5_S3_lS4_T11_S3_li.uses_flat_scratch, 0
	.set _ZL29rocblas_internal_gemmt_kernelIiLi16ELi32ELi8ELc78ELc84ELc76ELb0ELb0EddPKdPdEviT_T9_T10_S3_lS5_S3_lS4_T11_S3_li.has_dyn_sized_stack, 0
	.set _ZL29rocblas_internal_gemmt_kernelIiLi16ELi32ELi8ELc78ELc84ELc76ELb0ELb0EddPKdPdEviT_T9_T10_S3_lS5_S3_lS4_T11_S3_li.has_recursion, 0
	.set _ZL29rocblas_internal_gemmt_kernelIiLi16ELi32ELi8ELc78ELc84ELc76ELb0ELb0EddPKdPdEviT_T9_T10_S3_lS5_S3_lS4_T11_S3_li.has_indirect_call, 0
	.section	.AMDGPU.csdata,"",@progbits
; Kernel info:
; codeLenInByte = 1292
; TotalNumSgprs: 36
; NumVgprs: 52
; NumAgprs: 0
; TotalNumVgprs: 52
; ScratchSize: 0
; MemoryBound: 0
; FloatMode: 240
; IeeeMode: 1
; LDSByteSize: 4096 bytes/workgroup (compile time only)
; SGPRBlocks: 4
; VGPRBlocks: 6
; NumSGPRsForWavesPerEU: 36
; NumVGPRsForWavesPerEU: 52
; AccumOffset: 52
; Occupancy: 8
; WaveLimiterHint : 0
; COMPUTE_PGM_RSRC2:SCRATCH_EN: 0
; COMPUTE_PGM_RSRC2:USER_SGPR: 2
; COMPUTE_PGM_RSRC2:TRAP_HANDLER: 0
; COMPUTE_PGM_RSRC2:TGID_X_EN: 1
; COMPUTE_PGM_RSRC2:TGID_Y_EN: 1
; COMPUTE_PGM_RSRC2:TGID_Z_EN: 1
; COMPUTE_PGM_RSRC2:TIDIG_COMP_CNT: 1
; COMPUTE_PGM_RSRC3_GFX90A:ACCUM_OFFSET: 12
; COMPUTE_PGM_RSRC3_GFX90A:TG_SPLIT: 0
	.section	.text._ZL29rocblas_internal_gemmt_kernelIiLi16ELi32ELi8ELc78ELc67ELc76ELb0ELb0EddPKdPdEviT_T9_T10_S3_lS5_S3_lS4_T11_S3_li,"axG",@progbits,_ZL29rocblas_internal_gemmt_kernelIiLi16ELi32ELi8ELc78ELc67ELc76ELb0ELb0EddPKdPdEviT_T9_T10_S3_lS5_S3_lS4_T11_S3_li,comdat
	.globl	_ZL29rocblas_internal_gemmt_kernelIiLi16ELi32ELi8ELc78ELc67ELc76ELb0ELb0EddPKdPdEviT_T9_T10_S3_lS5_S3_lS4_T11_S3_li ; -- Begin function _ZL29rocblas_internal_gemmt_kernelIiLi16ELi32ELi8ELc78ELc67ELc76ELb0ELb0EddPKdPdEviT_T9_T10_S3_lS5_S3_lS4_T11_S3_li
	.p2align	8
	.type	_ZL29rocblas_internal_gemmt_kernelIiLi16ELi32ELi8ELc78ELc67ELc76ELb0ELb0EddPKdPdEviT_T9_T10_S3_lS5_S3_lS4_T11_S3_li,@function
_ZL29rocblas_internal_gemmt_kernelIiLi16ELi32ELi8ELc78ELc67ELc76ELb0ELb0EddPKdPdEviT_T9_T10_S3_lS5_S3_lS4_T11_S3_li: ; @_ZL29rocblas_internal_gemmt_kernelIiLi16ELi32ELi8ELc78ELc67ELc76ELb0ELb0EddPKdPdEviT_T9_T10_S3_lS5_S3_lS4_T11_S3_li
; %bb.0:
	s_load_dwordx4 s[8:11], s[0:1], 0x38
	s_load_dwordx2 s[20:21], s[0:1], 0x0
	s_load_dwordx4 s[12:15], s[0:1], 0x8
	s_waitcnt lgkmcnt(0)
	v_cmp_neq_f64_e64 s[6:7], s[10:11], 1.0
	s_and_b64 vcc, exec, s[6:7]
	s_cbranch_vccnz .LBB65_2
; %bb.1:
	s_cmp_lg_u32 s21, 0
	s_cselect_b64 s[6:7], -1, 0
	v_cmp_neq_f64_e64 s[16:17], s[12:13], 0
	s_and_b64 s[6:7], s[6:7], s[16:17]
.LBB65_2:
	s_andn2_b64 vcc, exec, s[6:7]
	s_cbranch_vccnz .LBB65_26
; %bb.3:
	s_load_dwordx2 s[22:23], s[0:1], 0x48
	s_lshl_b32 s24, s2, 5
	s_lshl_b32 s5, s3, 5
	s_cmp_lt_i32 s21, 1
	v_cmp_eq_f64_e64 s[2:3], s[12:13], 0
	s_cselect_b64 s[6:7], -1, 0
	s_or_b64 s[2:3], s[2:3], s[6:7]
	v_and_b32_e32 v13, 0x3ff, v0
	v_bfe_u32 v12, v0, 10, 10
	s_mov_b32 s25, 0
	v_mov_b64_e32 v[6:7], 0
	s_and_b64 vcc, exec, s[2:3]
	v_mov_b64_e32 v[4:5], 0
	v_mov_b64_e32 v[2:3], 0
	;; [unrolled: 1-line block ×3, first 2 shown]
	s_cbranch_vccnz .LBB65_10
; %bb.4:
	v_lshl_add_u32 v1, v12, 4, v13
	v_and_b32_e32 v4, 31, v1
	v_lshrrev_b32_e32 v15, 5, v1
	v_lshrrev_b32_e32 v2, 3, v1
	v_or_b32_e32 v1, s24, v4
	s_load_dword s6, s[0:1], 0x18
	s_load_dwordx4 s[16:19], s[0:1], 0x20
	s_load_dword s26, s[0:1], 0x30
	v_and_b32_e32 v14, 7, v13
	v_cmp_gt_i32_e32 vcc, s20, v1
	v_lshlrev_b32_e32 v1, 3, v4
	v_lshl_or_b32 v16, v15, 8, v1
	v_lshlrev_b32_e32 v1, 3, v14
	v_add_u32_e32 v0, s5, v2
	v_lshl_or_b32 v1, v2, 6, v1
	v_mov_b32_e32 v2, 0x800
	v_lshl_add_u32 v19, v12, 6, v2
	s_waitcnt lgkmcnt(0)
	v_mad_i64_i32 v[2:3], s[28:29], v15, s6, 0
	s_mul_i32 s17, s17, s4
	s_mul_hi_u32 s28, s16, s4
	s_add_i32 s17, s28, s17
	s_mul_i32 s16, s16, s4
	s_lshl_b64 s[16:17], s[16:17], 3
	v_add_u32_e32 v4, s24, v4
	v_lshl_add_u64 v[2:3], v[2:3], 3, s[16:17]
	v_ashrrev_i32_e32 v5, 31, v4
	s_ashr_i32 s7, s6, 31
	v_lshl_add_u64 v[2:3], v[4:5], 3, v[2:3]
	v_lshl_add_u64 v[8:9], s[14:15], 0, v[2:3]
	s_lshl_b64 s[14:15], s[6:7], 6
	s_mul_i32 s6, s9, s4
	s_mul_hi_u32 s7, s8, s4
	s_add_i32 s7, s7, s6
	s_mul_i32 s6, s8, s4
	v_mad_i64_i32 v[2:3], s[8:9], s26, v14, 0
	v_lshlrev_b64 v[2:3], 3, v[2:3]
	v_add_u32_e32 v17, 0x800, v1
	v_ashrrev_i32_e32 v1, 31, v0
	v_lshl_add_u64 v[2:3], s[6:7], 3, v[2:3]
	s_ashr_i32 s27, s26, 31
	v_cmp_gt_i32_e64 s[2:3], s20, v0
	v_lshl_add_u64 v[0:1], v[0:1], 3, v[2:3]
	v_lshlrev_b32_e32 v18, 3, v13
	v_lshl_add_u64 v[10:11], s[18:19], 0, v[0:1]
	s_lshl_b64 s[8:9], s[26:27], 6
	v_mov_b64_e32 v[0:1], 0
	v_mov_b64_e32 v[2:3], 0
	v_mov_b64_e32 v[4:5], 0
	v_mov_b64_e32 v[6:7], 0
	s_branch .LBB65_6
.LBB65_5:                               ;   in Loop: Header=BB65_6 Depth=1
	s_or_b64 exec, exec, s[6:7]
	s_waitcnt vmcnt(0)
	ds_write_b64 v17, v[20:21]
	s_waitcnt lgkmcnt(0)
	s_barrier
	ds_read2_b64 v[20:23], v18 offset1:16
	ds_read_b128 v[24:27], v19
	ds_read_b128 v[28:31], v19 offset:16
	ds_read_b128 v[32:35], v19 offset:32
	;; [unrolled: 1-line block ×4, first 2 shown]
	ds_read2_b64 v[44:47], v18 offset0:32 offset1:48
	s_waitcnt lgkmcnt(5)
	v_fmac_f64_e32 v[6:7], v[20:21], v[24:25]
	v_fmac_f64_e32 v[4:5], v[22:23], v[24:25]
	ds_read_b128 v[48:51], v19 offset:1040
	s_waitcnt lgkmcnt(2)
	v_fmac_f64_e32 v[2:3], v[20:21], v[40:41]
	v_fmac_f64_e32 v[0:1], v[22:23], v[40:41]
	ds_read2_b64 v[20:23], v18 offset0:64 offset1:80
	s_waitcnt lgkmcnt(2)
	v_fmac_f64_e32 v[6:7], v[44:45], v[26:27]
	v_fmac_f64_e32 v[4:5], v[46:47], v[26:27]
	ds_read2_b64 v[24:27], v18 offset0:96 offset1:112
	v_fmac_f64_e32 v[2:3], v[44:45], v[42:43]
	v_fmac_f64_e32 v[0:1], v[46:47], v[42:43]
	s_waitcnt lgkmcnt(1)
	v_fmac_f64_e32 v[6:7], v[20:21], v[28:29]
	v_fmac_f64_e32 v[4:5], v[22:23], v[28:29]
	ds_read_b128 v[40:43], v19 offset:1072
	v_fmac_f64_e32 v[2:3], v[20:21], v[48:49]
	v_fmac_f64_e32 v[0:1], v[22:23], v[48:49]
	s_waitcnt lgkmcnt(1)
	v_fmac_f64_e32 v[6:7], v[24:25], v[30:31]
	ds_read2_b64 v[20:23], v18 offset0:128 offset1:144
	v_fmac_f64_e32 v[4:5], v[26:27], v[30:31]
	v_fmac_f64_e32 v[2:3], v[24:25], v[50:51]
	;; [unrolled: 1-line block ×3, first 2 shown]
	ds_read_b128 v[24:27], v19 offset:1056
	ds_read2_b64 v[28:31], v18 offset0:160 offset1:176
	s_waitcnt lgkmcnt(2)
	v_fmac_f64_e32 v[6:7], v[20:21], v[32:33]
	v_fmac_f64_e32 v[4:5], v[22:23], v[32:33]
	s_add_i32 s25, s25, 8
	s_waitcnt lgkmcnt(1)
	v_fmac_f64_e32 v[2:3], v[20:21], v[24:25]
	v_fmac_f64_e32 v[0:1], v[22:23], v[24:25]
	ds_read2_b64 v[20:23], v18 offset0:192 offset1:208
	s_waitcnt lgkmcnt(1)
	v_fmac_f64_e32 v[2:3], v[28:29], v[26:27]
	v_fmac_f64_e32 v[0:1], v[30:31], v[26:27]
	ds_read2_b64 v[24:27], v18 offset0:224 offset1:240
	v_fmac_f64_e32 v[6:7], v[28:29], v[34:35]
	v_fmac_f64_e32 v[4:5], v[30:31], v[34:35]
	s_waitcnt lgkmcnt(1)
	v_fmac_f64_e32 v[6:7], v[20:21], v[36:37]
	v_fmac_f64_e32 v[4:5], v[22:23], v[36:37]
	;; [unrolled: 1-line block ×4, first 2 shown]
	s_waitcnt lgkmcnt(0)
	v_fmac_f64_e32 v[6:7], v[24:25], v[38:39]
	v_fmac_f64_e32 v[4:5], v[26:27], v[38:39]
	;; [unrolled: 1-line block ×4, first 2 shown]
	v_lshl_add_u64 v[8:9], v[8:9], 0, s[14:15]
	s_cmp_lt_i32 s25, s21
	v_lshl_add_u64 v[10:11], v[10:11], 0, s[8:9]
	s_barrier
	s_cbranch_scc0 .LBB65_10
.LBB65_6:                               ; =>This Inner Loop Header: Depth=1
	v_add_u32_e32 v20, s25, v15
	v_cmp_gt_i32_e64 s[6:7], s21, v20
	s_and_b64 s[16:17], vcc, s[6:7]
	v_mov_b64_e32 v[20:21], 0
	s_and_saveexec_b64 s[6:7], s[16:17]
	s_cbranch_execz .LBB65_8
; %bb.7:                                ;   in Loop: Header=BB65_6 Depth=1
	global_load_dwordx2 v[20:21], v[8:9], off
.LBB65_8:                               ;   in Loop: Header=BB65_6 Depth=1
	s_or_b64 exec, exec, s[6:7]
	s_waitcnt vmcnt(0)
	ds_write_b64 v16, v[20:21]
	v_add_u32_e32 v20, s25, v14
	v_cmp_gt_i32_e64 s[6:7], s21, v20
	s_and_b64 s[16:17], s[6:7], s[2:3]
	v_mov_b64_e32 v[20:21], 0
	s_and_saveexec_b64 s[6:7], s[16:17]
	s_cbranch_execz .LBB65_5
; %bb.9:                                ;   in Loop: Header=BB65_6 Depth=1
	global_load_dwordx2 v[20:21], v[10:11], off
	s_branch .LBB65_5
.LBB65_10:
	s_load_dwordx2 s[2:3], s[0:1], 0x58
	s_load_dword s14, s[0:1], 0x50
	v_add_u32_e32 v14, s5, v12
	v_add_u32_e32 v8, s24, v13
	v_cmp_le_i32_e32 vcc, v14, v8
	s_waitcnt lgkmcnt(0)
	s_mul_i32 s1, s3, s4
	s_mul_hi_u32 s3, s2, s4
	s_mul_i32 s0, s2, s4
	s_add_i32 s1, s3, s1
	s_lshl_b64 s[0:1], s[0:1], 3
	s_add_u32 s6, s22, s0
	s_addc_u32 s7, s23, s1
	v_mad_i64_i32 v[10:11], s[0:1], v14, s14, 0
	v_cmp_neq_f64_e64 s[0:1], s[10:11], 0
	v_cmp_gt_i32_e64 s[2:3], s20, v8
	v_lshl_add_u64 v[10:11], v[10:11], 3, s[6:7]
	v_cndmask_b32_e64 v12, 0, 1, s[0:1]
	s_and_b64 s[8:9], vcc, s[2:3]
	v_ashrrev_i32_e32 v9, 31, v8
	v_cmp_ne_u32_e64 s[0:1], 1, v12
	s_and_saveexec_b64 s[4:5], s[8:9]
	s_cbranch_execz .LBB65_14
; %bb.11:
	v_mul_f64 v[6:7], s[12:13], v[6:7]
	s_and_b64 vcc, exec, s[0:1]
	v_lshl_add_u64 v[12:13], v[8:9], 3, v[10:11]
	s_cbranch_vccnz .LBB65_13
; %bb.12:
	global_load_dwordx2 v[16:17], v[12:13], off
	s_waitcnt vmcnt(0)
	v_fmac_f64_e32 v[6:7], s[10:11], v[16:17]
.LBB65_13:
	global_store_dwordx2 v[12:13], v[6:7], off
.LBB65_14:
	s_or_b64 exec, exec, s[4:5]
	v_add_u32_e32 v6, 16, v8
	v_cmp_le_i32_e32 vcc, v14, v6
	v_cmp_gt_i32_e64 s[4:5], s20, v6
	s_and_b64 s[16:17], vcc, s[4:5]
	v_ashrrev_i32_e32 v7, 31, v6
	s_and_saveexec_b64 s[8:9], s[16:17]
	s_cbranch_execz .LBB65_18
; %bb.15:
	v_mul_f64 v[4:5], s[12:13], v[4:5]
	s_and_b64 vcc, exec, s[0:1]
	v_lshl_add_u64 v[10:11], v[6:7], 3, v[10:11]
	s_cbranch_vccnz .LBB65_17
; %bb.16:
	global_load_dwordx2 v[12:13], v[10:11], off
	s_waitcnt vmcnt(0)
	v_fmac_f64_e32 v[4:5], s[10:11], v[12:13]
.LBB65_17:
	global_store_dwordx2 v[10:11], v[4:5], off
.LBB65_18:
	s_or_b64 exec, exec, s[8:9]
	v_add_u32_e32 v10, 16, v14
	v_mad_i64_i32 v[4:5], s[8:9], v10, s14, 0
	v_cmp_le_i32_e32 vcc, v10, v8
	v_lshl_add_u64 v[4:5], v[4:5], 3, s[6:7]
	s_and_b64 s[6:7], vcc, s[2:3]
	s_and_saveexec_b64 s[2:3], s[6:7]
	s_cbranch_execz .LBB65_22
; %bb.19:
	v_mul_f64 v[2:3], s[12:13], v[2:3]
	s_and_b64 vcc, exec, s[0:1]
	v_lshl_add_u64 v[8:9], v[8:9], 3, v[4:5]
	s_cbranch_vccnz .LBB65_21
; %bb.20:
	global_load_dwordx2 v[12:13], v[8:9], off
	s_waitcnt vmcnt(0)
	v_fmac_f64_e32 v[2:3], s[10:11], v[12:13]
.LBB65_21:
	global_store_dwordx2 v[8:9], v[2:3], off
.LBB65_22:
	s_or_b64 exec, exec, s[2:3]
	v_cmp_le_i32_e32 vcc, v10, v6
	s_and_b64 s[2:3], vcc, s[4:5]
	s_and_saveexec_b64 s[4:5], s[2:3]
	s_cbranch_execz .LBB65_26
; %bb.23:
	v_mul_f64 v[0:1], s[12:13], v[0:1]
	s_and_b64 vcc, exec, s[0:1]
	v_lshl_add_u64 v[2:3], v[6:7], 3, v[4:5]
	s_cbranch_vccnz .LBB65_25
; %bb.24:
	global_load_dwordx2 v[4:5], v[2:3], off
	s_waitcnt vmcnt(0)
	v_fmac_f64_e32 v[0:1], s[10:11], v[4:5]
.LBB65_25:
	global_store_dwordx2 v[2:3], v[0:1], off
.LBB65_26:
	s_endpgm
	.section	.rodata,"a",@progbits
	.p2align	6, 0x0
	.amdhsa_kernel _ZL29rocblas_internal_gemmt_kernelIiLi16ELi32ELi8ELc78ELc67ELc76ELb0ELb0EddPKdPdEviT_T9_T10_S3_lS5_S3_lS4_T11_S3_li
		.amdhsa_group_segment_fixed_size 4096
		.amdhsa_private_segment_fixed_size 0
		.amdhsa_kernarg_size 100
		.amdhsa_user_sgpr_count 2
		.amdhsa_user_sgpr_dispatch_ptr 0
		.amdhsa_user_sgpr_queue_ptr 0
		.amdhsa_user_sgpr_kernarg_segment_ptr 1
		.amdhsa_user_sgpr_dispatch_id 0
		.amdhsa_user_sgpr_kernarg_preload_length 0
		.amdhsa_user_sgpr_kernarg_preload_offset 0
		.amdhsa_user_sgpr_private_segment_size 0
		.amdhsa_uses_dynamic_stack 0
		.amdhsa_enable_private_segment 0
		.amdhsa_system_sgpr_workgroup_id_x 1
		.amdhsa_system_sgpr_workgroup_id_y 1
		.amdhsa_system_sgpr_workgroup_id_z 1
		.amdhsa_system_sgpr_workgroup_info 0
		.amdhsa_system_vgpr_workitem_id 1
		.amdhsa_next_free_vgpr 52
		.amdhsa_next_free_sgpr 30
		.amdhsa_accum_offset 52
		.amdhsa_reserve_vcc 1
		.amdhsa_float_round_mode_32 0
		.amdhsa_float_round_mode_16_64 0
		.amdhsa_float_denorm_mode_32 3
		.amdhsa_float_denorm_mode_16_64 3
		.amdhsa_dx10_clamp 1
		.amdhsa_ieee_mode 1
		.amdhsa_fp16_overflow 0
		.amdhsa_tg_split 0
		.amdhsa_exception_fp_ieee_invalid_op 0
		.amdhsa_exception_fp_denorm_src 0
		.amdhsa_exception_fp_ieee_div_zero 0
		.amdhsa_exception_fp_ieee_overflow 0
		.amdhsa_exception_fp_ieee_underflow 0
		.amdhsa_exception_fp_ieee_inexact 0
		.amdhsa_exception_int_div_zero 0
	.end_amdhsa_kernel
	.section	.text._ZL29rocblas_internal_gemmt_kernelIiLi16ELi32ELi8ELc78ELc67ELc76ELb0ELb0EddPKdPdEviT_T9_T10_S3_lS5_S3_lS4_T11_S3_li,"axG",@progbits,_ZL29rocblas_internal_gemmt_kernelIiLi16ELi32ELi8ELc78ELc67ELc76ELb0ELb0EddPKdPdEviT_T9_T10_S3_lS5_S3_lS4_T11_S3_li,comdat
.Lfunc_end65:
	.size	_ZL29rocblas_internal_gemmt_kernelIiLi16ELi32ELi8ELc78ELc67ELc76ELb0ELb0EddPKdPdEviT_T9_T10_S3_lS5_S3_lS4_T11_S3_li, .Lfunc_end65-_ZL29rocblas_internal_gemmt_kernelIiLi16ELi32ELi8ELc78ELc67ELc76ELb0ELb0EddPKdPdEviT_T9_T10_S3_lS5_S3_lS4_T11_S3_li
                                        ; -- End function
	.set _ZL29rocblas_internal_gemmt_kernelIiLi16ELi32ELi8ELc78ELc67ELc76ELb0ELb0EddPKdPdEviT_T9_T10_S3_lS5_S3_lS4_T11_S3_li.num_vgpr, 52
	.set _ZL29rocblas_internal_gemmt_kernelIiLi16ELi32ELi8ELc78ELc67ELc76ELb0ELb0EddPKdPdEviT_T9_T10_S3_lS5_S3_lS4_T11_S3_li.num_agpr, 0
	.set _ZL29rocblas_internal_gemmt_kernelIiLi16ELi32ELi8ELc78ELc67ELc76ELb0ELb0EddPKdPdEviT_T9_T10_S3_lS5_S3_lS4_T11_S3_li.numbered_sgpr, 30
	.set _ZL29rocblas_internal_gemmt_kernelIiLi16ELi32ELi8ELc78ELc67ELc76ELb0ELb0EddPKdPdEviT_T9_T10_S3_lS5_S3_lS4_T11_S3_li.num_named_barrier, 0
	.set _ZL29rocblas_internal_gemmt_kernelIiLi16ELi32ELi8ELc78ELc67ELc76ELb0ELb0EddPKdPdEviT_T9_T10_S3_lS5_S3_lS4_T11_S3_li.private_seg_size, 0
	.set _ZL29rocblas_internal_gemmt_kernelIiLi16ELi32ELi8ELc78ELc67ELc76ELb0ELb0EddPKdPdEviT_T9_T10_S3_lS5_S3_lS4_T11_S3_li.uses_vcc, 1
	.set _ZL29rocblas_internal_gemmt_kernelIiLi16ELi32ELi8ELc78ELc67ELc76ELb0ELb0EddPKdPdEviT_T9_T10_S3_lS5_S3_lS4_T11_S3_li.uses_flat_scratch, 0
	.set _ZL29rocblas_internal_gemmt_kernelIiLi16ELi32ELi8ELc78ELc67ELc76ELb0ELb0EddPKdPdEviT_T9_T10_S3_lS5_S3_lS4_T11_S3_li.has_dyn_sized_stack, 0
	.set _ZL29rocblas_internal_gemmt_kernelIiLi16ELi32ELi8ELc78ELc67ELc76ELb0ELb0EddPKdPdEviT_T9_T10_S3_lS5_S3_lS4_T11_S3_li.has_recursion, 0
	.set _ZL29rocblas_internal_gemmt_kernelIiLi16ELi32ELi8ELc78ELc67ELc76ELb0ELb0EddPKdPdEviT_T9_T10_S3_lS5_S3_lS4_T11_S3_li.has_indirect_call, 0
	.section	.AMDGPU.csdata,"",@progbits
; Kernel info:
; codeLenInByte = 1292
; TotalNumSgprs: 36
; NumVgprs: 52
; NumAgprs: 0
; TotalNumVgprs: 52
; ScratchSize: 0
; MemoryBound: 0
; FloatMode: 240
; IeeeMode: 1
; LDSByteSize: 4096 bytes/workgroup (compile time only)
; SGPRBlocks: 4
; VGPRBlocks: 6
; NumSGPRsForWavesPerEU: 36
; NumVGPRsForWavesPerEU: 52
; AccumOffset: 52
; Occupancy: 8
; WaveLimiterHint : 0
; COMPUTE_PGM_RSRC2:SCRATCH_EN: 0
; COMPUTE_PGM_RSRC2:USER_SGPR: 2
; COMPUTE_PGM_RSRC2:TRAP_HANDLER: 0
; COMPUTE_PGM_RSRC2:TGID_X_EN: 1
; COMPUTE_PGM_RSRC2:TGID_Y_EN: 1
; COMPUTE_PGM_RSRC2:TGID_Z_EN: 1
; COMPUTE_PGM_RSRC2:TIDIG_COMP_CNT: 1
; COMPUTE_PGM_RSRC3_GFX90A:ACCUM_OFFSET: 12
; COMPUTE_PGM_RSRC3_GFX90A:TG_SPLIT: 0
	.section	.text._ZL29rocblas_internal_gemmt_kernelIiLi16ELi32ELi8ELc84ELc78ELc76ELb0ELb0EddPKdPdEviT_T9_T10_S3_lS5_S3_lS4_T11_S3_li,"axG",@progbits,_ZL29rocblas_internal_gemmt_kernelIiLi16ELi32ELi8ELc84ELc78ELc76ELb0ELb0EddPKdPdEviT_T9_T10_S3_lS5_S3_lS4_T11_S3_li,comdat
	.globl	_ZL29rocblas_internal_gemmt_kernelIiLi16ELi32ELi8ELc84ELc78ELc76ELb0ELb0EddPKdPdEviT_T9_T10_S3_lS5_S3_lS4_T11_S3_li ; -- Begin function _ZL29rocblas_internal_gemmt_kernelIiLi16ELi32ELi8ELc84ELc78ELc76ELb0ELb0EddPKdPdEviT_T9_T10_S3_lS5_S3_lS4_T11_S3_li
	.p2align	8
	.type	_ZL29rocblas_internal_gemmt_kernelIiLi16ELi32ELi8ELc84ELc78ELc76ELb0ELb0EddPKdPdEviT_T9_T10_S3_lS5_S3_lS4_T11_S3_li,@function
_ZL29rocblas_internal_gemmt_kernelIiLi16ELi32ELi8ELc84ELc78ELc76ELb0ELb0EddPKdPdEviT_T9_T10_S3_lS5_S3_lS4_T11_S3_li: ; @_ZL29rocblas_internal_gemmt_kernelIiLi16ELi32ELi8ELc84ELc78ELc76ELb0ELb0EddPKdPdEviT_T9_T10_S3_lS5_S3_lS4_T11_S3_li
; %bb.0:
	s_load_dwordx4 s[8:11], s[0:1], 0x38
	s_load_dwordx2 s[20:21], s[0:1], 0x0
	s_load_dwordx4 s[12:15], s[0:1], 0x8
	s_waitcnt lgkmcnt(0)
	v_cmp_neq_f64_e64 s[6:7], s[10:11], 1.0
	s_and_b64 vcc, exec, s[6:7]
	s_cbranch_vccnz .LBB66_2
; %bb.1:
	s_cmp_lg_u32 s21, 0
	s_cselect_b64 s[6:7], -1, 0
	v_cmp_neq_f64_e64 s[16:17], s[12:13], 0
	s_and_b64 s[6:7], s[6:7], s[16:17]
.LBB66_2:
	s_andn2_b64 vcc, exec, s[6:7]
	s_cbranch_vccnz .LBB66_26
; %bb.3:
	s_load_dwordx2 s[22:23], s[0:1], 0x48
	s_lshl_b32 s24, s2, 5
	s_lshl_b32 s5, s3, 5
	s_cmp_lt_i32 s21, 1
	v_cmp_eq_f64_e64 s[2:3], s[12:13], 0
	s_cselect_b64 s[6:7], -1, 0
	s_or_b64 s[2:3], s[2:3], s[6:7]
	v_and_b32_e32 v13, 0x3ff, v0
	v_bfe_u32 v12, v0, 10, 10
	s_mov_b32 s25, 0
	v_mov_b64_e32 v[6:7], 0
	s_and_b64 vcc, exec, s[2:3]
	v_mov_b64_e32 v[4:5], 0
	v_mov_b64_e32 v[2:3], 0
	;; [unrolled: 1-line block ×3, first 2 shown]
	s_cbranch_vccnz .LBB66_10
; %bb.4:
	v_lshl_add_u32 v0, v12, 4, v13
	v_and_b32_e32 v2, 31, v0
	v_lshrrev_b32_e32 v15, 5, v0
	v_lshrrev_b32_e32 v1, 3, v0
	v_or_b32_e32 v0, s24, v2
	v_and_b32_e32 v14, 7, v13
	v_cmp_gt_i32_e32 vcc, s20, v0
	v_lshlrev_b32_e32 v0, 3, v2
	v_lshl_or_b32 v16, v15, 8, v0
	v_lshlrev_b32_e32 v0, 3, v14
	s_load_dword s6, s[0:1], 0x18
	s_load_dwordx4 s[16:19], s[0:1], 0x20
	s_load_dword s26, s[0:1], 0x30
	v_add_u32_e32 v6, s5, v1
	v_lshl_or_b32 v1, v1, 6, v0
	v_add_u32_e32 v17, 0x800, v1
	v_mov_b32_e32 v1, 0x800
	v_lshl_add_u32 v19, v12, 6, v1
	v_add_u32_e32 v1, s24, v2
	s_waitcnt lgkmcnt(0)
	v_mad_i64_i32 v[2:3], s[6:7], s6, v1, 0
	s_mul_i32 s6, s17, s4
	s_mul_hi_u32 s7, s16, s4
	s_add_i32 s7, s7, s6
	s_mul_i32 s6, s16, s4
	s_lshl_b64 s[6:7], s[6:7], 3
	v_lshl_add_u64 v[2:3], v[2:3], 3, s[6:7]
	v_lshlrev_b32_e32 v4, 3, v15
	v_mov_b32_e32 v5, 0
	v_lshl_add_u64 v[2:3], v[2:3], 0, v[4:5]
	v_lshl_add_u64 v[8:9], s[14:15], 0, v[2:3]
	v_mad_i64_i32 v[2:3], s[6:7], s26, v6, 0
	s_mul_i32 s6, s9, s4
	s_mul_hi_u32 s7, s8, s4
	s_add_i32 s7, s7, s6
	s_mul_i32 s6, s8, s4
	s_lshl_b64 s[6:7], s[6:7], 3
	v_lshl_add_u64 v[2:3], v[2:3], 3, s[6:7]
	v_mov_b32_e32 v1, v5
	v_lshl_add_u64 v[0:1], v[2:3], 0, v[0:1]
	v_cmp_gt_i32_e64 s[2:3], s20, v6
	v_lshlrev_b32_e32 v18, 3, v13
	v_lshl_add_u64 v[10:11], s[18:19], 0, v[0:1]
	v_mov_b64_e32 v[0:1], 0
	v_mov_b64_e32 v[2:3], 0
	;; [unrolled: 1-line block ×4, first 2 shown]
	s_branch .LBB66_6
.LBB66_5:                               ;   in Loop: Header=BB66_6 Depth=1
	s_or_b64 exec, exec, s[6:7]
	s_waitcnt vmcnt(0)
	ds_write_b64 v17, v[20:21]
	s_waitcnt lgkmcnt(0)
	s_barrier
	ds_read2_b64 v[20:23], v18 offset1:16
	ds_read_b128 v[24:27], v19
	ds_read_b128 v[28:31], v19 offset:16
	ds_read_b128 v[32:35], v19 offset:32
	;; [unrolled: 1-line block ×4, first 2 shown]
	ds_read2_b64 v[44:47], v18 offset0:32 offset1:48
	s_waitcnt lgkmcnt(5)
	v_fmac_f64_e32 v[6:7], v[20:21], v[24:25]
	v_fmac_f64_e32 v[4:5], v[22:23], v[24:25]
	ds_read_b128 v[48:51], v19 offset:1040
	s_waitcnt lgkmcnt(2)
	v_fmac_f64_e32 v[2:3], v[20:21], v[40:41]
	v_fmac_f64_e32 v[0:1], v[22:23], v[40:41]
	ds_read2_b64 v[20:23], v18 offset0:64 offset1:80
	s_waitcnt lgkmcnt(2)
	v_fmac_f64_e32 v[6:7], v[44:45], v[26:27]
	v_fmac_f64_e32 v[4:5], v[46:47], v[26:27]
	ds_read2_b64 v[24:27], v18 offset0:96 offset1:112
	v_fmac_f64_e32 v[2:3], v[44:45], v[42:43]
	v_fmac_f64_e32 v[0:1], v[46:47], v[42:43]
	s_waitcnt lgkmcnt(1)
	v_fmac_f64_e32 v[6:7], v[20:21], v[28:29]
	v_fmac_f64_e32 v[4:5], v[22:23], v[28:29]
	ds_read_b128 v[40:43], v19 offset:1072
	v_fmac_f64_e32 v[2:3], v[20:21], v[48:49]
	v_fmac_f64_e32 v[0:1], v[22:23], v[48:49]
	s_waitcnt lgkmcnt(1)
	v_fmac_f64_e32 v[6:7], v[24:25], v[30:31]
	ds_read2_b64 v[20:23], v18 offset0:128 offset1:144
	v_fmac_f64_e32 v[4:5], v[26:27], v[30:31]
	v_fmac_f64_e32 v[2:3], v[24:25], v[50:51]
	;; [unrolled: 1-line block ×3, first 2 shown]
	ds_read_b128 v[24:27], v19 offset:1056
	ds_read2_b64 v[28:31], v18 offset0:160 offset1:176
	s_waitcnt lgkmcnt(2)
	v_fmac_f64_e32 v[6:7], v[20:21], v[32:33]
	v_fmac_f64_e32 v[4:5], v[22:23], v[32:33]
	s_add_i32 s25, s25, 8
	s_waitcnt lgkmcnt(1)
	v_fmac_f64_e32 v[2:3], v[20:21], v[24:25]
	v_fmac_f64_e32 v[0:1], v[22:23], v[24:25]
	ds_read2_b64 v[20:23], v18 offset0:192 offset1:208
	s_waitcnt lgkmcnt(1)
	v_fmac_f64_e32 v[2:3], v[28:29], v[26:27]
	v_fmac_f64_e32 v[0:1], v[30:31], v[26:27]
	ds_read2_b64 v[24:27], v18 offset0:224 offset1:240
	v_fmac_f64_e32 v[6:7], v[28:29], v[34:35]
	v_fmac_f64_e32 v[4:5], v[30:31], v[34:35]
	s_waitcnt lgkmcnt(1)
	v_fmac_f64_e32 v[6:7], v[20:21], v[36:37]
	v_fmac_f64_e32 v[4:5], v[22:23], v[36:37]
	;; [unrolled: 1-line block ×4, first 2 shown]
	s_waitcnt lgkmcnt(0)
	v_fmac_f64_e32 v[6:7], v[24:25], v[38:39]
	v_fmac_f64_e32 v[4:5], v[26:27], v[38:39]
	;; [unrolled: 1-line block ×4, first 2 shown]
	v_lshl_add_u64 v[8:9], v[8:9], 0, 64
	s_cmp_lt_i32 s25, s21
	v_lshl_add_u64 v[10:11], v[10:11], 0, 64
	s_barrier
	s_cbranch_scc0 .LBB66_10
.LBB66_6:                               ; =>This Inner Loop Header: Depth=1
	v_add_u32_e32 v20, s25, v15
	v_cmp_gt_i32_e64 s[6:7], s21, v20
	s_and_b64 s[8:9], vcc, s[6:7]
	v_mov_b64_e32 v[20:21], 0
	s_and_saveexec_b64 s[6:7], s[8:9]
	s_cbranch_execz .LBB66_8
; %bb.7:                                ;   in Loop: Header=BB66_6 Depth=1
	global_load_dwordx2 v[20:21], v[8:9], off
.LBB66_8:                               ;   in Loop: Header=BB66_6 Depth=1
	s_or_b64 exec, exec, s[6:7]
	s_waitcnt vmcnt(0)
	ds_write_b64 v16, v[20:21]
	v_add_u32_e32 v20, s25, v14
	v_cmp_gt_i32_e64 s[6:7], s21, v20
	s_and_b64 s[8:9], s[6:7], s[2:3]
	v_mov_b64_e32 v[20:21], 0
	s_and_saveexec_b64 s[6:7], s[8:9]
	s_cbranch_execz .LBB66_5
; %bb.9:                                ;   in Loop: Header=BB66_6 Depth=1
	global_load_dwordx2 v[20:21], v[10:11], off
	s_branch .LBB66_5
.LBB66_10:
	s_load_dwordx2 s[2:3], s[0:1], 0x58
	s_load_dword s14, s[0:1], 0x50
	v_add_u32_e32 v14, s5, v12
	v_add_u32_e32 v8, s24, v13
	v_cmp_le_i32_e32 vcc, v14, v8
	s_waitcnt lgkmcnt(0)
	s_mul_i32 s1, s3, s4
	s_mul_hi_u32 s3, s2, s4
	s_mul_i32 s0, s2, s4
	s_add_i32 s1, s3, s1
	s_lshl_b64 s[0:1], s[0:1], 3
	s_add_u32 s6, s22, s0
	s_addc_u32 s7, s23, s1
	v_mad_i64_i32 v[10:11], s[0:1], v14, s14, 0
	v_cmp_neq_f64_e64 s[0:1], s[10:11], 0
	v_cmp_gt_i32_e64 s[2:3], s20, v8
	v_lshl_add_u64 v[10:11], v[10:11], 3, s[6:7]
	v_cndmask_b32_e64 v12, 0, 1, s[0:1]
	s_and_b64 s[8:9], vcc, s[2:3]
	v_ashrrev_i32_e32 v9, 31, v8
	v_cmp_ne_u32_e64 s[0:1], 1, v12
	s_and_saveexec_b64 s[4:5], s[8:9]
	s_cbranch_execz .LBB66_14
; %bb.11:
	v_mul_f64 v[6:7], s[12:13], v[6:7]
	s_and_b64 vcc, exec, s[0:1]
	v_lshl_add_u64 v[12:13], v[8:9], 3, v[10:11]
	s_cbranch_vccnz .LBB66_13
; %bb.12:
	global_load_dwordx2 v[16:17], v[12:13], off
	s_waitcnt vmcnt(0)
	v_fmac_f64_e32 v[6:7], s[10:11], v[16:17]
.LBB66_13:
	global_store_dwordx2 v[12:13], v[6:7], off
.LBB66_14:
	s_or_b64 exec, exec, s[4:5]
	v_add_u32_e32 v6, 16, v8
	v_cmp_le_i32_e32 vcc, v14, v6
	v_cmp_gt_i32_e64 s[4:5], s20, v6
	s_and_b64 s[16:17], vcc, s[4:5]
	v_ashrrev_i32_e32 v7, 31, v6
	s_and_saveexec_b64 s[8:9], s[16:17]
	s_cbranch_execz .LBB66_18
; %bb.15:
	v_mul_f64 v[4:5], s[12:13], v[4:5]
	s_and_b64 vcc, exec, s[0:1]
	v_lshl_add_u64 v[10:11], v[6:7], 3, v[10:11]
	s_cbranch_vccnz .LBB66_17
; %bb.16:
	global_load_dwordx2 v[12:13], v[10:11], off
	s_waitcnt vmcnt(0)
	v_fmac_f64_e32 v[4:5], s[10:11], v[12:13]
.LBB66_17:
	global_store_dwordx2 v[10:11], v[4:5], off
.LBB66_18:
	s_or_b64 exec, exec, s[8:9]
	v_add_u32_e32 v10, 16, v14
	v_mad_i64_i32 v[4:5], s[8:9], v10, s14, 0
	v_cmp_le_i32_e32 vcc, v10, v8
	v_lshl_add_u64 v[4:5], v[4:5], 3, s[6:7]
	s_and_b64 s[6:7], vcc, s[2:3]
	s_and_saveexec_b64 s[2:3], s[6:7]
	s_cbranch_execz .LBB66_22
; %bb.19:
	v_mul_f64 v[2:3], s[12:13], v[2:3]
	s_and_b64 vcc, exec, s[0:1]
	v_lshl_add_u64 v[8:9], v[8:9], 3, v[4:5]
	s_cbranch_vccnz .LBB66_21
; %bb.20:
	global_load_dwordx2 v[12:13], v[8:9], off
	s_waitcnt vmcnt(0)
	v_fmac_f64_e32 v[2:3], s[10:11], v[12:13]
.LBB66_21:
	global_store_dwordx2 v[8:9], v[2:3], off
.LBB66_22:
	s_or_b64 exec, exec, s[2:3]
	v_cmp_le_i32_e32 vcc, v10, v6
	s_and_b64 s[2:3], vcc, s[4:5]
	s_and_saveexec_b64 s[4:5], s[2:3]
	s_cbranch_execz .LBB66_26
; %bb.23:
	v_mul_f64 v[0:1], s[12:13], v[0:1]
	s_and_b64 vcc, exec, s[0:1]
	v_lshl_add_u64 v[2:3], v[6:7], 3, v[4:5]
	s_cbranch_vccnz .LBB66_25
; %bb.24:
	global_load_dwordx2 v[4:5], v[2:3], off
	s_waitcnt vmcnt(0)
	v_fmac_f64_e32 v[0:1], s[10:11], v[4:5]
.LBB66_25:
	global_store_dwordx2 v[2:3], v[0:1], off
.LBB66_26:
	s_endpgm
	.section	.rodata,"a",@progbits
	.p2align	6, 0x0
	.amdhsa_kernel _ZL29rocblas_internal_gemmt_kernelIiLi16ELi32ELi8ELc84ELc78ELc76ELb0ELb0EddPKdPdEviT_T9_T10_S3_lS5_S3_lS4_T11_S3_li
		.amdhsa_group_segment_fixed_size 4096
		.amdhsa_private_segment_fixed_size 0
		.amdhsa_kernarg_size 100
		.amdhsa_user_sgpr_count 2
		.amdhsa_user_sgpr_dispatch_ptr 0
		.amdhsa_user_sgpr_queue_ptr 0
		.amdhsa_user_sgpr_kernarg_segment_ptr 1
		.amdhsa_user_sgpr_dispatch_id 0
		.amdhsa_user_sgpr_kernarg_preload_length 0
		.amdhsa_user_sgpr_kernarg_preload_offset 0
		.amdhsa_user_sgpr_private_segment_size 0
		.amdhsa_uses_dynamic_stack 0
		.amdhsa_enable_private_segment 0
		.amdhsa_system_sgpr_workgroup_id_x 1
		.amdhsa_system_sgpr_workgroup_id_y 1
		.amdhsa_system_sgpr_workgroup_id_z 1
		.amdhsa_system_sgpr_workgroup_info 0
		.amdhsa_system_vgpr_workitem_id 1
		.amdhsa_next_free_vgpr 52
		.amdhsa_next_free_sgpr 27
		.amdhsa_accum_offset 52
		.amdhsa_reserve_vcc 1
		.amdhsa_float_round_mode_32 0
		.amdhsa_float_round_mode_16_64 0
		.amdhsa_float_denorm_mode_32 3
		.amdhsa_float_denorm_mode_16_64 3
		.amdhsa_dx10_clamp 1
		.amdhsa_ieee_mode 1
		.amdhsa_fp16_overflow 0
		.amdhsa_tg_split 0
		.amdhsa_exception_fp_ieee_invalid_op 0
		.amdhsa_exception_fp_denorm_src 0
		.amdhsa_exception_fp_ieee_div_zero 0
		.amdhsa_exception_fp_ieee_overflow 0
		.amdhsa_exception_fp_ieee_underflow 0
		.amdhsa_exception_fp_ieee_inexact 0
		.amdhsa_exception_int_div_zero 0
	.end_amdhsa_kernel
	.section	.text._ZL29rocblas_internal_gemmt_kernelIiLi16ELi32ELi8ELc84ELc78ELc76ELb0ELb0EddPKdPdEviT_T9_T10_S3_lS5_S3_lS4_T11_S3_li,"axG",@progbits,_ZL29rocblas_internal_gemmt_kernelIiLi16ELi32ELi8ELc84ELc78ELc76ELb0ELb0EddPKdPdEviT_T9_T10_S3_lS5_S3_lS4_T11_S3_li,comdat
.Lfunc_end66:
	.size	_ZL29rocblas_internal_gemmt_kernelIiLi16ELi32ELi8ELc84ELc78ELc76ELb0ELb0EddPKdPdEviT_T9_T10_S3_lS5_S3_lS4_T11_S3_li, .Lfunc_end66-_ZL29rocblas_internal_gemmt_kernelIiLi16ELi32ELi8ELc84ELc78ELc76ELb0ELb0EddPKdPdEviT_T9_T10_S3_lS5_S3_lS4_T11_S3_li
                                        ; -- End function
	.set _ZL29rocblas_internal_gemmt_kernelIiLi16ELi32ELi8ELc84ELc78ELc76ELb0ELb0EddPKdPdEviT_T9_T10_S3_lS5_S3_lS4_T11_S3_li.num_vgpr, 52
	.set _ZL29rocblas_internal_gemmt_kernelIiLi16ELi32ELi8ELc84ELc78ELc76ELb0ELb0EddPKdPdEviT_T9_T10_S3_lS5_S3_lS4_T11_S3_li.num_agpr, 0
	.set _ZL29rocblas_internal_gemmt_kernelIiLi16ELi32ELi8ELc84ELc78ELc76ELb0ELb0EddPKdPdEviT_T9_T10_S3_lS5_S3_lS4_T11_S3_li.numbered_sgpr, 27
	.set _ZL29rocblas_internal_gemmt_kernelIiLi16ELi32ELi8ELc84ELc78ELc76ELb0ELb0EddPKdPdEviT_T9_T10_S3_lS5_S3_lS4_T11_S3_li.num_named_barrier, 0
	.set _ZL29rocblas_internal_gemmt_kernelIiLi16ELi32ELi8ELc84ELc78ELc76ELb0ELb0EddPKdPdEviT_T9_T10_S3_lS5_S3_lS4_T11_S3_li.private_seg_size, 0
	.set _ZL29rocblas_internal_gemmt_kernelIiLi16ELi32ELi8ELc84ELc78ELc76ELb0ELb0EddPKdPdEviT_T9_T10_S3_lS5_S3_lS4_T11_S3_li.uses_vcc, 1
	.set _ZL29rocblas_internal_gemmt_kernelIiLi16ELi32ELi8ELc84ELc78ELc76ELb0ELb0EddPKdPdEviT_T9_T10_S3_lS5_S3_lS4_T11_S3_li.uses_flat_scratch, 0
	.set _ZL29rocblas_internal_gemmt_kernelIiLi16ELi32ELi8ELc84ELc78ELc76ELb0ELb0EddPKdPdEviT_T9_T10_S3_lS5_S3_lS4_T11_S3_li.has_dyn_sized_stack, 0
	.set _ZL29rocblas_internal_gemmt_kernelIiLi16ELi32ELi8ELc84ELc78ELc76ELb0ELb0EddPKdPdEviT_T9_T10_S3_lS5_S3_lS4_T11_S3_li.has_recursion, 0
	.set _ZL29rocblas_internal_gemmt_kernelIiLi16ELi32ELi8ELc84ELc78ELc76ELb0ELb0EddPKdPdEviT_T9_T10_S3_lS5_S3_lS4_T11_S3_li.has_indirect_call, 0
	.section	.AMDGPU.csdata,"",@progbits
; Kernel info:
; codeLenInByte = 1276
; TotalNumSgprs: 33
; NumVgprs: 52
; NumAgprs: 0
; TotalNumVgprs: 52
; ScratchSize: 0
; MemoryBound: 0
; FloatMode: 240
; IeeeMode: 1
; LDSByteSize: 4096 bytes/workgroup (compile time only)
; SGPRBlocks: 4
; VGPRBlocks: 6
; NumSGPRsForWavesPerEU: 33
; NumVGPRsForWavesPerEU: 52
; AccumOffset: 52
; Occupancy: 8
; WaveLimiterHint : 0
; COMPUTE_PGM_RSRC2:SCRATCH_EN: 0
; COMPUTE_PGM_RSRC2:USER_SGPR: 2
; COMPUTE_PGM_RSRC2:TRAP_HANDLER: 0
; COMPUTE_PGM_RSRC2:TGID_X_EN: 1
; COMPUTE_PGM_RSRC2:TGID_Y_EN: 1
; COMPUTE_PGM_RSRC2:TGID_Z_EN: 1
; COMPUTE_PGM_RSRC2:TIDIG_COMP_CNT: 1
; COMPUTE_PGM_RSRC3_GFX90A:ACCUM_OFFSET: 12
; COMPUTE_PGM_RSRC3_GFX90A:TG_SPLIT: 0
	.section	.text._ZL29rocblas_internal_gemmt_kernelIiLi16ELi32ELi8ELc84ELc84ELc76ELb0ELb0EddPKdPdEviT_T9_T10_S3_lS5_S3_lS4_T11_S3_li,"axG",@progbits,_ZL29rocblas_internal_gemmt_kernelIiLi16ELi32ELi8ELc84ELc84ELc76ELb0ELb0EddPKdPdEviT_T9_T10_S3_lS5_S3_lS4_T11_S3_li,comdat
	.globl	_ZL29rocblas_internal_gemmt_kernelIiLi16ELi32ELi8ELc84ELc84ELc76ELb0ELb0EddPKdPdEviT_T9_T10_S3_lS5_S3_lS4_T11_S3_li ; -- Begin function _ZL29rocblas_internal_gemmt_kernelIiLi16ELi32ELi8ELc84ELc84ELc76ELb0ELb0EddPKdPdEviT_T9_T10_S3_lS5_S3_lS4_T11_S3_li
	.p2align	8
	.type	_ZL29rocblas_internal_gemmt_kernelIiLi16ELi32ELi8ELc84ELc84ELc76ELb0ELb0EddPKdPdEviT_T9_T10_S3_lS5_S3_lS4_T11_S3_li,@function
_ZL29rocblas_internal_gemmt_kernelIiLi16ELi32ELi8ELc84ELc84ELc76ELb0ELb0EddPKdPdEviT_T9_T10_S3_lS5_S3_lS4_T11_S3_li: ; @_ZL29rocblas_internal_gemmt_kernelIiLi16ELi32ELi8ELc84ELc84ELc76ELb0ELb0EddPKdPdEviT_T9_T10_S3_lS5_S3_lS4_T11_S3_li
; %bb.0:
	s_load_dwordx4 s[8:11], s[0:1], 0x38
	s_load_dwordx2 s[20:21], s[0:1], 0x0
	s_load_dwordx4 s[12:15], s[0:1], 0x8
	s_waitcnt lgkmcnt(0)
	v_cmp_neq_f64_e64 s[6:7], s[10:11], 1.0
	s_and_b64 vcc, exec, s[6:7]
	s_cbranch_vccnz .LBB67_2
; %bb.1:
	s_cmp_lg_u32 s21, 0
	s_cselect_b64 s[6:7], -1, 0
	v_cmp_neq_f64_e64 s[16:17], s[12:13], 0
	s_and_b64 s[6:7], s[6:7], s[16:17]
.LBB67_2:
	s_andn2_b64 vcc, exec, s[6:7]
	s_cbranch_vccnz .LBB67_26
; %bb.3:
	s_load_dwordx2 s[22:23], s[0:1], 0x48
	s_lshl_b32 s24, s2, 5
	s_lshl_b32 s5, s3, 5
	s_cmp_lt_i32 s21, 1
	v_cmp_eq_f64_e64 s[2:3], s[12:13], 0
	s_cselect_b64 s[6:7], -1, 0
	s_or_b64 s[2:3], s[2:3], s[6:7]
	v_and_b32_e32 v13, 0x3ff, v0
	v_bfe_u32 v12, v0, 10, 10
	s_mov_b32 s25, 0
	v_mov_b64_e32 v[6:7], 0
	s_and_b64 vcc, exec, s[2:3]
	v_mov_b64_e32 v[4:5], 0
	v_mov_b64_e32 v[2:3], 0
	;; [unrolled: 1-line block ×3, first 2 shown]
	s_cbranch_vccnz .LBB67_10
; %bb.4:
	v_lshl_add_u32 v1, v12, 4, v13
	v_and_b32_e32 v3, 31, v1
	v_lshrrev_b32_e32 v15, 5, v1
	v_lshrrev_b32_e32 v2, 3, v1
	v_or_b32_e32 v1, s24, v3
	s_load_dword s26, s[0:1], 0x18
	s_load_dword s6, s[0:1], 0x30
	s_load_dwordx4 s[16:19], s[0:1], 0x20
	v_and_b32_e32 v14, 7, v13
	v_cmp_gt_i32_e32 vcc, s20, v1
	v_lshlrev_b32_e32 v1, 3, v3
	v_lshl_or_b32 v16, v15, 8, v1
	v_lshlrev_b32_e32 v1, 3, v14
	v_add_u32_e32 v0, s5, v2
	v_lshl_or_b32 v1, v2, 6, v1
	v_mov_b32_e32 v2, 0x800
	v_lshl_add_u32 v19, v12, 6, v2
	v_add_u32_e32 v2, s24, v3
	s_waitcnt lgkmcnt(0)
	v_mad_i64_i32 v[2:3], s[26:27], s26, v2, 0
	s_mul_i32 s17, s17, s4
	s_mul_hi_u32 s26, s16, s4
	s_add_i32 s17, s26, s17
	s_mul_i32 s16, s16, s4
	s_lshl_b64 s[16:17], s[16:17], 3
	v_lshl_add_u64 v[2:3], v[2:3], 3, s[16:17]
	v_lshlrev_b32_e32 v4, 3, v15
	v_mov_b32_e32 v5, 0
	v_lshl_add_u64 v[2:3], v[2:3], 0, v[4:5]
	v_lshl_add_u64 v[8:9], s[14:15], 0, v[2:3]
	s_mul_i32 s9, s9, s4
	s_mul_hi_u32 s14, s8, s4
	s_add_i32 s9, s14, s9
	v_mad_i64_i32 v[2:3], s[14:15], s6, v14, 0
	s_mul_i32 s8, s8, s4
	v_lshlrev_b64 v[2:3], 3, v[2:3]
	v_add_u32_e32 v17, 0x800, v1
	v_ashrrev_i32_e32 v1, 31, v0
	v_lshl_add_u64 v[2:3], s[8:9], 3, v[2:3]
	s_ashr_i32 s7, s6, 31
	v_cmp_gt_i32_e64 s[2:3], s20, v0
	v_lshl_add_u64 v[0:1], v[0:1], 3, v[2:3]
	v_lshlrev_b32_e32 v18, 3, v13
	v_lshl_add_u64 v[10:11], s[18:19], 0, v[0:1]
	s_lshl_b64 s[8:9], s[6:7], 6
	v_mov_b64_e32 v[0:1], 0
	v_mov_b64_e32 v[2:3], 0
	;; [unrolled: 1-line block ×4, first 2 shown]
	s_branch .LBB67_6
.LBB67_5:                               ;   in Loop: Header=BB67_6 Depth=1
	s_or_b64 exec, exec, s[6:7]
	s_waitcnt vmcnt(0)
	ds_write_b64 v17, v[20:21]
	s_waitcnt lgkmcnt(0)
	s_barrier
	ds_read2_b64 v[20:23], v18 offset1:16
	ds_read_b128 v[24:27], v19
	ds_read_b128 v[28:31], v19 offset:16
	ds_read_b128 v[32:35], v19 offset:32
	;; [unrolled: 1-line block ×4, first 2 shown]
	ds_read2_b64 v[44:47], v18 offset0:32 offset1:48
	s_waitcnt lgkmcnt(5)
	v_fmac_f64_e32 v[6:7], v[20:21], v[24:25]
	v_fmac_f64_e32 v[4:5], v[22:23], v[24:25]
	ds_read_b128 v[48:51], v19 offset:1040
	s_waitcnt lgkmcnt(2)
	v_fmac_f64_e32 v[2:3], v[20:21], v[40:41]
	v_fmac_f64_e32 v[0:1], v[22:23], v[40:41]
	ds_read2_b64 v[20:23], v18 offset0:64 offset1:80
	s_waitcnt lgkmcnt(2)
	v_fmac_f64_e32 v[6:7], v[44:45], v[26:27]
	v_fmac_f64_e32 v[4:5], v[46:47], v[26:27]
	ds_read2_b64 v[24:27], v18 offset0:96 offset1:112
	v_fmac_f64_e32 v[2:3], v[44:45], v[42:43]
	v_fmac_f64_e32 v[0:1], v[46:47], v[42:43]
	s_waitcnt lgkmcnt(1)
	v_fmac_f64_e32 v[6:7], v[20:21], v[28:29]
	v_fmac_f64_e32 v[4:5], v[22:23], v[28:29]
	ds_read_b128 v[40:43], v19 offset:1072
	v_fmac_f64_e32 v[2:3], v[20:21], v[48:49]
	v_fmac_f64_e32 v[0:1], v[22:23], v[48:49]
	s_waitcnt lgkmcnt(1)
	v_fmac_f64_e32 v[6:7], v[24:25], v[30:31]
	ds_read2_b64 v[20:23], v18 offset0:128 offset1:144
	v_fmac_f64_e32 v[4:5], v[26:27], v[30:31]
	v_fmac_f64_e32 v[2:3], v[24:25], v[50:51]
	;; [unrolled: 1-line block ×3, first 2 shown]
	ds_read_b128 v[24:27], v19 offset:1056
	ds_read2_b64 v[28:31], v18 offset0:160 offset1:176
	s_waitcnt lgkmcnt(2)
	v_fmac_f64_e32 v[6:7], v[20:21], v[32:33]
	v_fmac_f64_e32 v[4:5], v[22:23], v[32:33]
	s_add_i32 s25, s25, 8
	s_waitcnt lgkmcnt(1)
	v_fmac_f64_e32 v[2:3], v[20:21], v[24:25]
	v_fmac_f64_e32 v[0:1], v[22:23], v[24:25]
	ds_read2_b64 v[20:23], v18 offset0:192 offset1:208
	s_waitcnt lgkmcnt(1)
	v_fmac_f64_e32 v[2:3], v[28:29], v[26:27]
	v_fmac_f64_e32 v[0:1], v[30:31], v[26:27]
	ds_read2_b64 v[24:27], v18 offset0:224 offset1:240
	v_fmac_f64_e32 v[6:7], v[28:29], v[34:35]
	v_fmac_f64_e32 v[4:5], v[30:31], v[34:35]
	s_waitcnt lgkmcnt(1)
	v_fmac_f64_e32 v[6:7], v[20:21], v[36:37]
	v_fmac_f64_e32 v[4:5], v[22:23], v[36:37]
	;; [unrolled: 1-line block ×4, first 2 shown]
	s_waitcnt lgkmcnt(0)
	v_fmac_f64_e32 v[6:7], v[24:25], v[38:39]
	v_fmac_f64_e32 v[4:5], v[26:27], v[38:39]
	;; [unrolled: 1-line block ×4, first 2 shown]
	v_lshl_add_u64 v[8:9], v[8:9], 0, 64
	s_cmp_lt_i32 s25, s21
	v_lshl_add_u64 v[10:11], v[10:11], 0, s[8:9]
	s_barrier
	s_cbranch_scc0 .LBB67_10
.LBB67_6:                               ; =>This Inner Loop Header: Depth=1
	v_add_u32_e32 v20, s25, v15
	v_cmp_gt_i32_e64 s[6:7], s21, v20
	s_and_b64 s[14:15], vcc, s[6:7]
	v_mov_b64_e32 v[20:21], 0
	s_and_saveexec_b64 s[6:7], s[14:15]
	s_cbranch_execz .LBB67_8
; %bb.7:                                ;   in Loop: Header=BB67_6 Depth=1
	global_load_dwordx2 v[20:21], v[8:9], off
.LBB67_8:                               ;   in Loop: Header=BB67_6 Depth=1
	s_or_b64 exec, exec, s[6:7]
	s_waitcnt vmcnt(0)
	ds_write_b64 v16, v[20:21]
	v_add_u32_e32 v20, s25, v14
	v_cmp_gt_i32_e64 s[6:7], s21, v20
	s_and_b64 s[14:15], s[6:7], s[2:3]
	v_mov_b64_e32 v[20:21], 0
	s_and_saveexec_b64 s[6:7], s[14:15]
	s_cbranch_execz .LBB67_5
; %bb.9:                                ;   in Loop: Header=BB67_6 Depth=1
	global_load_dwordx2 v[20:21], v[10:11], off
	s_branch .LBB67_5
.LBB67_10:
	s_load_dwordx2 s[2:3], s[0:1], 0x58
	s_load_dword s14, s[0:1], 0x50
	v_add_u32_e32 v14, s5, v12
	v_add_u32_e32 v8, s24, v13
	v_cmp_le_i32_e32 vcc, v14, v8
	s_waitcnt lgkmcnt(0)
	s_mul_i32 s1, s3, s4
	s_mul_hi_u32 s3, s2, s4
	s_mul_i32 s0, s2, s4
	s_add_i32 s1, s3, s1
	s_lshl_b64 s[0:1], s[0:1], 3
	s_add_u32 s6, s22, s0
	s_addc_u32 s7, s23, s1
	v_mad_i64_i32 v[10:11], s[0:1], v14, s14, 0
	v_cmp_neq_f64_e64 s[0:1], s[10:11], 0
	v_cmp_gt_i32_e64 s[2:3], s20, v8
	v_lshl_add_u64 v[10:11], v[10:11], 3, s[6:7]
	v_cndmask_b32_e64 v12, 0, 1, s[0:1]
	s_and_b64 s[8:9], vcc, s[2:3]
	v_ashrrev_i32_e32 v9, 31, v8
	v_cmp_ne_u32_e64 s[0:1], 1, v12
	s_and_saveexec_b64 s[4:5], s[8:9]
	s_cbranch_execz .LBB67_14
; %bb.11:
	v_mul_f64 v[6:7], s[12:13], v[6:7]
	s_and_b64 vcc, exec, s[0:1]
	v_lshl_add_u64 v[12:13], v[8:9], 3, v[10:11]
	s_cbranch_vccnz .LBB67_13
; %bb.12:
	global_load_dwordx2 v[16:17], v[12:13], off
	s_waitcnt vmcnt(0)
	v_fmac_f64_e32 v[6:7], s[10:11], v[16:17]
.LBB67_13:
	global_store_dwordx2 v[12:13], v[6:7], off
.LBB67_14:
	s_or_b64 exec, exec, s[4:5]
	v_add_u32_e32 v6, 16, v8
	v_cmp_le_i32_e32 vcc, v14, v6
	v_cmp_gt_i32_e64 s[4:5], s20, v6
	s_and_b64 s[16:17], vcc, s[4:5]
	v_ashrrev_i32_e32 v7, 31, v6
	s_and_saveexec_b64 s[8:9], s[16:17]
	s_cbranch_execz .LBB67_18
; %bb.15:
	v_mul_f64 v[4:5], s[12:13], v[4:5]
	s_and_b64 vcc, exec, s[0:1]
	v_lshl_add_u64 v[10:11], v[6:7], 3, v[10:11]
	s_cbranch_vccnz .LBB67_17
; %bb.16:
	global_load_dwordx2 v[12:13], v[10:11], off
	s_waitcnt vmcnt(0)
	v_fmac_f64_e32 v[4:5], s[10:11], v[12:13]
.LBB67_17:
	global_store_dwordx2 v[10:11], v[4:5], off
.LBB67_18:
	s_or_b64 exec, exec, s[8:9]
	v_add_u32_e32 v10, 16, v14
	v_mad_i64_i32 v[4:5], s[8:9], v10, s14, 0
	v_cmp_le_i32_e32 vcc, v10, v8
	v_lshl_add_u64 v[4:5], v[4:5], 3, s[6:7]
	s_and_b64 s[6:7], vcc, s[2:3]
	s_and_saveexec_b64 s[2:3], s[6:7]
	s_cbranch_execz .LBB67_22
; %bb.19:
	v_mul_f64 v[2:3], s[12:13], v[2:3]
	s_and_b64 vcc, exec, s[0:1]
	v_lshl_add_u64 v[8:9], v[8:9], 3, v[4:5]
	s_cbranch_vccnz .LBB67_21
; %bb.20:
	global_load_dwordx2 v[12:13], v[8:9], off
	s_waitcnt vmcnt(0)
	v_fmac_f64_e32 v[2:3], s[10:11], v[12:13]
.LBB67_21:
	global_store_dwordx2 v[8:9], v[2:3], off
.LBB67_22:
	s_or_b64 exec, exec, s[2:3]
	v_cmp_le_i32_e32 vcc, v10, v6
	s_and_b64 s[2:3], vcc, s[4:5]
	s_and_saveexec_b64 s[4:5], s[2:3]
	s_cbranch_execz .LBB67_26
; %bb.23:
	v_mul_f64 v[0:1], s[12:13], v[0:1]
	s_and_b64 vcc, exec, s[0:1]
	v_lshl_add_u64 v[2:3], v[6:7], 3, v[4:5]
	s_cbranch_vccnz .LBB67_25
; %bb.24:
	global_load_dwordx2 v[4:5], v[2:3], off
	s_waitcnt vmcnt(0)
	v_fmac_f64_e32 v[0:1], s[10:11], v[4:5]
.LBB67_25:
	global_store_dwordx2 v[2:3], v[0:1], off
.LBB67_26:
	s_endpgm
	.section	.rodata,"a",@progbits
	.p2align	6, 0x0
	.amdhsa_kernel _ZL29rocblas_internal_gemmt_kernelIiLi16ELi32ELi8ELc84ELc84ELc76ELb0ELb0EddPKdPdEviT_T9_T10_S3_lS5_S3_lS4_T11_S3_li
		.amdhsa_group_segment_fixed_size 4096
		.amdhsa_private_segment_fixed_size 0
		.amdhsa_kernarg_size 100
		.amdhsa_user_sgpr_count 2
		.amdhsa_user_sgpr_dispatch_ptr 0
		.amdhsa_user_sgpr_queue_ptr 0
		.amdhsa_user_sgpr_kernarg_segment_ptr 1
		.amdhsa_user_sgpr_dispatch_id 0
		.amdhsa_user_sgpr_kernarg_preload_length 0
		.amdhsa_user_sgpr_kernarg_preload_offset 0
		.amdhsa_user_sgpr_private_segment_size 0
		.amdhsa_uses_dynamic_stack 0
		.amdhsa_enable_private_segment 0
		.amdhsa_system_sgpr_workgroup_id_x 1
		.amdhsa_system_sgpr_workgroup_id_y 1
		.amdhsa_system_sgpr_workgroup_id_z 1
		.amdhsa_system_sgpr_workgroup_info 0
		.amdhsa_system_vgpr_workitem_id 1
		.amdhsa_next_free_vgpr 52
		.amdhsa_next_free_sgpr 28
		.amdhsa_accum_offset 52
		.amdhsa_reserve_vcc 1
		.amdhsa_float_round_mode_32 0
		.amdhsa_float_round_mode_16_64 0
		.amdhsa_float_denorm_mode_32 3
		.amdhsa_float_denorm_mode_16_64 3
		.amdhsa_dx10_clamp 1
		.amdhsa_ieee_mode 1
		.amdhsa_fp16_overflow 0
		.amdhsa_tg_split 0
		.amdhsa_exception_fp_ieee_invalid_op 0
		.amdhsa_exception_fp_denorm_src 0
		.amdhsa_exception_fp_ieee_div_zero 0
		.amdhsa_exception_fp_ieee_overflow 0
		.amdhsa_exception_fp_ieee_underflow 0
		.amdhsa_exception_fp_ieee_inexact 0
		.amdhsa_exception_int_div_zero 0
	.end_amdhsa_kernel
	.section	.text._ZL29rocblas_internal_gemmt_kernelIiLi16ELi32ELi8ELc84ELc84ELc76ELb0ELb0EddPKdPdEviT_T9_T10_S3_lS5_S3_lS4_T11_S3_li,"axG",@progbits,_ZL29rocblas_internal_gemmt_kernelIiLi16ELi32ELi8ELc84ELc84ELc76ELb0ELb0EddPKdPdEviT_T9_T10_S3_lS5_S3_lS4_T11_S3_li,comdat
.Lfunc_end67:
	.size	_ZL29rocblas_internal_gemmt_kernelIiLi16ELi32ELi8ELc84ELc84ELc76ELb0ELb0EddPKdPdEviT_T9_T10_S3_lS5_S3_lS4_T11_S3_li, .Lfunc_end67-_ZL29rocblas_internal_gemmt_kernelIiLi16ELi32ELi8ELc84ELc84ELc76ELb0ELb0EddPKdPdEviT_T9_T10_S3_lS5_S3_lS4_T11_S3_li
                                        ; -- End function
	.set _ZL29rocblas_internal_gemmt_kernelIiLi16ELi32ELi8ELc84ELc84ELc76ELb0ELb0EddPKdPdEviT_T9_T10_S3_lS5_S3_lS4_T11_S3_li.num_vgpr, 52
	.set _ZL29rocblas_internal_gemmt_kernelIiLi16ELi32ELi8ELc84ELc84ELc76ELb0ELb0EddPKdPdEviT_T9_T10_S3_lS5_S3_lS4_T11_S3_li.num_agpr, 0
	.set _ZL29rocblas_internal_gemmt_kernelIiLi16ELi32ELi8ELc84ELc84ELc76ELb0ELb0EddPKdPdEviT_T9_T10_S3_lS5_S3_lS4_T11_S3_li.numbered_sgpr, 28
	.set _ZL29rocblas_internal_gemmt_kernelIiLi16ELi32ELi8ELc84ELc84ELc76ELb0ELb0EddPKdPdEviT_T9_T10_S3_lS5_S3_lS4_T11_S3_li.num_named_barrier, 0
	.set _ZL29rocblas_internal_gemmt_kernelIiLi16ELi32ELi8ELc84ELc84ELc76ELb0ELb0EddPKdPdEviT_T9_T10_S3_lS5_S3_lS4_T11_S3_li.private_seg_size, 0
	.set _ZL29rocblas_internal_gemmt_kernelIiLi16ELi32ELi8ELc84ELc84ELc76ELb0ELb0EddPKdPdEviT_T9_T10_S3_lS5_S3_lS4_T11_S3_li.uses_vcc, 1
	.set _ZL29rocblas_internal_gemmt_kernelIiLi16ELi32ELi8ELc84ELc84ELc76ELb0ELb0EddPKdPdEviT_T9_T10_S3_lS5_S3_lS4_T11_S3_li.uses_flat_scratch, 0
	.set _ZL29rocblas_internal_gemmt_kernelIiLi16ELi32ELi8ELc84ELc84ELc76ELb0ELb0EddPKdPdEviT_T9_T10_S3_lS5_S3_lS4_T11_S3_li.has_dyn_sized_stack, 0
	.set _ZL29rocblas_internal_gemmt_kernelIiLi16ELi32ELi8ELc84ELc84ELc76ELb0ELb0EddPKdPdEviT_T9_T10_S3_lS5_S3_lS4_T11_S3_li.has_recursion, 0
	.set _ZL29rocblas_internal_gemmt_kernelIiLi16ELi32ELi8ELc84ELc84ELc76ELb0ELb0EddPKdPdEviT_T9_T10_S3_lS5_S3_lS4_T11_S3_li.has_indirect_call, 0
	.section	.AMDGPU.csdata,"",@progbits
; Kernel info:
; codeLenInByte = 1288
; TotalNumSgprs: 34
; NumVgprs: 52
; NumAgprs: 0
; TotalNumVgprs: 52
; ScratchSize: 0
; MemoryBound: 0
; FloatMode: 240
; IeeeMode: 1
; LDSByteSize: 4096 bytes/workgroup (compile time only)
; SGPRBlocks: 4
; VGPRBlocks: 6
; NumSGPRsForWavesPerEU: 34
; NumVGPRsForWavesPerEU: 52
; AccumOffset: 52
; Occupancy: 8
; WaveLimiterHint : 0
; COMPUTE_PGM_RSRC2:SCRATCH_EN: 0
; COMPUTE_PGM_RSRC2:USER_SGPR: 2
; COMPUTE_PGM_RSRC2:TRAP_HANDLER: 0
; COMPUTE_PGM_RSRC2:TGID_X_EN: 1
; COMPUTE_PGM_RSRC2:TGID_Y_EN: 1
; COMPUTE_PGM_RSRC2:TGID_Z_EN: 1
; COMPUTE_PGM_RSRC2:TIDIG_COMP_CNT: 1
; COMPUTE_PGM_RSRC3_GFX90A:ACCUM_OFFSET: 12
; COMPUTE_PGM_RSRC3_GFX90A:TG_SPLIT: 0
	.section	.text._ZL29rocblas_internal_gemmt_kernelIiLi16ELi32ELi8ELc84ELc67ELc76ELb0ELb0EddPKdPdEviT_T9_T10_S3_lS5_S3_lS4_T11_S3_li,"axG",@progbits,_ZL29rocblas_internal_gemmt_kernelIiLi16ELi32ELi8ELc84ELc67ELc76ELb0ELb0EddPKdPdEviT_T9_T10_S3_lS5_S3_lS4_T11_S3_li,comdat
	.globl	_ZL29rocblas_internal_gemmt_kernelIiLi16ELi32ELi8ELc84ELc67ELc76ELb0ELb0EddPKdPdEviT_T9_T10_S3_lS5_S3_lS4_T11_S3_li ; -- Begin function _ZL29rocblas_internal_gemmt_kernelIiLi16ELi32ELi8ELc84ELc67ELc76ELb0ELb0EddPKdPdEviT_T9_T10_S3_lS5_S3_lS4_T11_S3_li
	.p2align	8
	.type	_ZL29rocblas_internal_gemmt_kernelIiLi16ELi32ELi8ELc84ELc67ELc76ELb0ELb0EddPKdPdEviT_T9_T10_S3_lS5_S3_lS4_T11_S3_li,@function
_ZL29rocblas_internal_gemmt_kernelIiLi16ELi32ELi8ELc84ELc67ELc76ELb0ELb0EddPKdPdEviT_T9_T10_S3_lS5_S3_lS4_T11_S3_li: ; @_ZL29rocblas_internal_gemmt_kernelIiLi16ELi32ELi8ELc84ELc67ELc76ELb0ELb0EddPKdPdEviT_T9_T10_S3_lS5_S3_lS4_T11_S3_li
; %bb.0:
	s_load_dwordx4 s[8:11], s[0:1], 0x38
	s_load_dwordx2 s[20:21], s[0:1], 0x0
	s_load_dwordx4 s[12:15], s[0:1], 0x8
	s_waitcnt lgkmcnt(0)
	v_cmp_neq_f64_e64 s[6:7], s[10:11], 1.0
	s_and_b64 vcc, exec, s[6:7]
	s_cbranch_vccnz .LBB68_2
; %bb.1:
	s_cmp_lg_u32 s21, 0
	s_cselect_b64 s[6:7], -1, 0
	v_cmp_neq_f64_e64 s[16:17], s[12:13], 0
	s_and_b64 s[6:7], s[6:7], s[16:17]
.LBB68_2:
	s_andn2_b64 vcc, exec, s[6:7]
	s_cbranch_vccnz .LBB68_26
; %bb.3:
	s_load_dwordx2 s[22:23], s[0:1], 0x48
	s_lshl_b32 s24, s2, 5
	s_lshl_b32 s5, s3, 5
	s_cmp_lt_i32 s21, 1
	v_cmp_eq_f64_e64 s[2:3], s[12:13], 0
	s_cselect_b64 s[6:7], -1, 0
	s_or_b64 s[2:3], s[2:3], s[6:7]
	v_and_b32_e32 v13, 0x3ff, v0
	v_bfe_u32 v12, v0, 10, 10
	s_mov_b32 s25, 0
	v_mov_b64_e32 v[6:7], 0
	s_and_b64 vcc, exec, s[2:3]
	v_mov_b64_e32 v[4:5], 0
	v_mov_b64_e32 v[2:3], 0
	;; [unrolled: 1-line block ×3, first 2 shown]
	s_cbranch_vccnz .LBB68_10
; %bb.4:
	v_lshl_add_u32 v1, v12, 4, v13
	v_and_b32_e32 v3, 31, v1
	v_lshrrev_b32_e32 v15, 5, v1
	v_lshrrev_b32_e32 v2, 3, v1
	v_or_b32_e32 v1, s24, v3
	s_load_dword s26, s[0:1], 0x18
	s_load_dword s6, s[0:1], 0x30
	s_load_dwordx4 s[16:19], s[0:1], 0x20
	v_and_b32_e32 v14, 7, v13
	v_cmp_gt_i32_e32 vcc, s20, v1
	v_lshlrev_b32_e32 v1, 3, v3
	v_lshl_or_b32 v16, v15, 8, v1
	v_lshlrev_b32_e32 v1, 3, v14
	v_add_u32_e32 v0, s5, v2
	v_lshl_or_b32 v1, v2, 6, v1
	v_mov_b32_e32 v2, 0x800
	v_lshl_add_u32 v19, v12, 6, v2
	v_add_u32_e32 v2, s24, v3
	s_waitcnt lgkmcnt(0)
	v_mad_i64_i32 v[2:3], s[26:27], s26, v2, 0
	s_mul_i32 s17, s17, s4
	s_mul_hi_u32 s26, s16, s4
	s_add_i32 s17, s26, s17
	s_mul_i32 s16, s16, s4
	s_lshl_b64 s[16:17], s[16:17], 3
	v_lshl_add_u64 v[2:3], v[2:3], 3, s[16:17]
	v_lshlrev_b32_e32 v4, 3, v15
	v_mov_b32_e32 v5, 0
	v_lshl_add_u64 v[2:3], v[2:3], 0, v[4:5]
	v_lshl_add_u64 v[8:9], s[14:15], 0, v[2:3]
	s_mul_i32 s9, s9, s4
	s_mul_hi_u32 s14, s8, s4
	s_add_i32 s9, s14, s9
	v_mad_i64_i32 v[2:3], s[14:15], s6, v14, 0
	s_mul_i32 s8, s8, s4
	v_lshlrev_b64 v[2:3], 3, v[2:3]
	v_add_u32_e32 v17, 0x800, v1
	v_ashrrev_i32_e32 v1, 31, v0
	v_lshl_add_u64 v[2:3], s[8:9], 3, v[2:3]
	s_ashr_i32 s7, s6, 31
	v_cmp_gt_i32_e64 s[2:3], s20, v0
	v_lshl_add_u64 v[0:1], v[0:1], 3, v[2:3]
	v_lshlrev_b32_e32 v18, 3, v13
	v_lshl_add_u64 v[10:11], s[18:19], 0, v[0:1]
	s_lshl_b64 s[8:9], s[6:7], 6
	v_mov_b64_e32 v[0:1], 0
	v_mov_b64_e32 v[2:3], 0
	;; [unrolled: 1-line block ×4, first 2 shown]
	s_branch .LBB68_6
.LBB68_5:                               ;   in Loop: Header=BB68_6 Depth=1
	s_or_b64 exec, exec, s[6:7]
	s_waitcnt vmcnt(0)
	ds_write_b64 v17, v[20:21]
	s_waitcnt lgkmcnt(0)
	s_barrier
	ds_read2_b64 v[20:23], v18 offset1:16
	ds_read_b128 v[24:27], v19
	ds_read_b128 v[28:31], v19 offset:16
	ds_read_b128 v[32:35], v19 offset:32
	;; [unrolled: 1-line block ×4, first 2 shown]
	ds_read2_b64 v[44:47], v18 offset0:32 offset1:48
	s_waitcnt lgkmcnt(5)
	v_fmac_f64_e32 v[6:7], v[20:21], v[24:25]
	v_fmac_f64_e32 v[4:5], v[22:23], v[24:25]
	ds_read_b128 v[48:51], v19 offset:1040
	s_waitcnt lgkmcnt(2)
	v_fmac_f64_e32 v[2:3], v[20:21], v[40:41]
	v_fmac_f64_e32 v[0:1], v[22:23], v[40:41]
	ds_read2_b64 v[20:23], v18 offset0:64 offset1:80
	s_waitcnt lgkmcnt(2)
	v_fmac_f64_e32 v[6:7], v[44:45], v[26:27]
	v_fmac_f64_e32 v[4:5], v[46:47], v[26:27]
	ds_read2_b64 v[24:27], v18 offset0:96 offset1:112
	v_fmac_f64_e32 v[2:3], v[44:45], v[42:43]
	v_fmac_f64_e32 v[0:1], v[46:47], v[42:43]
	s_waitcnt lgkmcnt(1)
	v_fmac_f64_e32 v[6:7], v[20:21], v[28:29]
	v_fmac_f64_e32 v[4:5], v[22:23], v[28:29]
	ds_read_b128 v[40:43], v19 offset:1072
	v_fmac_f64_e32 v[2:3], v[20:21], v[48:49]
	v_fmac_f64_e32 v[0:1], v[22:23], v[48:49]
	s_waitcnt lgkmcnt(1)
	v_fmac_f64_e32 v[6:7], v[24:25], v[30:31]
	ds_read2_b64 v[20:23], v18 offset0:128 offset1:144
	v_fmac_f64_e32 v[4:5], v[26:27], v[30:31]
	v_fmac_f64_e32 v[2:3], v[24:25], v[50:51]
	;; [unrolled: 1-line block ×3, first 2 shown]
	ds_read_b128 v[24:27], v19 offset:1056
	ds_read2_b64 v[28:31], v18 offset0:160 offset1:176
	s_waitcnt lgkmcnt(2)
	v_fmac_f64_e32 v[6:7], v[20:21], v[32:33]
	v_fmac_f64_e32 v[4:5], v[22:23], v[32:33]
	s_add_i32 s25, s25, 8
	s_waitcnt lgkmcnt(1)
	v_fmac_f64_e32 v[2:3], v[20:21], v[24:25]
	v_fmac_f64_e32 v[0:1], v[22:23], v[24:25]
	ds_read2_b64 v[20:23], v18 offset0:192 offset1:208
	s_waitcnt lgkmcnt(1)
	v_fmac_f64_e32 v[2:3], v[28:29], v[26:27]
	v_fmac_f64_e32 v[0:1], v[30:31], v[26:27]
	ds_read2_b64 v[24:27], v18 offset0:224 offset1:240
	v_fmac_f64_e32 v[6:7], v[28:29], v[34:35]
	v_fmac_f64_e32 v[4:5], v[30:31], v[34:35]
	s_waitcnt lgkmcnt(1)
	v_fmac_f64_e32 v[6:7], v[20:21], v[36:37]
	v_fmac_f64_e32 v[4:5], v[22:23], v[36:37]
	;; [unrolled: 1-line block ×4, first 2 shown]
	s_waitcnt lgkmcnt(0)
	v_fmac_f64_e32 v[6:7], v[24:25], v[38:39]
	v_fmac_f64_e32 v[4:5], v[26:27], v[38:39]
	;; [unrolled: 1-line block ×4, first 2 shown]
	v_lshl_add_u64 v[8:9], v[8:9], 0, 64
	s_cmp_lt_i32 s25, s21
	v_lshl_add_u64 v[10:11], v[10:11], 0, s[8:9]
	s_barrier
	s_cbranch_scc0 .LBB68_10
.LBB68_6:                               ; =>This Inner Loop Header: Depth=1
	v_add_u32_e32 v20, s25, v15
	v_cmp_gt_i32_e64 s[6:7], s21, v20
	s_and_b64 s[14:15], vcc, s[6:7]
	v_mov_b64_e32 v[20:21], 0
	s_and_saveexec_b64 s[6:7], s[14:15]
	s_cbranch_execz .LBB68_8
; %bb.7:                                ;   in Loop: Header=BB68_6 Depth=1
	global_load_dwordx2 v[20:21], v[8:9], off
.LBB68_8:                               ;   in Loop: Header=BB68_6 Depth=1
	s_or_b64 exec, exec, s[6:7]
	s_waitcnt vmcnt(0)
	ds_write_b64 v16, v[20:21]
	v_add_u32_e32 v20, s25, v14
	v_cmp_gt_i32_e64 s[6:7], s21, v20
	s_and_b64 s[14:15], s[6:7], s[2:3]
	v_mov_b64_e32 v[20:21], 0
	s_and_saveexec_b64 s[6:7], s[14:15]
	s_cbranch_execz .LBB68_5
; %bb.9:                                ;   in Loop: Header=BB68_6 Depth=1
	global_load_dwordx2 v[20:21], v[10:11], off
	s_branch .LBB68_5
.LBB68_10:
	s_load_dwordx2 s[2:3], s[0:1], 0x58
	s_load_dword s14, s[0:1], 0x50
	v_add_u32_e32 v14, s5, v12
	v_add_u32_e32 v8, s24, v13
	v_cmp_le_i32_e32 vcc, v14, v8
	s_waitcnt lgkmcnt(0)
	s_mul_i32 s1, s3, s4
	s_mul_hi_u32 s3, s2, s4
	s_mul_i32 s0, s2, s4
	s_add_i32 s1, s3, s1
	s_lshl_b64 s[0:1], s[0:1], 3
	s_add_u32 s6, s22, s0
	s_addc_u32 s7, s23, s1
	v_mad_i64_i32 v[10:11], s[0:1], v14, s14, 0
	v_cmp_neq_f64_e64 s[0:1], s[10:11], 0
	v_cmp_gt_i32_e64 s[2:3], s20, v8
	v_lshl_add_u64 v[10:11], v[10:11], 3, s[6:7]
	v_cndmask_b32_e64 v12, 0, 1, s[0:1]
	s_and_b64 s[8:9], vcc, s[2:3]
	v_ashrrev_i32_e32 v9, 31, v8
	v_cmp_ne_u32_e64 s[0:1], 1, v12
	s_and_saveexec_b64 s[4:5], s[8:9]
	s_cbranch_execz .LBB68_14
; %bb.11:
	v_mul_f64 v[6:7], s[12:13], v[6:7]
	s_and_b64 vcc, exec, s[0:1]
	v_lshl_add_u64 v[12:13], v[8:9], 3, v[10:11]
	s_cbranch_vccnz .LBB68_13
; %bb.12:
	global_load_dwordx2 v[16:17], v[12:13], off
	s_waitcnt vmcnt(0)
	v_fmac_f64_e32 v[6:7], s[10:11], v[16:17]
.LBB68_13:
	global_store_dwordx2 v[12:13], v[6:7], off
.LBB68_14:
	s_or_b64 exec, exec, s[4:5]
	v_add_u32_e32 v6, 16, v8
	v_cmp_le_i32_e32 vcc, v14, v6
	v_cmp_gt_i32_e64 s[4:5], s20, v6
	s_and_b64 s[16:17], vcc, s[4:5]
	v_ashrrev_i32_e32 v7, 31, v6
	s_and_saveexec_b64 s[8:9], s[16:17]
	s_cbranch_execz .LBB68_18
; %bb.15:
	v_mul_f64 v[4:5], s[12:13], v[4:5]
	s_and_b64 vcc, exec, s[0:1]
	v_lshl_add_u64 v[10:11], v[6:7], 3, v[10:11]
	s_cbranch_vccnz .LBB68_17
; %bb.16:
	global_load_dwordx2 v[12:13], v[10:11], off
	s_waitcnt vmcnt(0)
	v_fmac_f64_e32 v[4:5], s[10:11], v[12:13]
.LBB68_17:
	global_store_dwordx2 v[10:11], v[4:5], off
.LBB68_18:
	s_or_b64 exec, exec, s[8:9]
	v_add_u32_e32 v10, 16, v14
	v_mad_i64_i32 v[4:5], s[8:9], v10, s14, 0
	v_cmp_le_i32_e32 vcc, v10, v8
	v_lshl_add_u64 v[4:5], v[4:5], 3, s[6:7]
	s_and_b64 s[6:7], vcc, s[2:3]
	s_and_saveexec_b64 s[2:3], s[6:7]
	s_cbranch_execz .LBB68_22
; %bb.19:
	v_mul_f64 v[2:3], s[12:13], v[2:3]
	s_and_b64 vcc, exec, s[0:1]
	v_lshl_add_u64 v[8:9], v[8:9], 3, v[4:5]
	s_cbranch_vccnz .LBB68_21
; %bb.20:
	global_load_dwordx2 v[12:13], v[8:9], off
	s_waitcnt vmcnt(0)
	v_fmac_f64_e32 v[2:3], s[10:11], v[12:13]
.LBB68_21:
	global_store_dwordx2 v[8:9], v[2:3], off
.LBB68_22:
	s_or_b64 exec, exec, s[2:3]
	v_cmp_le_i32_e32 vcc, v10, v6
	s_and_b64 s[2:3], vcc, s[4:5]
	s_and_saveexec_b64 s[4:5], s[2:3]
	s_cbranch_execz .LBB68_26
; %bb.23:
	v_mul_f64 v[0:1], s[12:13], v[0:1]
	s_and_b64 vcc, exec, s[0:1]
	v_lshl_add_u64 v[2:3], v[6:7], 3, v[4:5]
	s_cbranch_vccnz .LBB68_25
; %bb.24:
	global_load_dwordx2 v[4:5], v[2:3], off
	s_waitcnt vmcnt(0)
	v_fmac_f64_e32 v[0:1], s[10:11], v[4:5]
.LBB68_25:
	global_store_dwordx2 v[2:3], v[0:1], off
.LBB68_26:
	s_endpgm
	.section	.rodata,"a",@progbits
	.p2align	6, 0x0
	.amdhsa_kernel _ZL29rocblas_internal_gemmt_kernelIiLi16ELi32ELi8ELc84ELc67ELc76ELb0ELb0EddPKdPdEviT_T9_T10_S3_lS5_S3_lS4_T11_S3_li
		.amdhsa_group_segment_fixed_size 4096
		.amdhsa_private_segment_fixed_size 0
		.amdhsa_kernarg_size 100
		.amdhsa_user_sgpr_count 2
		.amdhsa_user_sgpr_dispatch_ptr 0
		.amdhsa_user_sgpr_queue_ptr 0
		.amdhsa_user_sgpr_kernarg_segment_ptr 1
		.amdhsa_user_sgpr_dispatch_id 0
		.amdhsa_user_sgpr_kernarg_preload_length 0
		.amdhsa_user_sgpr_kernarg_preload_offset 0
		.amdhsa_user_sgpr_private_segment_size 0
		.amdhsa_uses_dynamic_stack 0
		.amdhsa_enable_private_segment 0
		.amdhsa_system_sgpr_workgroup_id_x 1
		.amdhsa_system_sgpr_workgroup_id_y 1
		.amdhsa_system_sgpr_workgroup_id_z 1
		.amdhsa_system_sgpr_workgroup_info 0
		.amdhsa_system_vgpr_workitem_id 1
		.amdhsa_next_free_vgpr 52
		.amdhsa_next_free_sgpr 28
		.amdhsa_accum_offset 52
		.amdhsa_reserve_vcc 1
		.amdhsa_float_round_mode_32 0
		.amdhsa_float_round_mode_16_64 0
		.amdhsa_float_denorm_mode_32 3
		.amdhsa_float_denorm_mode_16_64 3
		.amdhsa_dx10_clamp 1
		.amdhsa_ieee_mode 1
		.amdhsa_fp16_overflow 0
		.amdhsa_tg_split 0
		.amdhsa_exception_fp_ieee_invalid_op 0
		.amdhsa_exception_fp_denorm_src 0
		.amdhsa_exception_fp_ieee_div_zero 0
		.amdhsa_exception_fp_ieee_overflow 0
		.amdhsa_exception_fp_ieee_underflow 0
		.amdhsa_exception_fp_ieee_inexact 0
		.amdhsa_exception_int_div_zero 0
	.end_amdhsa_kernel
	.section	.text._ZL29rocblas_internal_gemmt_kernelIiLi16ELi32ELi8ELc84ELc67ELc76ELb0ELb0EddPKdPdEviT_T9_T10_S3_lS5_S3_lS4_T11_S3_li,"axG",@progbits,_ZL29rocblas_internal_gemmt_kernelIiLi16ELi32ELi8ELc84ELc67ELc76ELb0ELb0EddPKdPdEviT_T9_T10_S3_lS5_S3_lS4_T11_S3_li,comdat
.Lfunc_end68:
	.size	_ZL29rocblas_internal_gemmt_kernelIiLi16ELi32ELi8ELc84ELc67ELc76ELb0ELb0EddPKdPdEviT_T9_T10_S3_lS5_S3_lS4_T11_S3_li, .Lfunc_end68-_ZL29rocblas_internal_gemmt_kernelIiLi16ELi32ELi8ELc84ELc67ELc76ELb0ELb0EddPKdPdEviT_T9_T10_S3_lS5_S3_lS4_T11_S3_li
                                        ; -- End function
	.set _ZL29rocblas_internal_gemmt_kernelIiLi16ELi32ELi8ELc84ELc67ELc76ELb0ELb0EddPKdPdEviT_T9_T10_S3_lS5_S3_lS4_T11_S3_li.num_vgpr, 52
	.set _ZL29rocblas_internal_gemmt_kernelIiLi16ELi32ELi8ELc84ELc67ELc76ELb0ELb0EddPKdPdEviT_T9_T10_S3_lS5_S3_lS4_T11_S3_li.num_agpr, 0
	.set _ZL29rocblas_internal_gemmt_kernelIiLi16ELi32ELi8ELc84ELc67ELc76ELb0ELb0EddPKdPdEviT_T9_T10_S3_lS5_S3_lS4_T11_S3_li.numbered_sgpr, 28
	.set _ZL29rocblas_internal_gemmt_kernelIiLi16ELi32ELi8ELc84ELc67ELc76ELb0ELb0EddPKdPdEviT_T9_T10_S3_lS5_S3_lS4_T11_S3_li.num_named_barrier, 0
	.set _ZL29rocblas_internal_gemmt_kernelIiLi16ELi32ELi8ELc84ELc67ELc76ELb0ELb0EddPKdPdEviT_T9_T10_S3_lS5_S3_lS4_T11_S3_li.private_seg_size, 0
	.set _ZL29rocblas_internal_gemmt_kernelIiLi16ELi32ELi8ELc84ELc67ELc76ELb0ELb0EddPKdPdEviT_T9_T10_S3_lS5_S3_lS4_T11_S3_li.uses_vcc, 1
	.set _ZL29rocblas_internal_gemmt_kernelIiLi16ELi32ELi8ELc84ELc67ELc76ELb0ELb0EddPKdPdEviT_T9_T10_S3_lS5_S3_lS4_T11_S3_li.uses_flat_scratch, 0
	.set _ZL29rocblas_internal_gemmt_kernelIiLi16ELi32ELi8ELc84ELc67ELc76ELb0ELb0EddPKdPdEviT_T9_T10_S3_lS5_S3_lS4_T11_S3_li.has_dyn_sized_stack, 0
	.set _ZL29rocblas_internal_gemmt_kernelIiLi16ELi32ELi8ELc84ELc67ELc76ELb0ELb0EddPKdPdEviT_T9_T10_S3_lS5_S3_lS4_T11_S3_li.has_recursion, 0
	.set _ZL29rocblas_internal_gemmt_kernelIiLi16ELi32ELi8ELc84ELc67ELc76ELb0ELb0EddPKdPdEviT_T9_T10_S3_lS5_S3_lS4_T11_S3_li.has_indirect_call, 0
	.section	.AMDGPU.csdata,"",@progbits
; Kernel info:
; codeLenInByte = 1288
; TotalNumSgprs: 34
; NumVgprs: 52
; NumAgprs: 0
; TotalNumVgprs: 52
; ScratchSize: 0
; MemoryBound: 0
; FloatMode: 240
; IeeeMode: 1
; LDSByteSize: 4096 bytes/workgroup (compile time only)
; SGPRBlocks: 4
; VGPRBlocks: 6
; NumSGPRsForWavesPerEU: 34
; NumVGPRsForWavesPerEU: 52
; AccumOffset: 52
; Occupancy: 8
; WaveLimiterHint : 0
; COMPUTE_PGM_RSRC2:SCRATCH_EN: 0
; COMPUTE_PGM_RSRC2:USER_SGPR: 2
; COMPUTE_PGM_RSRC2:TRAP_HANDLER: 0
; COMPUTE_PGM_RSRC2:TGID_X_EN: 1
; COMPUTE_PGM_RSRC2:TGID_Y_EN: 1
; COMPUTE_PGM_RSRC2:TGID_Z_EN: 1
; COMPUTE_PGM_RSRC2:TIDIG_COMP_CNT: 1
; COMPUTE_PGM_RSRC3_GFX90A:ACCUM_OFFSET: 12
; COMPUTE_PGM_RSRC3_GFX90A:TG_SPLIT: 0
	.section	.text._ZL29rocblas_internal_gemmt_kernelIiLi16ELi32ELi8ELc67ELc78ELc76ELb0ELb0EddPKdPdEviT_T9_T10_S3_lS5_S3_lS4_T11_S3_li,"axG",@progbits,_ZL29rocblas_internal_gemmt_kernelIiLi16ELi32ELi8ELc67ELc78ELc76ELb0ELb0EddPKdPdEviT_T9_T10_S3_lS5_S3_lS4_T11_S3_li,comdat
	.globl	_ZL29rocblas_internal_gemmt_kernelIiLi16ELi32ELi8ELc67ELc78ELc76ELb0ELb0EddPKdPdEviT_T9_T10_S3_lS5_S3_lS4_T11_S3_li ; -- Begin function _ZL29rocblas_internal_gemmt_kernelIiLi16ELi32ELi8ELc67ELc78ELc76ELb0ELb0EddPKdPdEviT_T9_T10_S3_lS5_S3_lS4_T11_S3_li
	.p2align	8
	.type	_ZL29rocblas_internal_gemmt_kernelIiLi16ELi32ELi8ELc67ELc78ELc76ELb0ELb0EddPKdPdEviT_T9_T10_S3_lS5_S3_lS4_T11_S3_li,@function
_ZL29rocblas_internal_gemmt_kernelIiLi16ELi32ELi8ELc67ELc78ELc76ELb0ELb0EddPKdPdEviT_T9_T10_S3_lS5_S3_lS4_T11_S3_li: ; @_ZL29rocblas_internal_gemmt_kernelIiLi16ELi32ELi8ELc67ELc78ELc76ELb0ELb0EddPKdPdEviT_T9_T10_S3_lS5_S3_lS4_T11_S3_li
; %bb.0:
	s_load_dwordx4 s[8:11], s[0:1], 0x38
	s_load_dwordx2 s[20:21], s[0:1], 0x0
	s_load_dwordx4 s[12:15], s[0:1], 0x8
	s_waitcnt lgkmcnt(0)
	v_cmp_neq_f64_e64 s[6:7], s[10:11], 1.0
	s_and_b64 vcc, exec, s[6:7]
	s_cbranch_vccnz .LBB69_2
; %bb.1:
	s_cmp_lg_u32 s21, 0
	s_cselect_b64 s[6:7], -1, 0
	v_cmp_neq_f64_e64 s[16:17], s[12:13], 0
	s_and_b64 s[6:7], s[6:7], s[16:17]
.LBB69_2:
	s_andn2_b64 vcc, exec, s[6:7]
	s_cbranch_vccnz .LBB69_26
; %bb.3:
	s_load_dwordx2 s[22:23], s[0:1], 0x48
	s_lshl_b32 s24, s2, 5
	s_lshl_b32 s5, s3, 5
	s_cmp_lt_i32 s21, 1
	v_cmp_eq_f64_e64 s[2:3], s[12:13], 0
	s_cselect_b64 s[6:7], -1, 0
	s_or_b64 s[2:3], s[2:3], s[6:7]
	v_and_b32_e32 v13, 0x3ff, v0
	v_bfe_u32 v12, v0, 10, 10
	s_mov_b32 s25, 0
	v_mov_b64_e32 v[6:7], 0
	s_and_b64 vcc, exec, s[2:3]
	v_mov_b64_e32 v[4:5], 0
	v_mov_b64_e32 v[2:3], 0
	;; [unrolled: 1-line block ×3, first 2 shown]
	s_cbranch_vccnz .LBB69_10
; %bb.4:
	v_lshl_add_u32 v0, v12, 4, v13
	v_and_b32_e32 v2, 31, v0
	v_lshrrev_b32_e32 v15, 5, v0
	v_lshrrev_b32_e32 v1, 3, v0
	v_or_b32_e32 v0, s24, v2
	v_and_b32_e32 v14, 7, v13
	v_cmp_gt_i32_e32 vcc, s20, v0
	v_lshlrev_b32_e32 v0, 3, v2
	v_lshl_or_b32 v16, v15, 8, v0
	v_lshlrev_b32_e32 v0, 3, v14
	s_load_dword s6, s[0:1], 0x18
	s_load_dwordx4 s[16:19], s[0:1], 0x20
	s_load_dword s26, s[0:1], 0x30
	v_add_u32_e32 v6, s5, v1
	v_lshl_or_b32 v1, v1, 6, v0
	v_add_u32_e32 v17, 0x800, v1
	v_mov_b32_e32 v1, 0x800
	v_lshl_add_u32 v19, v12, 6, v1
	v_add_u32_e32 v1, s24, v2
	s_waitcnt lgkmcnt(0)
	v_mad_i64_i32 v[2:3], s[6:7], s6, v1, 0
	s_mul_i32 s6, s17, s4
	s_mul_hi_u32 s7, s16, s4
	s_add_i32 s7, s7, s6
	s_mul_i32 s6, s16, s4
	s_lshl_b64 s[6:7], s[6:7], 3
	v_lshl_add_u64 v[2:3], v[2:3], 3, s[6:7]
	v_lshlrev_b32_e32 v4, 3, v15
	v_mov_b32_e32 v5, 0
	v_lshl_add_u64 v[2:3], v[2:3], 0, v[4:5]
	v_lshl_add_u64 v[8:9], s[14:15], 0, v[2:3]
	v_mad_i64_i32 v[2:3], s[6:7], s26, v6, 0
	s_mul_i32 s6, s9, s4
	s_mul_hi_u32 s7, s8, s4
	s_add_i32 s7, s7, s6
	s_mul_i32 s6, s8, s4
	s_lshl_b64 s[6:7], s[6:7], 3
	v_lshl_add_u64 v[2:3], v[2:3], 3, s[6:7]
	v_mov_b32_e32 v1, v5
	v_lshl_add_u64 v[0:1], v[2:3], 0, v[0:1]
	v_cmp_gt_i32_e64 s[2:3], s20, v6
	v_lshlrev_b32_e32 v18, 3, v13
	v_lshl_add_u64 v[10:11], s[18:19], 0, v[0:1]
	v_mov_b64_e32 v[0:1], 0
	v_mov_b64_e32 v[2:3], 0
	;; [unrolled: 1-line block ×4, first 2 shown]
	s_branch .LBB69_6
.LBB69_5:                               ;   in Loop: Header=BB69_6 Depth=1
	s_or_b64 exec, exec, s[6:7]
	s_waitcnt vmcnt(0)
	ds_write_b64 v17, v[20:21]
	s_waitcnt lgkmcnt(0)
	s_barrier
	ds_read2_b64 v[20:23], v18 offset1:16
	ds_read_b128 v[24:27], v19
	ds_read_b128 v[28:31], v19 offset:16
	ds_read_b128 v[32:35], v19 offset:32
	;; [unrolled: 1-line block ×4, first 2 shown]
	ds_read2_b64 v[44:47], v18 offset0:32 offset1:48
	s_waitcnt lgkmcnt(5)
	v_fmac_f64_e32 v[6:7], v[20:21], v[24:25]
	v_fmac_f64_e32 v[4:5], v[22:23], v[24:25]
	ds_read_b128 v[48:51], v19 offset:1040
	s_waitcnt lgkmcnt(2)
	v_fmac_f64_e32 v[2:3], v[20:21], v[40:41]
	v_fmac_f64_e32 v[0:1], v[22:23], v[40:41]
	ds_read2_b64 v[20:23], v18 offset0:64 offset1:80
	s_waitcnt lgkmcnt(2)
	v_fmac_f64_e32 v[6:7], v[44:45], v[26:27]
	v_fmac_f64_e32 v[4:5], v[46:47], v[26:27]
	ds_read2_b64 v[24:27], v18 offset0:96 offset1:112
	v_fmac_f64_e32 v[2:3], v[44:45], v[42:43]
	v_fmac_f64_e32 v[0:1], v[46:47], v[42:43]
	s_waitcnt lgkmcnt(1)
	v_fmac_f64_e32 v[6:7], v[20:21], v[28:29]
	v_fmac_f64_e32 v[4:5], v[22:23], v[28:29]
	ds_read_b128 v[40:43], v19 offset:1072
	v_fmac_f64_e32 v[2:3], v[20:21], v[48:49]
	v_fmac_f64_e32 v[0:1], v[22:23], v[48:49]
	s_waitcnt lgkmcnt(1)
	v_fmac_f64_e32 v[6:7], v[24:25], v[30:31]
	ds_read2_b64 v[20:23], v18 offset0:128 offset1:144
	v_fmac_f64_e32 v[4:5], v[26:27], v[30:31]
	v_fmac_f64_e32 v[2:3], v[24:25], v[50:51]
	;; [unrolled: 1-line block ×3, first 2 shown]
	ds_read_b128 v[24:27], v19 offset:1056
	ds_read2_b64 v[28:31], v18 offset0:160 offset1:176
	s_waitcnt lgkmcnt(2)
	v_fmac_f64_e32 v[6:7], v[20:21], v[32:33]
	v_fmac_f64_e32 v[4:5], v[22:23], v[32:33]
	s_add_i32 s25, s25, 8
	s_waitcnt lgkmcnt(1)
	v_fmac_f64_e32 v[2:3], v[20:21], v[24:25]
	v_fmac_f64_e32 v[0:1], v[22:23], v[24:25]
	ds_read2_b64 v[20:23], v18 offset0:192 offset1:208
	s_waitcnt lgkmcnt(1)
	v_fmac_f64_e32 v[2:3], v[28:29], v[26:27]
	v_fmac_f64_e32 v[0:1], v[30:31], v[26:27]
	ds_read2_b64 v[24:27], v18 offset0:224 offset1:240
	v_fmac_f64_e32 v[6:7], v[28:29], v[34:35]
	v_fmac_f64_e32 v[4:5], v[30:31], v[34:35]
	s_waitcnt lgkmcnt(1)
	v_fmac_f64_e32 v[6:7], v[20:21], v[36:37]
	v_fmac_f64_e32 v[4:5], v[22:23], v[36:37]
	;; [unrolled: 1-line block ×4, first 2 shown]
	s_waitcnt lgkmcnt(0)
	v_fmac_f64_e32 v[6:7], v[24:25], v[38:39]
	v_fmac_f64_e32 v[4:5], v[26:27], v[38:39]
	;; [unrolled: 1-line block ×4, first 2 shown]
	v_lshl_add_u64 v[8:9], v[8:9], 0, 64
	s_cmp_lt_i32 s25, s21
	v_lshl_add_u64 v[10:11], v[10:11], 0, 64
	s_barrier
	s_cbranch_scc0 .LBB69_10
.LBB69_6:                               ; =>This Inner Loop Header: Depth=1
	v_add_u32_e32 v20, s25, v15
	v_cmp_gt_i32_e64 s[6:7], s21, v20
	s_and_b64 s[8:9], vcc, s[6:7]
	v_mov_b64_e32 v[20:21], 0
	s_and_saveexec_b64 s[6:7], s[8:9]
	s_cbranch_execz .LBB69_8
; %bb.7:                                ;   in Loop: Header=BB69_6 Depth=1
	global_load_dwordx2 v[20:21], v[8:9], off
.LBB69_8:                               ;   in Loop: Header=BB69_6 Depth=1
	s_or_b64 exec, exec, s[6:7]
	s_waitcnt vmcnt(0)
	ds_write_b64 v16, v[20:21]
	v_add_u32_e32 v20, s25, v14
	v_cmp_gt_i32_e64 s[6:7], s21, v20
	s_and_b64 s[8:9], s[6:7], s[2:3]
	v_mov_b64_e32 v[20:21], 0
	s_and_saveexec_b64 s[6:7], s[8:9]
	s_cbranch_execz .LBB69_5
; %bb.9:                                ;   in Loop: Header=BB69_6 Depth=1
	global_load_dwordx2 v[20:21], v[10:11], off
	s_branch .LBB69_5
.LBB69_10:
	s_load_dwordx2 s[2:3], s[0:1], 0x58
	s_load_dword s14, s[0:1], 0x50
	v_add_u32_e32 v14, s5, v12
	v_add_u32_e32 v8, s24, v13
	v_cmp_le_i32_e32 vcc, v14, v8
	s_waitcnt lgkmcnt(0)
	s_mul_i32 s1, s3, s4
	s_mul_hi_u32 s3, s2, s4
	s_mul_i32 s0, s2, s4
	s_add_i32 s1, s3, s1
	s_lshl_b64 s[0:1], s[0:1], 3
	s_add_u32 s6, s22, s0
	s_addc_u32 s7, s23, s1
	v_mad_i64_i32 v[10:11], s[0:1], v14, s14, 0
	v_cmp_neq_f64_e64 s[0:1], s[10:11], 0
	v_cmp_gt_i32_e64 s[2:3], s20, v8
	v_lshl_add_u64 v[10:11], v[10:11], 3, s[6:7]
	v_cndmask_b32_e64 v12, 0, 1, s[0:1]
	s_and_b64 s[8:9], vcc, s[2:3]
	v_ashrrev_i32_e32 v9, 31, v8
	v_cmp_ne_u32_e64 s[0:1], 1, v12
	s_and_saveexec_b64 s[4:5], s[8:9]
	s_cbranch_execz .LBB69_14
; %bb.11:
	v_mul_f64 v[6:7], s[12:13], v[6:7]
	s_and_b64 vcc, exec, s[0:1]
	v_lshl_add_u64 v[12:13], v[8:9], 3, v[10:11]
	s_cbranch_vccnz .LBB69_13
; %bb.12:
	global_load_dwordx2 v[16:17], v[12:13], off
	s_waitcnt vmcnt(0)
	v_fmac_f64_e32 v[6:7], s[10:11], v[16:17]
.LBB69_13:
	global_store_dwordx2 v[12:13], v[6:7], off
.LBB69_14:
	s_or_b64 exec, exec, s[4:5]
	v_add_u32_e32 v6, 16, v8
	v_cmp_le_i32_e32 vcc, v14, v6
	v_cmp_gt_i32_e64 s[4:5], s20, v6
	s_and_b64 s[16:17], vcc, s[4:5]
	v_ashrrev_i32_e32 v7, 31, v6
	s_and_saveexec_b64 s[8:9], s[16:17]
	s_cbranch_execz .LBB69_18
; %bb.15:
	v_mul_f64 v[4:5], s[12:13], v[4:5]
	s_and_b64 vcc, exec, s[0:1]
	v_lshl_add_u64 v[10:11], v[6:7], 3, v[10:11]
	s_cbranch_vccnz .LBB69_17
; %bb.16:
	global_load_dwordx2 v[12:13], v[10:11], off
	s_waitcnt vmcnt(0)
	v_fmac_f64_e32 v[4:5], s[10:11], v[12:13]
.LBB69_17:
	global_store_dwordx2 v[10:11], v[4:5], off
.LBB69_18:
	s_or_b64 exec, exec, s[8:9]
	v_add_u32_e32 v10, 16, v14
	v_mad_i64_i32 v[4:5], s[8:9], v10, s14, 0
	v_cmp_le_i32_e32 vcc, v10, v8
	v_lshl_add_u64 v[4:5], v[4:5], 3, s[6:7]
	s_and_b64 s[6:7], vcc, s[2:3]
	s_and_saveexec_b64 s[2:3], s[6:7]
	s_cbranch_execz .LBB69_22
; %bb.19:
	v_mul_f64 v[2:3], s[12:13], v[2:3]
	s_and_b64 vcc, exec, s[0:1]
	v_lshl_add_u64 v[8:9], v[8:9], 3, v[4:5]
	s_cbranch_vccnz .LBB69_21
; %bb.20:
	global_load_dwordx2 v[12:13], v[8:9], off
	s_waitcnt vmcnt(0)
	v_fmac_f64_e32 v[2:3], s[10:11], v[12:13]
.LBB69_21:
	global_store_dwordx2 v[8:9], v[2:3], off
.LBB69_22:
	s_or_b64 exec, exec, s[2:3]
	v_cmp_le_i32_e32 vcc, v10, v6
	s_and_b64 s[2:3], vcc, s[4:5]
	s_and_saveexec_b64 s[4:5], s[2:3]
	s_cbranch_execz .LBB69_26
; %bb.23:
	v_mul_f64 v[0:1], s[12:13], v[0:1]
	s_and_b64 vcc, exec, s[0:1]
	v_lshl_add_u64 v[2:3], v[6:7], 3, v[4:5]
	s_cbranch_vccnz .LBB69_25
; %bb.24:
	global_load_dwordx2 v[4:5], v[2:3], off
	s_waitcnt vmcnt(0)
	v_fmac_f64_e32 v[0:1], s[10:11], v[4:5]
.LBB69_25:
	global_store_dwordx2 v[2:3], v[0:1], off
.LBB69_26:
	s_endpgm
	.section	.rodata,"a",@progbits
	.p2align	6, 0x0
	.amdhsa_kernel _ZL29rocblas_internal_gemmt_kernelIiLi16ELi32ELi8ELc67ELc78ELc76ELb0ELb0EddPKdPdEviT_T9_T10_S3_lS5_S3_lS4_T11_S3_li
		.amdhsa_group_segment_fixed_size 4096
		.amdhsa_private_segment_fixed_size 0
		.amdhsa_kernarg_size 100
		.amdhsa_user_sgpr_count 2
		.amdhsa_user_sgpr_dispatch_ptr 0
		.amdhsa_user_sgpr_queue_ptr 0
		.amdhsa_user_sgpr_kernarg_segment_ptr 1
		.amdhsa_user_sgpr_dispatch_id 0
		.amdhsa_user_sgpr_kernarg_preload_length 0
		.amdhsa_user_sgpr_kernarg_preload_offset 0
		.amdhsa_user_sgpr_private_segment_size 0
		.amdhsa_uses_dynamic_stack 0
		.amdhsa_enable_private_segment 0
		.amdhsa_system_sgpr_workgroup_id_x 1
		.amdhsa_system_sgpr_workgroup_id_y 1
		.amdhsa_system_sgpr_workgroup_id_z 1
		.amdhsa_system_sgpr_workgroup_info 0
		.amdhsa_system_vgpr_workitem_id 1
		.amdhsa_next_free_vgpr 52
		.amdhsa_next_free_sgpr 27
		.amdhsa_accum_offset 52
		.amdhsa_reserve_vcc 1
		.amdhsa_float_round_mode_32 0
		.amdhsa_float_round_mode_16_64 0
		.amdhsa_float_denorm_mode_32 3
		.amdhsa_float_denorm_mode_16_64 3
		.amdhsa_dx10_clamp 1
		.amdhsa_ieee_mode 1
		.amdhsa_fp16_overflow 0
		.amdhsa_tg_split 0
		.amdhsa_exception_fp_ieee_invalid_op 0
		.amdhsa_exception_fp_denorm_src 0
		.amdhsa_exception_fp_ieee_div_zero 0
		.amdhsa_exception_fp_ieee_overflow 0
		.amdhsa_exception_fp_ieee_underflow 0
		.amdhsa_exception_fp_ieee_inexact 0
		.amdhsa_exception_int_div_zero 0
	.end_amdhsa_kernel
	.section	.text._ZL29rocblas_internal_gemmt_kernelIiLi16ELi32ELi8ELc67ELc78ELc76ELb0ELb0EddPKdPdEviT_T9_T10_S3_lS5_S3_lS4_T11_S3_li,"axG",@progbits,_ZL29rocblas_internal_gemmt_kernelIiLi16ELi32ELi8ELc67ELc78ELc76ELb0ELb0EddPKdPdEviT_T9_T10_S3_lS5_S3_lS4_T11_S3_li,comdat
.Lfunc_end69:
	.size	_ZL29rocblas_internal_gemmt_kernelIiLi16ELi32ELi8ELc67ELc78ELc76ELb0ELb0EddPKdPdEviT_T9_T10_S3_lS5_S3_lS4_T11_S3_li, .Lfunc_end69-_ZL29rocblas_internal_gemmt_kernelIiLi16ELi32ELi8ELc67ELc78ELc76ELb0ELb0EddPKdPdEviT_T9_T10_S3_lS5_S3_lS4_T11_S3_li
                                        ; -- End function
	.set _ZL29rocblas_internal_gemmt_kernelIiLi16ELi32ELi8ELc67ELc78ELc76ELb0ELb0EddPKdPdEviT_T9_T10_S3_lS5_S3_lS4_T11_S3_li.num_vgpr, 52
	.set _ZL29rocblas_internal_gemmt_kernelIiLi16ELi32ELi8ELc67ELc78ELc76ELb0ELb0EddPKdPdEviT_T9_T10_S3_lS5_S3_lS4_T11_S3_li.num_agpr, 0
	.set _ZL29rocblas_internal_gemmt_kernelIiLi16ELi32ELi8ELc67ELc78ELc76ELb0ELb0EddPKdPdEviT_T9_T10_S3_lS5_S3_lS4_T11_S3_li.numbered_sgpr, 27
	.set _ZL29rocblas_internal_gemmt_kernelIiLi16ELi32ELi8ELc67ELc78ELc76ELb0ELb0EddPKdPdEviT_T9_T10_S3_lS5_S3_lS4_T11_S3_li.num_named_barrier, 0
	.set _ZL29rocblas_internal_gemmt_kernelIiLi16ELi32ELi8ELc67ELc78ELc76ELb0ELb0EddPKdPdEviT_T9_T10_S3_lS5_S3_lS4_T11_S3_li.private_seg_size, 0
	.set _ZL29rocblas_internal_gemmt_kernelIiLi16ELi32ELi8ELc67ELc78ELc76ELb0ELb0EddPKdPdEviT_T9_T10_S3_lS5_S3_lS4_T11_S3_li.uses_vcc, 1
	.set _ZL29rocblas_internal_gemmt_kernelIiLi16ELi32ELi8ELc67ELc78ELc76ELb0ELb0EddPKdPdEviT_T9_T10_S3_lS5_S3_lS4_T11_S3_li.uses_flat_scratch, 0
	.set _ZL29rocblas_internal_gemmt_kernelIiLi16ELi32ELi8ELc67ELc78ELc76ELb0ELb0EddPKdPdEviT_T9_T10_S3_lS5_S3_lS4_T11_S3_li.has_dyn_sized_stack, 0
	.set _ZL29rocblas_internal_gemmt_kernelIiLi16ELi32ELi8ELc67ELc78ELc76ELb0ELb0EddPKdPdEviT_T9_T10_S3_lS5_S3_lS4_T11_S3_li.has_recursion, 0
	.set _ZL29rocblas_internal_gemmt_kernelIiLi16ELi32ELi8ELc67ELc78ELc76ELb0ELb0EddPKdPdEviT_T9_T10_S3_lS5_S3_lS4_T11_S3_li.has_indirect_call, 0
	.section	.AMDGPU.csdata,"",@progbits
; Kernel info:
; codeLenInByte = 1276
; TotalNumSgprs: 33
; NumVgprs: 52
; NumAgprs: 0
; TotalNumVgprs: 52
; ScratchSize: 0
; MemoryBound: 0
; FloatMode: 240
; IeeeMode: 1
; LDSByteSize: 4096 bytes/workgroup (compile time only)
; SGPRBlocks: 4
; VGPRBlocks: 6
; NumSGPRsForWavesPerEU: 33
; NumVGPRsForWavesPerEU: 52
; AccumOffset: 52
; Occupancy: 8
; WaveLimiterHint : 0
; COMPUTE_PGM_RSRC2:SCRATCH_EN: 0
; COMPUTE_PGM_RSRC2:USER_SGPR: 2
; COMPUTE_PGM_RSRC2:TRAP_HANDLER: 0
; COMPUTE_PGM_RSRC2:TGID_X_EN: 1
; COMPUTE_PGM_RSRC2:TGID_Y_EN: 1
; COMPUTE_PGM_RSRC2:TGID_Z_EN: 1
; COMPUTE_PGM_RSRC2:TIDIG_COMP_CNT: 1
; COMPUTE_PGM_RSRC3_GFX90A:ACCUM_OFFSET: 12
; COMPUTE_PGM_RSRC3_GFX90A:TG_SPLIT: 0
	.section	.text._ZL29rocblas_internal_gemmt_kernelIiLi16ELi32ELi8ELc67ELc84ELc76ELb0ELb0EddPKdPdEviT_T9_T10_S3_lS5_S3_lS4_T11_S3_li,"axG",@progbits,_ZL29rocblas_internal_gemmt_kernelIiLi16ELi32ELi8ELc67ELc84ELc76ELb0ELb0EddPKdPdEviT_T9_T10_S3_lS5_S3_lS4_T11_S3_li,comdat
	.globl	_ZL29rocblas_internal_gemmt_kernelIiLi16ELi32ELi8ELc67ELc84ELc76ELb0ELb0EddPKdPdEviT_T9_T10_S3_lS5_S3_lS4_T11_S3_li ; -- Begin function _ZL29rocblas_internal_gemmt_kernelIiLi16ELi32ELi8ELc67ELc84ELc76ELb0ELb0EddPKdPdEviT_T9_T10_S3_lS5_S3_lS4_T11_S3_li
	.p2align	8
	.type	_ZL29rocblas_internal_gemmt_kernelIiLi16ELi32ELi8ELc67ELc84ELc76ELb0ELb0EddPKdPdEviT_T9_T10_S3_lS5_S3_lS4_T11_S3_li,@function
_ZL29rocblas_internal_gemmt_kernelIiLi16ELi32ELi8ELc67ELc84ELc76ELb0ELb0EddPKdPdEviT_T9_T10_S3_lS5_S3_lS4_T11_S3_li: ; @_ZL29rocblas_internal_gemmt_kernelIiLi16ELi32ELi8ELc67ELc84ELc76ELb0ELb0EddPKdPdEviT_T9_T10_S3_lS5_S3_lS4_T11_S3_li
; %bb.0:
	s_load_dwordx4 s[8:11], s[0:1], 0x38
	s_load_dwordx2 s[20:21], s[0:1], 0x0
	s_load_dwordx4 s[12:15], s[0:1], 0x8
	s_waitcnt lgkmcnt(0)
	v_cmp_neq_f64_e64 s[6:7], s[10:11], 1.0
	s_and_b64 vcc, exec, s[6:7]
	s_cbranch_vccnz .LBB70_2
; %bb.1:
	s_cmp_lg_u32 s21, 0
	s_cselect_b64 s[6:7], -1, 0
	v_cmp_neq_f64_e64 s[16:17], s[12:13], 0
	s_and_b64 s[6:7], s[6:7], s[16:17]
.LBB70_2:
	s_andn2_b64 vcc, exec, s[6:7]
	s_cbranch_vccnz .LBB70_26
; %bb.3:
	s_load_dwordx2 s[22:23], s[0:1], 0x48
	s_lshl_b32 s24, s2, 5
	s_lshl_b32 s5, s3, 5
	s_cmp_lt_i32 s21, 1
	v_cmp_eq_f64_e64 s[2:3], s[12:13], 0
	s_cselect_b64 s[6:7], -1, 0
	s_or_b64 s[2:3], s[2:3], s[6:7]
	v_and_b32_e32 v13, 0x3ff, v0
	v_bfe_u32 v12, v0, 10, 10
	s_mov_b32 s25, 0
	v_mov_b64_e32 v[6:7], 0
	s_and_b64 vcc, exec, s[2:3]
	v_mov_b64_e32 v[4:5], 0
	v_mov_b64_e32 v[2:3], 0
	;; [unrolled: 1-line block ×3, first 2 shown]
	s_cbranch_vccnz .LBB70_10
; %bb.4:
	v_lshl_add_u32 v1, v12, 4, v13
	v_and_b32_e32 v3, 31, v1
	v_lshrrev_b32_e32 v15, 5, v1
	v_lshrrev_b32_e32 v2, 3, v1
	v_or_b32_e32 v1, s24, v3
	s_load_dword s26, s[0:1], 0x18
	s_load_dword s6, s[0:1], 0x30
	s_load_dwordx4 s[16:19], s[0:1], 0x20
	v_and_b32_e32 v14, 7, v13
	v_cmp_gt_i32_e32 vcc, s20, v1
	v_lshlrev_b32_e32 v1, 3, v3
	v_lshl_or_b32 v16, v15, 8, v1
	v_lshlrev_b32_e32 v1, 3, v14
	v_add_u32_e32 v0, s5, v2
	v_lshl_or_b32 v1, v2, 6, v1
	v_mov_b32_e32 v2, 0x800
	v_lshl_add_u32 v19, v12, 6, v2
	v_add_u32_e32 v2, s24, v3
	s_waitcnt lgkmcnt(0)
	v_mad_i64_i32 v[2:3], s[26:27], s26, v2, 0
	s_mul_i32 s17, s17, s4
	s_mul_hi_u32 s26, s16, s4
	s_add_i32 s17, s26, s17
	s_mul_i32 s16, s16, s4
	s_lshl_b64 s[16:17], s[16:17], 3
	v_lshl_add_u64 v[2:3], v[2:3], 3, s[16:17]
	v_lshlrev_b32_e32 v4, 3, v15
	v_mov_b32_e32 v5, 0
	v_lshl_add_u64 v[2:3], v[2:3], 0, v[4:5]
	v_lshl_add_u64 v[8:9], s[14:15], 0, v[2:3]
	s_mul_i32 s9, s9, s4
	s_mul_hi_u32 s14, s8, s4
	s_add_i32 s9, s14, s9
	v_mad_i64_i32 v[2:3], s[14:15], s6, v14, 0
	s_mul_i32 s8, s8, s4
	v_lshlrev_b64 v[2:3], 3, v[2:3]
	v_add_u32_e32 v17, 0x800, v1
	v_ashrrev_i32_e32 v1, 31, v0
	v_lshl_add_u64 v[2:3], s[8:9], 3, v[2:3]
	s_ashr_i32 s7, s6, 31
	v_cmp_gt_i32_e64 s[2:3], s20, v0
	v_lshl_add_u64 v[0:1], v[0:1], 3, v[2:3]
	v_lshlrev_b32_e32 v18, 3, v13
	v_lshl_add_u64 v[10:11], s[18:19], 0, v[0:1]
	s_lshl_b64 s[8:9], s[6:7], 6
	v_mov_b64_e32 v[0:1], 0
	v_mov_b64_e32 v[2:3], 0
	;; [unrolled: 1-line block ×4, first 2 shown]
	s_branch .LBB70_6
.LBB70_5:                               ;   in Loop: Header=BB70_6 Depth=1
	s_or_b64 exec, exec, s[6:7]
	s_waitcnt vmcnt(0)
	ds_write_b64 v17, v[20:21]
	s_waitcnt lgkmcnt(0)
	s_barrier
	ds_read2_b64 v[20:23], v18 offset1:16
	ds_read_b128 v[24:27], v19
	ds_read_b128 v[28:31], v19 offset:16
	ds_read_b128 v[32:35], v19 offset:32
	;; [unrolled: 1-line block ×4, first 2 shown]
	ds_read2_b64 v[44:47], v18 offset0:32 offset1:48
	s_waitcnt lgkmcnt(5)
	v_fmac_f64_e32 v[6:7], v[20:21], v[24:25]
	v_fmac_f64_e32 v[4:5], v[22:23], v[24:25]
	ds_read_b128 v[48:51], v19 offset:1040
	s_waitcnt lgkmcnt(2)
	v_fmac_f64_e32 v[2:3], v[20:21], v[40:41]
	v_fmac_f64_e32 v[0:1], v[22:23], v[40:41]
	ds_read2_b64 v[20:23], v18 offset0:64 offset1:80
	s_waitcnt lgkmcnt(2)
	v_fmac_f64_e32 v[6:7], v[44:45], v[26:27]
	v_fmac_f64_e32 v[4:5], v[46:47], v[26:27]
	ds_read2_b64 v[24:27], v18 offset0:96 offset1:112
	v_fmac_f64_e32 v[2:3], v[44:45], v[42:43]
	v_fmac_f64_e32 v[0:1], v[46:47], v[42:43]
	s_waitcnt lgkmcnt(1)
	v_fmac_f64_e32 v[6:7], v[20:21], v[28:29]
	v_fmac_f64_e32 v[4:5], v[22:23], v[28:29]
	ds_read_b128 v[40:43], v19 offset:1072
	v_fmac_f64_e32 v[2:3], v[20:21], v[48:49]
	v_fmac_f64_e32 v[0:1], v[22:23], v[48:49]
	s_waitcnt lgkmcnt(1)
	v_fmac_f64_e32 v[6:7], v[24:25], v[30:31]
	ds_read2_b64 v[20:23], v18 offset0:128 offset1:144
	v_fmac_f64_e32 v[4:5], v[26:27], v[30:31]
	v_fmac_f64_e32 v[2:3], v[24:25], v[50:51]
	;; [unrolled: 1-line block ×3, first 2 shown]
	ds_read_b128 v[24:27], v19 offset:1056
	ds_read2_b64 v[28:31], v18 offset0:160 offset1:176
	s_waitcnt lgkmcnt(2)
	v_fmac_f64_e32 v[6:7], v[20:21], v[32:33]
	v_fmac_f64_e32 v[4:5], v[22:23], v[32:33]
	s_add_i32 s25, s25, 8
	s_waitcnt lgkmcnt(1)
	v_fmac_f64_e32 v[2:3], v[20:21], v[24:25]
	v_fmac_f64_e32 v[0:1], v[22:23], v[24:25]
	ds_read2_b64 v[20:23], v18 offset0:192 offset1:208
	s_waitcnt lgkmcnt(1)
	v_fmac_f64_e32 v[2:3], v[28:29], v[26:27]
	v_fmac_f64_e32 v[0:1], v[30:31], v[26:27]
	ds_read2_b64 v[24:27], v18 offset0:224 offset1:240
	v_fmac_f64_e32 v[6:7], v[28:29], v[34:35]
	v_fmac_f64_e32 v[4:5], v[30:31], v[34:35]
	s_waitcnt lgkmcnt(1)
	v_fmac_f64_e32 v[6:7], v[20:21], v[36:37]
	v_fmac_f64_e32 v[4:5], v[22:23], v[36:37]
	v_fmac_f64_e32 v[2:3], v[20:21], v[40:41]
	v_fmac_f64_e32 v[0:1], v[22:23], v[40:41]
	s_waitcnt lgkmcnt(0)
	v_fmac_f64_e32 v[6:7], v[24:25], v[38:39]
	v_fmac_f64_e32 v[4:5], v[26:27], v[38:39]
	;; [unrolled: 1-line block ×4, first 2 shown]
	v_lshl_add_u64 v[8:9], v[8:9], 0, 64
	s_cmp_lt_i32 s25, s21
	v_lshl_add_u64 v[10:11], v[10:11], 0, s[8:9]
	s_barrier
	s_cbranch_scc0 .LBB70_10
.LBB70_6:                               ; =>This Inner Loop Header: Depth=1
	v_add_u32_e32 v20, s25, v15
	v_cmp_gt_i32_e64 s[6:7], s21, v20
	s_and_b64 s[14:15], vcc, s[6:7]
	v_mov_b64_e32 v[20:21], 0
	s_and_saveexec_b64 s[6:7], s[14:15]
	s_cbranch_execz .LBB70_8
; %bb.7:                                ;   in Loop: Header=BB70_6 Depth=1
	global_load_dwordx2 v[20:21], v[8:9], off
.LBB70_8:                               ;   in Loop: Header=BB70_6 Depth=1
	s_or_b64 exec, exec, s[6:7]
	s_waitcnt vmcnt(0)
	ds_write_b64 v16, v[20:21]
	v_add_u32_e32 v20, s25, v14
	v_cmp_gt_i32_e64 s[6:7], s21, v20
	s_and_b64 s[14:15], s[6:7], s[2:3]
	v_mov_b64_e32 v[20:21], 0
	s_and_saveexec_b64 s[6:7], s[14:15]
	s_cbranch_execz .LBB70_5
; %bb.9:                                ;   in Loop: Header=BB70_6 Depth=1
	global_load_dwordx2 v[20:21], v[10:11], off
	s_branch .LBB70_5
.LBB70_10:
	s_load_dwordx2 s[2:3], s[0:1], 0x58
	s_load_dword s14, s[0:1], 0x50
	v_add_u32_e32 v14, s5, v12
	v_add_u32_e32 v8, s24, v13
	v_cmp_le_i32_e32 vcc, v14, v8
	s_waitcnt lgkmcnt(0)
	s_mul_i32 s1, s3, s4
	s_mul_hi_u32 s3, s2, s4
	s_mul_i32 s0, s2, s4
	s_add_i32 s1, s3, s1
	s_lshl_b64 s[0:1], s[0:1], 3
	s_add_u32 s6, s22, s0
	s_addc_u32 s7, s23, s1
	v_mad_i64_i32 v[10:11], s[0:1], v14, s14, 0
	v_cmp_neq_f64_e64 s[0:1], s[10:11], 0
	v_cmp_gt_i32_e64 s[2:3], s20, v8
	v_lshl_add_u64 v[10:11], v[10:11], 3, s[6:7]
	v_cndmask_b32_e64 v12, 0, 1, s[0:1]
	s_and_b64 s[8:9], vcc, s[2:3]
	v_ashrrev_i32_e32 v9, 31, v8
	v_cmp_ne_u32_e64 s[0:1], 1, v12
	s_and_saveexec_b64 s[4:5], s[8:9]
	s_cbranch_execz .LBB70_14
; %bb.11:
	v_mul_f64 v[6:7], s[12:13], v[6:7]
	s_and_b64 vcc, exec, s[0:1]
	v_lshl_add_u64 v[12:13], v[8:9], 3, v[10:11]
	s_cbranch_vccnz .LBB70_13
; %bb.12:
	global_load_dwordx2 v[16:17], v[12:13], off
	s_waitcnt vmcnt(0)
	v_fmac_f64_e32 v[6:7], s[10:11], v[16:17]
.LBB70_13:
	global_store_dwordx2 v[12:13], v[6:7], off
.LBB70_14:
	s_or_b64 exec, exec, s[4:5]
	v_add_u32_e32 v6, 16, v8
	v_cmp_le_i32_e32 vcc, v14, v6
	v_cmp_gt_i32_e64 s[4:5], s20, v6
	s_and_b64 s[16:17], vcc, s[4:5]
	v_ashrrev_i32_e32 v7, 31, v6
	s_and_saveexec_b64 s[8:9], s[16:17]
	s_cbranch_execz .LBB70_18
; %bb.15:
	v_mul_f64 v[4:5], s[12:13], v[4:5]
	s_and_b64 vcc, exec, s[0:1]
	v_lshl_add_u64 v[10:11], v[6:7], 3, v[10:11]
	s_cbranch_vccnz .LBB70_17
; %bb.16:
	global_load_dwordx2 v[12:13], v[10:11], off
	s_waitcnt vmcnt(0)
	v_fmac_f64_e32 v[4:5], s[10:11], v[12:13]
.LBB70_17:
	global_store_dwordx2 v[10:11], v[4:5], off
.LBB70_18:
	s_or_b64 exec, exec, s[8:9]
	v_add_u32_e32 v10, 16, v14
	v_mad_i64_i32 v[4:5], s[8:9], v10, s14, 0
	v_cmp_le_i32_e32 vcc, v10, v8
	v_lshl_add_u64 v[4:5], v[4:5], 3, s[6:7]
	s_and_b64 s[6:7], vcc, s[2:3]
	s_and_saveexec_b64 s[2:3], s[6:7]
	s_cbranch_execz .LBB70_22
; %bb.19:
	v_mul_f64 v[2:3], s[12:13], v[2:3]
	s_and_b64 vcc, exec, s[0:1]
	v_lshl_add_u64 v[8:9], v[8:9], 3, v[4:5]
	s_cbranch_vccnz .LBB70_21
; %bb.20:
	global_load_dwordx2 v[12:13], v[8:9], off
	s_waitcnt vmcnt(0)
	v_fmac_f64_e32 v[2:3], s[10:11], v[12:13]
.LBB70_21:
	global_store_dwordx2 v[8:9], v[2:3], off
.LBB70_22:
	s_or_b64 exec, exec, s[2:3]
	v_cmp_le_i32_e32 vcc, v10, v6
	s_and_b64 s[2:3], vcc, s[4:5]
	s_and_saveexec_b64 s[4:5], s[2:3]
	s_cbranch_execz .LBB70_26
; %bb.23:
	v_mul_f64 v[0:1], s[12:13], v[0:1]
	s_and_b64 vcc, exec, s[0:1]
	v_lshl_add_u64 v[2:3], v[6:7], 3, v[4:5]
	s_cbranch_vccnz .LBB70_25
; %bb.24:
	global_load_dwordx2 v[4:5], v[2:3], off
	s_waitcnt vmcnt(0)
	v_fmac_f64_e32 v[0:1], s[10:11], v[4:5]
.LBB70_25:
	global_store_dwordx2 v[2:3], v[0:1], off
.LBB70_26:
	s_endpgm
	.section	.rodata,"a",@progbits
	.p2align	6, 0x0
	.amdhsa_kernel _ZL29rocblas_internal_gemmt_kernelIiLi16ELi32ELi8ELc67ELc84ELc76ELb0ELb0EddPKdPdEviT_T9_T10_S3_lS5_S3_lS4_T11_S3_li
		.amdhsa_group_segment_fixed_size 4096
		.amdhsa_private_segment_fixed_size 0
		.amdhsa_kernarg_size 100
		.amdhsa_user_sgpr_count 2
		.amdhsa_user_sgpr_dispatch_ptr 0
		.amdhsa_user_sgpr_queue_ptr 0
		.amdhsa_user_sgpr_kernarg_segment_ptr 1
		.amdhsa_user_sgpr_dispatch_id 0
		.amdhsa_user_sgpr_kernarg_preload_length 0
		.amdhsa_user_sgpr_kernarg_preload_offset 0
		.amdhsa_user_sgpr_private_segment_size 0
		.amdhsa_uses_dynamic_stack 0
		.amdhsa_enable_private_segment 0
		.amdhsa_system_sgpr_workgroup_id_x 1
		.amdhsa_system_sgpr_workgroup_id_y 1
		.amdhsa_system_sgpr_workgroup_id_z 1
		.amdhsa_system_sgpr_workgroup_info 0
		.amdhsa_system_vgpr_workitem_id 1
		.amdhsa_next_free_vgpr 52
		.amdhsa_next_free_sgpr 28
		.amdhsa_accum_offset 52
		.amdhsa_reserve_vcc 1
		.amdhsa_float_round_mode_32 0
		.amdhsa_float_round_mode_16_64 0
		.amdhsa_float_denorm_mode_32 3
		.amdhsa_float_denorm_mode_16_64 3
		.amdhsa_dx10_clamp 1
		.amdhsa_ieee_mode 1
		.amdhsa_fp16_overflow 0
		.amdhsa_tg_split 0
		.amdhsa_exception_fp_ieee_invalid_op 0
		.amdhsa_exception_fp_denorm_src 0
		.amdhsa_exception_fp_ieee_div_zero 0
		.amdhsa_exception_fp_ieee_overflow 0
		.amdhsa_exception_fp_ieee_underflow 0
		.amdhsa_exception_fp_ieee_inexact 0
		.amdhsa_exception_int_div_zero 0
	.end_amdhsa_kernel
	.section	.text._ZL29rocblas_internal_gemmt_kernelIiLi16ELi32ELi8ELc67ELc84ELc76ELb0ELb0EddPKdPdEviT_T9_T10_S3_lS5_S3_lS4_T11_S3_li,"axG",@progbits,_ZL29rocblas_internal_gemmt_kernelIiLi16ELi32ELi8ELc67ELc84ELc76ELb0ELb0EddPKdPdEviT_T9_T10_S3_lS5_S3_lS4_T11_S3_li,comdat
.Lfunc_end70:
	.size	_ZL29rocblas_internal_gemmt_kernelIiLi16ELi32ELi8ELc67ELc84ELc76ELb0ELb0EddPKdPdEviT_T9_T10_S3_lS5_S3_lS4_T11_S3_li, .Lfunc_end70-_ZL29rocblas_internal_gemmt_kernelIiLi16ELi32ELi8ELc67ELc84ELc76ELb0ELb0EddPKdPdEviT_T9_T10_S3_lS5_S3_lS4_T11_S3_li
                                        ; -- End function
	.set _ZL29rocblas_internal_gemmt_kernelIiLi16ELi32ELi8ELc67ELc84ELc76ELb0ELb0EddPKdPdEviT_T9_T10_S3_lS5_S3_lS4_T11_S3_li.num_vgpr, 52
	.set _ZL29rocblas_internal_gemmt_kernelIiLi16ELi32ELi8ELc67ELc84ELc76ELb0ELb0EddPKdPdEviT_T9_T10_S3_lS5_S3_lS4_T11_S3_li.num_agpr, 0
	.set _ZL29rocblas_internal_gemmt_kernelIiLi16ELi32ELi8ELc67ELc84ELc76ELb0ELb0EddPKdPdEviT_T9_T10_S3_lS5_S3_lS4_T11_S3_li.numbered_sgpr, 28
	.set _ZL29rocblas_internal_gemmt_kernelIiLi16ELi32ELi8ELc67ELc84ELc76ELb0ELb0EddPKdPdEviT_T9_T10_S3_lS5_S3_lS4_T11_S3_li.num_named_barrier, 0
	.set _ZL29rocblas_internal_gemmt_kernelIiLi16ELi32ELi8ELc67ELc84ELc76ELb0ELb0EddPKdPdEviT_T9_T10_S3_lS5_S3_lS4_T11_S3_li.private_seg_size, 0
	.set _ZL29rocblas_internal_gemmt_kernelIiLi16ELi32ELi8ELc67ELc84ELc76ELb0ELb0EddPKdPdEviT_T9_T10_S3_lS5_S3_lS4_T11_S3_li.uses_vcc, 1
	.set _ZL29rocblas_internal_gemmt_kernelIiLi16ELi32ELi8ELc67ELc84ELc76ELb0ELb0EddPKdPdEviT_T9_T10_S3_lS5_S3_lS4_T11_S3_li.uses_flat_scratch, 0
	.set _ZL29rocblas_internal_gemmt_kernelIiLi16ELi32ELi8ELc67ELc84ELc76ELb0ELb0EddPKdPdEviT_T9_T10_S3_lS5_S3_lS4_T11_S3_li.has_dyn_sized_stack, 0
	.set _ZL29rocblas_internal_gemmt_kernelIiLi16ELi32ELi8ELc67ELc84ELc76ELb0ELb0EddPKdPdEviT_T9_T10_S3_lS5_S3_lS4_T11_S3_li.has_recursion, 0
	.set _ZL29rocblas_internal_gemmt_kernelIiLi16ELi32ELi8ELc67ELc84ELc76ELb0ELb0EddPKdPdEviT_T9_T10_S3_lS5_S3_lS4_T11_S3_li.has_indirect_call, 0
	.section	.AMDGPU.csdata,"",@progbits
; Kernel info:
; codeLenInByte = 1288
; TotalNumSgprs: 34
; NumVgprs: 52
; NumAgprs: 0
; TotalNumVgprs: 52
; ScratchSize: 0
; MemoryBound: 0
; FloatMode: 240
; IeeeMode: 1
; LDSByteSize: 4096 bytes/workgroup (compile time only)
; SGPRBlocks: 4
; VGPRBlocks: 6
; NumSGPRsForWavesPerEU: 34
; NumVGPRsForWavesPerEU: 52
; AccumOffset: 52
; Occupancy: 8
; WaveLimiterHint : 0
; COMPUTE_PGM_RSRC2:SCRATCH_EN: 0
; COMPUTE_PGM_RSRC2:USER_SGPR: 2
; COMPUTE_PGM_RSRC2:TRAP_HANDLER: 0
; COMPUTE_PGM_RSRC2:TGID_X_EN: 1
; COMPUTE_PGM_RSRC2:TGID_Y_EN: 1
; COMPUTE_PGM_RSRC2:TGID_Z_EN: 1
; COMPUTE_PGM_RSRC2:TIDIG_COMP_CNT: 1
; COMPUTE_PGM_RSRC3_GFX90A:ACCUM_OFFSET: 12
; COMPUTE_PGM_RSRC3_GFX90A:TG_SPLIT: 0
	.section	.text._ZL29rocblas_internal_gemmt_kernelIiLi16ELi32ELi8ELc67ELc67ELc76ELb0ELb0EddPKdPdEviT_T9_T10_S3_lS5_S3_lS4_T11_S3_li,"axG",@progbits,_ZL29rocblas_internal_gemmt_kernelIiLi16ELi32ELi8ELc67ELc67ELc76ELb0ELb0EddPKdPdEviT_T9_T10_S3_lS5_S3_lS4_T11_S3_li,comdat
	.globl	_ZL29rocblas_internal_gemmt_kernelIiLi16ELi32ELi8ELc67ELc67ELc76ELb0ELb0EddPKdPdEviT_T9_T10_S3_lS5_S3_lS4_T11_S3_li ; -- Begin function _ZL29rocblas_internal_gemmt_kernelIiLi16ELi32ELi8ELc67ELc67ELc76ELb0ELb0EddPKdPdEviT_T9_T10_S3_lS5_S3_lS4_T11_S3_li
	.p2align	8
	.type	_ZL29rocblas_internal_gemmt_kernelIiLi16ELi32ELi8ELc67ELc67ELc76ELb0ELb0EddPKdPdEviT_T9_T10_S3_lS5_S3_lS4_T11_S3_li,@function
_ZL29rocblas_internal_gemmt_kernelIiLi16ELi32ELi8ELc67ELc67ELc76ELb0ELb0EddPKdPdEviT_T9_T10_S3_lS5_S3_lS4_T11_S3_li: ; @_ZL29rocblas_internal_gemmt_kernelIiLi16ELi32ELi8ELc67ELc67ELc76ELb0ELb0EddPKdPdEviT_T9_T10_S3_lS5_S3_lS4_T11_S3_li
; %bb.0:
	s_load_dwordx4 s[8:11], s[0:1], 0x38
	s_load_dwordx2 s[20:21], s[0:1], 0x0
	s_load_dwordx4 s[12:15], s[0:1], 0x8
	s_waitcnt lgkmcnt(0)
	v_cmp_neq_f64_e64 s[6:7], s[10:11], 1.0
	s_and_b64 vcc, exec, s[6:7]
	s_cbranch_vccnz .LBB71_2
; %bb.1:
	s_cmp_lg_u32 s21, 0
	s_cselect_b64 s[6:7], -1, 0
	v_cmp_neq_f64_e64 s[16:17], s[12:13], 0
	s_and_b64 s[6:7], s[6:7], s[16:17]
.LBB71_2:
	s_andn2_b64 vcc, exec, s[6:7]
	s_cbranch_vccnz .LBB71_26
; %bb.3:
	s_load_dwordx2 s[22:23], s[0:1], 0x48
	s_lshl_b32 s24, s2, 5
	s_lshl_b32 s5, s3, 5
	s_cmp_lt_i32 s21, 1
	v_cmp_eq_f64_e64 s[2:3], s[12:13], 0
	s_cselect_b64 s[6:7], -1, 0
	s_or_b64 s[2:3], s[2:3], s[6:7]
	v_and_b32_e32 v13, 0x3ff, v0
	v_bfe_u32 v12, v0, 10, 10
	s_mov_b32 s25, 0
	v_mov_b64_e32 v[6:7], 0
	s_and_b64 vcc, exec, s[2:3]
	v_mov_b64_e32 v[4:5], 0
	v_mov_b64_e32 v[2:3], 0
	;; [unrolled: 1-line block ×3, first 2 shown]
	s_cbranch_vccnz .LBB71_10
; %bb.4:
	v_lshl_add_u32 v1, v12, 4, v13
	v_and_b32_e32 v3, 31, v1
	v_lshrrev_b32_e32 v15, 5, v1
	v_lshrrev_b32_e32 v2, 3, v1
	v_or_b32_e32 v1, s24, v3
	s_load_dword s26, s[0:1], 0x18
	s_load_dword s6, s[0:1], 0x30
	s_load_dwordx4 s[16:19], s[0:1], 0x20
	v_and_b32_e32 v14, 7, v13
	v_cmp_gt_i32_e32 vcc, s20, v1
	v_lshlrev_b32_e32 v1, 3, v3
	v_lshl_or_b32 v16, v15, 8, v1
	v_lshlrev_b32_e32 v1, 3, v14
	v_add_u32_e32 v0, s5, v2
	v_lshl_or_b32 v1, v2, 6, v1
	v_mov_b32_e32 v2, 0x800
	v_lshl_add_u32 v19, v12, 6, v2
	v_add_u32_e32 v2, s24, v3
	s_waitcnt lgkmcnt(0)
	v_mad_i64_i32 v[2:3], s[26:27], s26, v2, 0
	s_mul_i32 s17, s17, s4
	s_mul_hi_u32 s26, s16, s4
	s_add_i32 s17, s26, s17
	s_mul_i32 s16, s16, s4
	s_lshl_b64 s[16:17], s[16:17], 3
	v_lshl_add_u64 v[2:3], v[2:3], 3, s[16:17]
	v_lshlrev_b32_e32 v4, 3, v15
	v_mov_b32_e32 v5, 0
	v_lshl_add_u64 v[2:3], v[2:3], 0, v[4:5]
	v_lshl_add_u64 v[8:9], s[14:15], 0, v[2:3]
	s_mul_i32 s9, s9, s4
	s_mul_hi_u32 s14, s8, s4
	s_add_i32 s9, s14, s9
	v_mad_i64_i32 v[2:3], s[14:15], s6, v14, 0
	s_mul_i32 s8, s8, s4
	v_lshlrev_b64 v[2:3], 3, v[2:3]
	v_add_u32_e32 v17, 0x800, v1
	v_ashrrev_i32_e32 v1, 31, v0
	v_lshl_add_u64 v[2:3], s[8:9], 3, v[2:3]
	s_ashr_i32 s7, s6, 31
	v_cmp_gt_i32_e64 s[2:3], s20, v0
	v_lshl_add_u64 v[0:1], v[0:1], 3, v[2:3]
	v_lshlrev_b32_e32 v18, 3, v13
	v_lshl_add_u64 v[10:11], s[18:19], 0, v[0:1]
	s_lshl_b64 s[8:9], s[6:7], 6
	v_mov_b64_e32 v[0:1], 0
	v_mov_b64_e32 v[2:3], 0
	;; [unrolled: 1-line block ×4, first 2 shown]
	s_branch .LBB71_6
.LBB71_5:                               ;   in Loop: Header=BB71_6 Depth=1
	s_or_b64 exec, exec, s[6:7]
	s_waitcnt vmcnt(0)
	ds_write_b64 v17, v[20:21]
	s_waitcnt lgkmcnt(0)
	s_barrier
	ds_read2_b64 v[20:23], v18 offset1:16
	ds_read_b128 v[24:27], v19
	ds_read_b128 v[28:31], v19 offset:16
	ds_read_b128 v[32:35], v19 offset:32
	;; [unrolled: 1-line block ×4, first 2 shown]
	ds_read2_b64 v[44:47], v18 offset0:32 offset1:48
	s_waitcnt lgkmcnt(5)
	v_fmac_f64_e32 v[6:7], v[20:21], v[24:25]
	v_fmac_f64_e32 v[4:5], v[22:23], v[24:25]
	ds_read_b128 v[48:51], v19 offset:1040
	s_waitcnt lgkmcnt(2)
	v_fmac_f64_e32 v[2:3], v[20:21], v[40:41]
	v_fmac_f64_e32 v[0:1], v[22:23], v[40:41]
	ds_read2_b64 v[20:23], v18 offset0:64 offset1:80
	s_waitcnt lgkmcnt(2)
	v_fmac_f64_e32 v[6:7], v[44:45], v[26:27]
	v_fmac_f64_e32 v[4:5], v[46:47], v[26:27]
	ds_read2_b64 v[24:27], v18 offset0:96 offset1:112
	v_fmac_f64_e32 v[2:3], v[44:45], v[42:43]
	v_fmac_f64_e32 v[0:1], v[46:47], v[42:43]
	s_waitcnt lgkmcnt(1)
	v_fmac_f64_e32 v[6:7], v[20:21], v[28:29]
	v_fmac_f64_e32 v[4:5], v[22:23], v[28:29]
	ds_read_b128 v[40:43], v19 offset:1072
	v_fmac_f64_e32 v[2:3], v[20:21], v[48:49]
	v_fmac_f64_e32 v[0:1], v[22:23], v[48:49]
	s_waitcnt lgkmcnt(1)
	v_fmac_f64_e32 v[6:7], v[24:25], v[30:31]
	ds_read2_b64 v[20:23], v18 offset0:128 offset1:144
	v_fmac_f64_e32 v[4:5], v[26:27], v[30:31]
	v_fmac_f64_e32 v[2:3], v[24:25], v[50:51]
	;; [unrolled: 1-line block ×3, first 2 shown]
	ds_read_b128 v[24:27], v19 offset:1056
	ds_read2_b64 v[28:31], v18 offset0:160 offset1:176
	s_waitcnt lgkmcnt(2)
	v_fmac_f64_e32 v[6:7], v[20:21], v[32:33]
	v_fmac_f64_e32 v[4:5], v[22:23], v[32:33]
	s_add_i32 s25, s25, 8
	s_waitcnt lgkmcnt(1)
	v_fmac_f64_e32 v[2:3], v[20:21], v[24:25]
	v_fmac_f64_e32 v[0:1], v[22:23], v[24:25]
	ds_read2_b64 v[20:23], v18 offset0:192 offset1:208
	s_waitcnt lgkmcnt(1)
	v_fmac_f64_e32 v[2:3], v[28:29], v[26:27]
	v_fmac_f64_e32 v[0:1], v[30:31], v[26:27]
	ds_read2_b64 v[24:27], v18 offset0:224 offset1:240
	v_fmac_f64_e32 v[6:7], v[28:29], v[34:35]
	v_fmac_f64_e32 v[4:5], v[30:31], v[34:35]
	s_waitcnt lgkmcnt(1)
	v_fmac_f64_e32 v[6:7], v[20:21], v[36:37]
	v_fmac_f64_e32 v[4:5], v[22:23], v[36:37]
	;; [unrolled: 1-line block ×4, first 2 shown]
	s_waitcnt lgkmcnt(0)
	v_fmac_f64_e32 v[6:7], v[24:25], v[38:39]
	v_fmac_f64_e32 v[4:5], v[26:27], v[38:39]
	;; [unrolled: 1-line block ×4, first 2 shown]
	v_lshl_add_u64 v[8:9], v[8:9], 0, 64
	s_cmp_lt_i32 s25, s21
	v_lshl_add_u64 v[10:11], v[10:11], 0, s[8:9]
	s_barrier
	s_cbranch_scc0 .LBB71_10
.LBB71_6:                               ; =>This Inner Loop Header: Depth=1
	v_add_u32_e32 v20, s25, v15
	v_cmp_gt_i32_e64 s[6:7], s21, v20
	s_and_b64 s[14:15], vcc, s[6:7]
	v_mov_b64_e32 v[20:21], 0
	s_and_saveexec_b64 s[6:7], s[14:15]
	s_cbranch_execz .LBB71_8
; %bb.7:                                ;   in Loop: Header=BB71_6 Depth=1
	global_load_dwordx2 v[20:21], v[8:9], off
.LBB71_8:                               ;   in Loop: Header=BB71_6 Depth=1
	s_or_b64 exec, exec, s[6:7]
	s_waitcnt vmcnt(0)
	ds_write_b64 v16, v[20:21]
	v_add_u32_e32 v20, s25, v14
	v_cmp_gt_i32_e64 s[6:7], s21, v20
	s_and_b64 s[14:15], s[6:7], s[2:3]
	v_mov_b64_e32 v[20:21], 0
	s_and_saveexec_b64 s[6:7], s[14:15]
	s_cbranch_execz .LBB71_5
; %bb.9:                                ;   in Loop: Header=BB71_6 Depth=1
	global_load_dwordx2 v[20:21], v[10:11], off
	s_branch .LBB71_5
.LBB71_10:
	s_load_dwordx2 s[2:3], s[0:1], 0x58
	s_load_dword s14, s[0:1], 0x50
	v_add_u32_e32 v14, s5, v12
	v_add_u32_e32 v8, s24, v13
	v_cmp_le_i32_e32 vcc, v14, v8
	s_waitcnt lgkmcnt(0)
	s_mul_i32 s1, s3, s4
	s_mul_hi_u32 s3, s2, s4
	s_mul_i32 s0, s2, s4
	s_add_i32 s1, s3, s1
	s_lshl_b64 s[0:1], s[0:1], 3
	s_add_u32 s6, s22, s0
	s_addc_u32 s7, s23, s1
	v_mad_i64_i32 v[10:11], s[0:1], v14, s14, 0
	v_cmp_neq_f64_e64 s[0:1], s[10:11], 0
	v_cmp_gt_i32_e64 s[2:3], s20, v8
	v_lshl_add_u64 v[10:11], v[10:11], 3, s[6:7]
	v_cndmask_b32_e64 v12, 0, 1, s[0:1]
	s_and_b64 s[8:9], vcc, s[2:3]
	v_ashrrev_i32_e32 v9, 31, v8
	v_cmp_ne_u32_e64 s[0:1], 1, v12
	s_and_saveexec_b64 s[4:5], s[8:9]
	s_cbranch_execz .LBB71_14
; %bb.11:
	v_mul_f64 v[6:7], s[12:13], v[6:7]
	s_and_b64 vcc, exec, s[0:1]
	v_lshl_add_u64 v[12:13], v[8:9], 3, v[10:11]
	s_cbranch_vccnz .LBB71_13
; %bb.12:
	global_load_dwordx2 v[16:17], v[12:13], off
	s_waitcnt vmcnt(0)
	v_fmac_f64_e32 v[6:7], s[10:11], v[16:17]
.LBB71_13:
	global_store_dwordx2 v[12:13], v[6:7], off
.LBB71_14:
	s_or_b64 exec, exec, s[4:5]
	v_add_u32_e32 v6, 16, v8
	v_cmp_le_i32_e32 vcc, v14, v6
	v_cmp_gt_i32_e64 s[4:5], s20, v6
	s_and_b64 s[16:17], vcc, s[4:5]
	v_ashrrev_i32_e32 v7, 31, v6
	s_and_saveexec_b64 s[8:9], s[16:17]
	s_cbranch_execz .LBB71_18
; %bb.15:
	v_mul_f64 v[4:5], s[12:13], v[4:5]
	s_and_b64 vcc, exec, s[0:1]
	v_lshl_add_u64 v[10:11], v[6:7], 3, v[10:11]
	s_cbranch_vccnz .LBB71_17
; %bb.16:
	global_load_dwordx2 v[12:13], v[10:11], off
	s_waitcnt vmcnt(0)
	v_fmac_f64_e32 v[4:5], s[10:11], v[12:13]
.LBB71_17:
	global_store_dwordx2 v[10:11], v[4:5], off
.LBB71_18:
	s_or_b64 exec, exec, s[8:9]
	v_add_u32_e32 v10, 16, v14
	v_mad_i64_i32 v[4:5], s[8:9], v10, s14, 0
	v_cmp_le_i32_e32 vcc, v10, v8
	v_lshl_add_u64 v[4:5], v[4:5], 3, s[6:7]
	s_and_b64 s[6:7], vcc, s[2:3]
	s_and_saveexec_b64 s[2:3], s[6:7]
	s_cbranch_execz .LBB71_22
; %bb.19:
	v_mul_f64 v[2:3], s[12:13], v[2:3]
	s_and_b64 vcc, exec, s[0:1]
	v_lshl_add_u64 v[8:9], v[8:9], 3, v[4:5]
	s_cbranch_vccnz .LBB71_21
; %bb.20:
	global_load_dwordx2 v[12:13], v[8:9], off
	s_waitcnt vmcnt(0)
	v_fmac_f64_e32 v[2:3], s[10:11], v[12:13]
.LBB71_21:
	global_store_dwordx2 v[8:9], v[2:3], off
.LBB71_22:
	s_or_b64 exec, exec, s[2:3]
	v_cmp_le_i32_e32 vcc, v10, v6
	s_and_b64 s[2:3], vcc, s[4:5]
	s_and_saveexec_b64 s[4:5], s[2:3]
	s_cbranch_execz .LBB71_26
; %bb.23:
	v_mul_f64 v[0:1], s[12:13], v[0:1]
	s_and_b64 vcc, exec, s[0:1]
	v_lshl_add_u64 v[2:3], v[6:7], 3, v[4:5]
	s_cbranch_vccnz .LBB71_25
; %bb.24:
	global_load_dwordx2 v[4:5], v[2:3], off
	s_waitcnt vmcnt(0)
	v_fmac_f64_e32 v[0:1], s[10:11], v[4:5]
.LBB71_25:
	global_store_dwordx2 v[2:3], v[0:1], off
.LBB71_26:
	s_endpgm
	.section	.rodata,"a",@progbits
	.p2align	6, 0x0
	.amdhsa_kernel _ZL29rocblas_internal_gemmt_kernelIiLi16ELi32ELi8ELc67ELc67ELc76ELb0ELb0EddPKdPdEviT_T9_T10_S3_lS5_S3_lS4_T11_S3_li
		.amdhsa_group_segment_fixed_size 4096
		.amdhsa_private_segment_fixed_size 0
		.amdhsa_kernarg_size 100
		.amdhsa_user_sgpr_count 2
		.amdhsa_user_sgpr_dispatch_ptr 0
		.amdhsa_user_sgpr_queue_ptr 0
		.amdhsa_user_sgpr_kernarg_segment_ptr 1
		.amdhsa_user_sgpr_dispatch_id 0
		.amdhsa_user_sgpr_kernarg_preload_length 0
		.amdhsa_user_sgpr_kernarg_preload_offset 0
		.amdhsa_user_sgpr_private_segment_size 0
		.amdhsa_uses_dynamic_stack 0
		.amdhsa_enable_private_segment 0
		.amdhsa_system_sgpr_workgroup_id_x 1
		.amdhsa_system_sgpr_workgroup_id_y 1
		.amdhsa_system_sgpr_workgroup_id_z 1
		.amdhsa_system_sgpr_workgroup_info 0
		.amdhsa_system_vgpr_workitem_id 1
		.amdhsa_next_free_vgpr 52
		.amdhsa_next_free_sgpr 28
		.amdhsa_accum_offset 52
		.amdhsa_reserve_vcc 1
		.amdhsa_float_round_mode_32 0
		.amdhsa_float_round_mode_16_64 0
		.amdhsa_float_denorm_mode_32 3
		.amdhsa_float_denorm_mode_16_64 3
		.amdhsa_dx10_clamp 1
		.amdhsa_ieee_mode 1
		.amdhsa_fp16_overflow 0
		.amdhsa_tg_split 0
		.amdhsa_exception_fp_ieee_invalid_op 0
		.amdhsa_exception_fp_denorm_src 0
		.amdhsa_exception_fp_ieee_div_zero 0
		.amdhsa_exception_fp_ieee_overflow 0
		.amdhsa_exception_fp_ieee_underflow 0
		.amdhsa_exception_fp_ieee_inexact 0
		.amdhsa_exception_int_div_zero 0
	.end_amdhsa_kernel
	.section	.text._ZL29rocblas_internal_gemmt_kernelIiLi16ELi32ELi8ELc67ELc67ELc76ELb0ELb0EddPKdPdEviT_T9_T10_S3_lS5_S3_lS4_T11_S3_li,"axG",@progbits,_ZL29rocblas_internal_gemmt_kernelIiLi16ELi32ELi8ELc67ELc67ELc76ELb0ELb0EddPKdPdEviT_T9_T10_S3_lS5_S3_lS4_T11_S3_li,comdat
.Lfunc_end71:
	.size	_ZL29rocblas_internal_gemmt_kernelIiLi16ELi32ELi8ELc67ELc67ELc76ELb0ELb0EddPKdPdEviT_T9_T10_S3_lS5_S3_lS4_T11_S3_li, .Lfunc_end71-_ZL29rocblas_internal_gemmt_kernelIiLi16ELi32ELi8ELc67ELc67ELc76ELb0ELb0EddPKdPdEviT_T9_T10_S3_lS5_S3_lS4_T11_S3_li
                                        ; -- End function
	.set _ZL29rocblas_internal_gemmt_kernelIiLi16ELi32ELi8ELc67ELc67ELc76ELb0ELb0EddPKdPdEviT_T9_T10_S3_lS5_S3_lS4_T11_S3_li.num_vgpr, 52
	.set _ZL29rocblas_internal_gemmt_kernelIiLi16ELi32ELi8ELc67ELc67ELc76ELb0ELb0EddPKdPdEviT_T9_T10_S3_lS5_S3_lS4_T11_S3_li.num_agpr, 0
	.set _ZL29rocblas_internal_gemmt_kernelIiLi16ELi32ELi8ELc67ELc67ELc76ELb0ELb0EddPKdPdEviT_T9_T10_S3_lS5_S3_lS4_T11_S3_li.numbered_sgpr, 28
	.set _ZL29rocblas_internal_gemmt_kernelIiLi16ELi32ELi8ELc67ELc67ELc76ELb0ELb0EddPKdPdEviT_T9_T10_S3_lS5_S3_lS4_T11_S3_li.num_named_barrier, 0
	.set _ZL29rocblas_internal_gemmt_kernelIiLi16ELi32ELi8ELc67ELc67ELc76ELb0ELb0EddPKdPdEviT_T9_T10_S3_lS5_S3_lS4_T11_S3_li.private_seg_size, 0
	.set _ZL29rocblas_internal_gemmt_kernelIiLi16ELi32ELi8ELc67ELc67ELc76ELb0ELb0EddPKdPdEviT_T9_T10_S3_lS5_S3_lS4_T11_S3_li.uses_vcc, 1
	.set _ZL29rocblas_internal_gemmt_kernelIiLi16ELi32ELi8ELc67ELc67ELc76ELb0ELb0EddPKdPdEviT_T9_T10_S3_lS5_S3_lS4_T11_S3_li.uses_flat_scratch, 0
	.set _ZL29rocblas_internal_gemmt_kernelIiLi16ELi32ELi8ELc67ELc67ELc76ELb0ELb0EddPKdPdEviT_T9_T10_S3_lS5_S3_lS4_T11_S3_li.has_dyn_sized_stack, 0
	.set _ZL29rocblas_internal_gemmt_kernelIiLi16ELi32ELi8ELc67ELc67ELc76ELb0ELb0EddPKdPdEviT_T9_T10_S3_lS5_S3_lS4_T11_S3_li.has_recursion, 0
	.set _ZL29rocblas_internal_gemmt_kernelIiLi16ELi32ELi8ELc67ELc67ELc76ELb0ELb0EddPKdPdEviT_T9_T10_S3_lS5_S3_lS4_T11_S3_li.has_indirect_call, 0
	.section	.AMDGPU.csdata,"",@progbits
; Kernel info:
; codeLenInByte = 1288
; TotalNumSgprs: 34
; NumVgprs: 52
; NumAgprs: 0
; TotalNumVgprs: 52
; ScratchSize: 0
; MemoryBound: 0
; FloatMode: 240
; IeeeMode: 1
; LDSByteSize: 4096 bytes/workgroup (compile time only)
; SGPRBlocks: 4
; VGPRBlocks: 6
; NumSGPRsForWavesPerEU: 34
; NumVGPRsForWavesPerEU: 52
; AccumOffset: 52
; Occupancy: 8
; WaveLimiterHint : 0
; COMPUTE_PGM_RSRC2:SCRATCH_EN: 0
; COMPUTE_PGM_RSRC2:USER_SGPR: 2
; COMPUTE_PGM_RSRC2:TRAP_HANDLER: 0
; COMPUTE_PGM_RSRC2:TGID_X_EN: 1
; COMPUTE_PGM_RSRC2:TGID_Y_EN: 1
; COMPUTE_PGM_RSRC2:TGID_Z_EN: 1
; COMPUTE_PGM_RSRC2:TIDIG_COMP_CNT: 1
; COMPUTE_PGM_RSRC3_GFX90A:ACCUM_OFFSET: 12
; COMPUTE_PGM_RSRC3_GFX90A:TG_SPLIT: 0
	.section	.text._ZL29rocblas_internal_gemmt_kernelIiLi16ELi32ELi8ELc78ELc78ELc85ELb0ELb0E19rocblas_complex_numIfEPKS1_S3_PS1_EviT_T9_T10_S5_lS7_S5_lS6_T11_S5_li,"axG",@progbits,_ZL29rocblas_internal_gemmt_kernelIiLi16ELi32ELi8ELc78ELc78ELc85ELb0ELb0E19rocblas_complex_numIfEPKS1_S3_PS1_EviT_T9_T10_S5_lS7_S5_lS6_T11_S5_li,comdat
	.globl	_ZL29rocblas_internal_gemmt_kernelIiLi16ELi32ELi8ELc78ELc78ELc85ELb0ELb0E19rocblas_complex_numIfEPKS1_S3_PS1_EviT_T9_T10_S5_lS7_S5_lS6_T11_S5_li ; -- Begin function _ZL29rocblas_internal_gemmt_kernelIiLi16ELi32ELi8ELc78ELc78ELc85ELb0ELb0E19rocblas_complex_numIfEPKS1_S3_PS1_EviT_T9_T10_S5_lS7_S5_lS6_T11_S5_li
	.p2align	8
	.type	_ZL29rocblas_internal_gemmt_kernelIiLi16ELi32ELi8ELc78ELc78ELc85ELb0ELb0E19rocblas_complex_numIfEPKS1_S3_PS1_EviT_T9_T10_S5_lS7_S5_lS6_T11_S5_li,@function
_ZL29rocblas_internal_gemmt_kernelIiLi16ELi32ELi8ELc78ELc78ELc85ELb0ELb0E19rocblas_complex_numIfEPKS1_S3_PS1_EviT_T9_T10_S5_lS7_S5_lS6_T11_S5_li: ; @_ZL29rocblas_internal_gemmt_kernelIiLi16ELi32ELi8ELc78ELc78ELc85ELb0ELb0E19rocblas_complex_numIfEPKS1_S3_PS1_EviT_T9_T10_S5_lS7_S5_lS6_T11_S5_li
; %bb.0:
	s_load_dwordx4 s[8:11], s[0:1], 0x38
	s_load_dwordx4 s[12:15], s[0:1], 0x8
	s_waitcnt lgkmcnt(0)
	s_load_dwordx2 s[20:21], s[10:11], 0x0
	s_load_dwordx2 s[24:25], s[0:1], 0x0
	;; [unrolled: 1-line block ×3, first 2 shown]
	s_waitcnt lgkmcnt(0)
	s_and_b32 s5, s21, 0x7fffffff
	s_cmp_eq_u32 s5, 0
	v_cmp_eq_f32_e64 s[6:7], s20, 1.0
	s_cselect_b64 s[10:11], -1, 0
	s_and_b64 s[6:7], s[6:7], s[10:11]
	s_and_b64 vcc, exec, s[6:7]
	s_cbranch_vccnz .LBB72_2
; %bb.1:
	s_mov_b64 s[6:7], -1
	s_cbranch_execz .LBB72_3
	s_branch .LBB72_4
.LBB72_2:
	s_mov_b64 s[6:7], 0
.LBB72_3:
	s_cmp_lg_u32 s25, 0
	v_cmp_neq_f32_e64 s[12:13], s22, 0
	v_cmp_neq_f32_e64 s[16:17], s23, 0
	s_cselect_b64 s[6:7], -1, 0
	s_or_b64 s[12:13], s[12:13], s[16:17]
	s_and_b64 s[6:7], s[6:7], s[12:13]
.LBB72_4:
	s_andn2_b64 vcc, exec, s[6:7]
	s_cbranch_vccnz .LBB72_28
; %bb.5:
	s_lshl_b32 s5, s2, 5
	s_lshl_b32 s26, s3, 5
	v_cmp_eq_f32_e64 s[2:3], s22, 0
	v_cmp_eq_f32_e64 s[6:7], s23, 0
	s_load_dwordx2 s[12:13], s[0:1], 0x48
	s_and_b64 s[2:3], s[2:3], s[6:7]
	s_cmp_lt_i32 s25, 1
	s_cselect_b64 s[6:7], -1, 0
	s_or_b64 s[2:3], s[2:3], s[6:7]
	v_and_b32_e32 v15, 0x3ff, v0
	v_bfe_u32 v13, v0, 10, 10
	s_mov_b32 s27, 0
	v_mov_b32_e32 v24, 0
	s_and_b64 vcc, exec, s[2:3]
	v_mov_b32_e32 v26, 0
	v_mov_b32_e32 v20, 0
	;; [unrolled: 1-line block ×7, first 2 shown]
	s_cbranch_vccnz .LBB72_12
; %bb.6:
	s_load_dword s6, s[0:1], 0x18
	s_load_dwordx4 s[16:19], s[0:1], 0x20
	s_load_dword s30, s[0:1], 0x30
	v_lshl_add_u32 v0, v13, 4, v15
	v_lshrrev_b32_e32 v19, 5, v0
	v_and_b32_e32 v4, 31, v0
	s_waitcnt lgkmcnt(0)
	v_mad_i64_i32 v[2:3], s[28:29], v19, s6, 0
	s_mul_i32 s17, s17, s4
	s_mul_hi_u32 s28, s16, s4
	v_lshrrev_b32_e32 v1, 3, v0
	v_or_b32_e32 v0, s5, v4
	s_add_i32 s17, s28, s17
	s_mul_i32 s16, s16, s4
	v_cmp_gt_i32_e32 vcc, s24, v0
	v_lshlrev_b32_e32 v0, 3, v4
	s_lshl_b64 s[16:17], s[16:17], 3
	v_add_u32_e32 v4, s5, v4
	v_lshl_add_u64 v[2:3], v[2:3], 3, s[16:17]
	v_ashrrev_i32_e32 v5, 31, v4
	s_ashr_i32 s7, s6, 31
	v_add_u32_e32 v6, s26, v1
	v_lshl_add_u64 v[2:3], v[4:5], 3, v[2:3]
	v_and_b32_e32 v17, 7, v15
	v_lshl_add_u64 v[8:9], s[14:15], 0, v[2:3]
	s_lshl_b64 s[14:15], s[6:7], 6
	v_mad_i64_i32 v[2:3], s[6:7], s30, v6, 0
	v_lshl_or_b32 v21, v19, 8, v0
	v_lshlrev_b32_e32 v0, 3, v17
	s_mul_i32 s6, s9, s4
	s_mul_hi_u32 s7, s8, s4
	v_lshl_or_b32 v1, v1, 6, v0
	s_add_i32 s7, s7, s6
	s_mul_i32 s6, s8, s4
	v_add_u32_e32 v23, 0x800, v1
	v_mov_b32_e32 v1, 0x800
	s_lshl_b64 s[6:7], s[6:7], 3
	v_lshl_add_u32 v27, v13, 6, v1
	v_lshl_add_u64 v[2:3], v[2:3], 3, s[6:7]
	v_mov_b32_e32 v1, 0
	v_lshl_add_u64 v[2:3], v[2:3], 0, v[0:1]
	v_cmp_gt_i32_e64 s[2:3], s24, v6
	v_lshlrev_b32_e32 v25, 3, v15
	v_lshl_add_u64 v[10:11], s[18:19], 0, v[2:3]
	v_mov_b32_e32 v14, v1
	v_mov_b32_e32 v12, v1
	;; [unrolled: 1-line block ×8, first 2 shown]
	s_branch .LBB72_8
.LBB72_7:                               ;   in Loop: Header=BB72_8 Depth=1
	s_or_b64 exec, exec, s[6:7]
	s_waitcnt vmcnt(0)
	ds_write_b64 v23, v[0:1]
	s_waitcnt lgkmcnt(0)
	s_barrier
	ds_read2_b64 v[28:31], v25 offset1:16
	ds_read_b128 v[32:35], v27
	ds_read_b128 v[36:39], v27 offset:16
	ds_read_b128 v[4:7], v27 offset:32
	;; [unrolled: 1-line block ×3, first 2 shown]
	ds_read2_b64 v[48:51], v25 offset0:32 offset1:48
	s_waitcnt lgkmcnt(4)
	v_mul_f32_e32 v40, v33, v29
	v_fma_f32 v40, v32, v28, -v40
	v_mul_f32_e32 v41, v32, v29
	v_fmac_f32_e32 v41, v33, v28
	v_add_f32_e32 v24, v24, v40
	v_mul_f32_e32 v40, v33, v31
	v_add_f32_e32 v26, v26, v41
	v_fma_f32 v44, v32, v30, -v40
	ds_read_b128 v[40:43], v27 offset:1024
	v_mul_f32_e32 v32, v32, v31
	v_fmac_f32_e32 v32, v33, v30
	v_add_f32_e32 v20, v20, v44
	v_add_f32_e32 v22, v22, v32
	ds_read_b128 v[44:47], v27 offset:1040
	s_waitcnt lgkmcnt(1)
	v_mul_f32_e32 v32, v41, v29
	v_mul_f32_e32 v29, v40, v29
	v_fma_f32 v32, v40, v28, -v32
	v_fmac_f32_e32 v29, v41, v28
	v_mul_f32_e32 v28, v41, v31
	v_add_f32_e32 v18, v18, v29
	v_fma_f32 v28, v40, v30, -v28
	v_mul_f32_e32 v29, v40, v31
	v_fmac_f32_e32 v29, v41, v30
	v_add_f32_e32 v12, v12, v28
	v_mul_f32_e32 v28, v35, v49
	v_add_f32_e32 v14, v14, v29
	v_fma_f32 v28, v34, v48, -v28
	v_mul_f32_e32 v29, v34, v49
	v_fmac_f32_e32 v29, v35, v48
	v_add_f32_e32 v24, v24, v28
	;; [unrolled: 6-line block ×3, first 2 shown]
	v_mul_f32_e32 v28, v43, v49
	v_add_f32_e32 v16, v16, v32
	v_add_f32_e32 v22, v22, v29
	v_fma_f32 v28, v42, v48, -v28
	v_mul_f32_e32 v29, v42, v49
	v_fmac_f32_e32 v29, v43, v48
	v_add_f32_e32 v16, v16, v28
	v_mul_f32_e32 v28, v43, v51
	v_add_f32_e32 v18, v18, v29
	v_fma_f32 v32, v42, v50, -v28
	ds_read2_b64 v[28:31], v25 offset0:64 offset1:80
	v_mul_f32_e32 v33, v42, v51
	v_add_f32_e32 v12, v12, v32
	v_fmac_f32_e32 v33, v43, v50
	v_add_f32_e32 v14, v14, v33
	s_waitcnt lgkmcnt(0)
	v_mul_f32_e32 v32, v37, v29
	v_fma_f32 v32, v36, v28, -v32
	v_mul_f32_e32 v33, v36, v29
	v_add_f32_e32 v24, v24, v32
	v_mul_f32_e32 v32, v37, v31
	v_fmac_f32_e32 v33, v37, v28
	v_fma_f32 v32, v36, v30, -v32
	v_add_f32_e32 v26, v26, v33
	v_mul_f32_e32 v33, v36, v31
	v_add_f32_e32 v20, v20, v32
	v_mul_f32_e32 v32, v45, v29
	v_fmac_f32_e32 v33, v37, v30
	v_fma_f32 v32, v44, v28, -v32
	v_add_f32_e32 v22, v22, v33
	v_add_f32_e32 v16, v16, v32
	ds_read2_b64 v[32:35], v25 offset0:96 offset1:112
	v_mul_f32_e32 v29, v44, v29
	v_fmac_f32_e32 v29, v45, v28
	v_mul_f32_e32 v28, v45, v31
	v_add_f32_e32 v18, v18, v29
	v_fma_f32 v28, v44, v30, -v28
	v_mul_f32_e32 v29, v44, v31
	v_fmac_f32_e32 v29, v45, v30
	v_add_f32_e32 v12, v12, v28
	s_waitcnt lgkmcnt(0)
	v_mul_f32_e32 v28, v39, v33
	v_add_f32_e32 v14, v14, v29
	v_fma_f32 v28, v38, v32, -v28
	v_mul_f32_e32 v29, v38, v33
	v_fmac_f32_e32 v29, v39, v32
	v_add_f32_e32 v24, v24, v28
	v_mul_f32_e32 v28, v39, v35
	v_add_f32_e32 v26, v26, v29
	v_fma_f32 v28, v38, v34, -v28
	v_mul_f32_e32 v29, v38, v35
	v_fmac_f32_e32 v29, v39, v34
	v_add_f32_e32 v20, v20, v28
	;; [unrolled: 6-line block ×3, first 2 shown]
	v_mul_f32_e32 v28, v47, v35
	v_add_f32_e32 v18, v18, v29
	v_fma_f32 v32, v46, v34, -v28
	ds_read2_b64 v[28:31], v25 offset0:128 offset1:144
	v_mul_f32_e32 v33, v46, v35
	v_fmac_f32_e32 v33, v47, v34
	v_add_f32_e32 v12, v12, v32
	v_add_f32_e32 v14, v14, v33
	s_waitcnt lgkmcnt(0)
	v_mul_f32_e32 v32, v5, v29
	v_fma_f32 v32, v4, v28, -v32
	v_mul_f32_e32 v33, v4, v29
	v_fmac_f32_e32 v33, v5, v28
	v_add_f32_e32 v24, v24, v32
	v_mul_f32_e32 v32, v5, v31
	v_add_f32_e32 v26, v26, v33
	v_fma_f32 v36, v4, v30, -v32
	ds_read_b128 v[32:35], v27 offset:1056
	v_mul_f32_e32 v4, v4, v31
	ds_read2_b64 v[40:43], v25 offset0:160 offset1:176
	v_fmac_f32_e32 v4, v5, v30
	v_add_f32_e32 v5, v20, v36
	ds_read_b128 v[36:39], v27 offset:1072
	s_waitcnt lgkmcnt(2)
	v_mul_f32_e32 v20, v33, v29
	v_fma_f32 v20, v32, v28, -v20
	v_add_f32_e32 v16, v16, v20
	v_mul_f32_e32 v20, v33, v31
	v_add_f32_e32 v4, v22, v4
	v_mul_f32_e32 v22, v32, v29
	v_fma_f32 v20, v32, v30, -v20
	v_fmac_f32_e32 v22, v33, v28
	v_add_f32_e32 v12, v12, v20
	s_waitcnt lgkmcnt(1)
	v_mul_f32_e32 v20, v7, v41
	v_add_f32_e32 v18, v18, v22
	v_mul_f32_e32 v22, v32, v31
	v_fma_f32 v20, v6, v40, -v20
	v_fmac_f32_e32 v22, v33, v30
	v_add_f32_e32 v20, v24, v20
	v_mul_f32_e32 v24, v7, v43
	v_add_f32_e32 v14, v14, v22
	v_mul_f32_e32 v22, v6, v41
	v_fma_f32 v24, v6, v42, -v24
	v_mul_f32_e32 v6, v6, v43
	v_fmac_f32_e32 v22, v7, v40
	v_fmac_f32_e32 v6, v7, v42
	v_add_f32_e32 v22, v26, v22
	v_add_f32_e32 v26, v4, v6
	v_mul_f32_e32 v4, v35, v41
	v_add_f32_e32 v24, v5, v24
	v_fma_f32 v4, v34, v40, -v4
	v_mul_f32_e32 v5, v34, v41
	v_fmac_f32_e32 v5, v35, v40
	v_add_f32_e32 v16, v16, v4
	v_mul_f32_e32 v4, v35, v43
	v_add_f32_e32 v18, v18, v5
	v_fma_f32 v28, v34, v42, -v4
	ds_read2_b64 v[4:7], v25 offset0:192 offset1:208
	v_mul_f32_e32 v29, v34, v43
	v_add_f32_e32 v12, v12, v28
	v_fmac_f32_e32 v29, v35, v42
	v_add_f32_e32 v14, v14, v29
	s_waitcnt lgkmcnt(0)
	v_mul_f32_e32 v28, v1, v5
	v_fma_f32 v28, v0, v4, -v28
	v_mul_f32_e32 v29, v0, v5
	v_add_f32_e32 v20, v20, v28
	v_mul_f32_e32 v28, v1, v7
	v_fmac_f32_e32 v29, v1, v4
	v_fma_f32 v28, v0, v6, -v28
	v_mul_f32_e32 v0, v0, v7
	v_add_f32_e32 v22, v22, v29
	v_fmac_f32_e32 v0, v1, v6
	v_add_f32_e32 v1, v24, v28
	ds_read2_b64 v[28:31], v25 offset0:224 offset1:240
	v_mul_f32_e32 v24, v37, v5
	v_fma_f32 v24, v36, v4, -v24
	v_mul_f32_e32 v5, v36, v5
	v_fmac_f32_e32 v5, v37, v4
	v_add_f32_e32 v4, v16, v24
	v_mul_f32_e32 v16, v37, v7
	v_fma_f32 v16, v36, v6, -v16
	v_mul_f32_e32 v7, v36, v7
	v_fmac_f32_e32 v7, v37, v6
	v_add_f32_e32 v6, v12, v16
	s_waitcnt lgkmcnt(0)
	v_mul_f32_e32 v12, v3, v29
	v_fma_f32 v12, v2, v28, -v12
	v_add_f32_e32 v24, v20, v12
	v_mul_f32_e32 v12, v3, v31
	v_add_f32_e32 v7, v14, v7
	v_mul_f32_e32 v14, v2, v29
	v_fma_f32 v12, v2, v30, -v12
	v_mul_f32_e32 v2, v2, v31
	v_add_f32_e32 v0, v26, v0
	v_fmac_f32_e32 v14, v3, v28
	v_fmac_f32_e32 v2, v3, v30
	v_add_f32_e32 v26, v22, v14
	v_add_f32_e32 v20, v1, v12
	;; [unrolled: 1-line block ×3, first 2 shown]
	v_mul_f32_e32 v0, v39, v29
	v_mul_f32_e32 v1, v38, v29
	v_add_f32_e32 v5, v18, v5
	v_fma_f32 v0, v38, v28, -v0
	v_fmac_f32_e32 v1, v39, v28
	v_add_f32_e32 v16, v4, v0
	v_add_f32_e32 v18, v5, v1
	v_mul_f32_e32 v0, v39, v31
	v_mul_f32_e32 v1, v38, v31
	v_fma_f32 v0, v38, v30, -v0
	v_fmac_f32_e32 v1, v39, v30
	s_add_i32 s27, s27, 8
	v_add_f32_e32 v12, v6, v0
	v_add_f32_e32 v14, v7, v1
	v_lshl_add_u64 v[8:9], v[8:9], 0, s[14:15]
	s_cmp_lt_i32 s27, s25
	v_lshl_add_u64 v[10:11], v[10:11], 0, 64
	s_barrier
	s_cbranch_scc0 .LBB72_12
.LBB72_8:                               ; =>This Inner Loop Header: Depth=1
	v_add_u32_e32 v0, s27, v19
	v_cmp_gt_i32_e64 s[6:7], s25, v0
	s_and_b64 s[8:9], vcc, s[6:7]
	v_mov_b32_e32 v0, 0
	v_mov_b32_e32 v1, 0
	s_and_saveexec_b64 s[6:7], s[8:9]
	s_cbranch_execz .LBB72_10
; %bb.9:                                ;   in Loop: Header=BB72_8 Depth=1
	global_load_dwordx2 v[0:1], v[8:9], off
.LBB72_10:                              ;   in Loop: Header=BB72_8 Depth=1
	s_or_b64 exec, exec, s[6:7]
	s_waitcnt vmcnt(0)
	ds_write_b64 v21, v[0:1]
	v_add_u32_e32 v0, s27, v17
	v_cmp_gt_i32_e64 s[6:7], s25, v0
	s_and_b64 s[8:9], s[6:7], s[2:3]
	v_mov_b32_e32 v0, 0
	v_mov_b32_e32 v1, 0
	s_and_saveexec_b64 s[6:7], s[8:9]
	s_cbranch_execz .LBB72_7
; %bb.11:                               ;   in Loop: Header=BB72_8 Depth=1
	global_load_dwordx2 v[0:1], v[10:11], off
	s_branch .LBB72_7
.LBB72_12:
	s_load_dwordx2 s[2:3], s[0:1], 0x58
	s_load_dword s8, s[0:1], 0x50
	v_add_u32_e32 v0, s5, v15
	v_add_u32_e32 v10, s26, v13
	v_cmp_le_i32_e32 vcc, v0, v10
	s_waitcnt lgkmcnt(0)
	s_mul_i32 s1, s3, s4
	s_mul_hi_u32 s3, s2, s4
	s_mul_i32 s0, s2, s4
	s_add_i32 s1, s3, s1
	s_lshl_b64 s[0:1], s[0:1], 3
	s_add_u32 s4, s12, s0
	s_addc_u32 s5, s13, s1
	v_cmp_neq_f32_e64 s[0:1], s20, 0
	s_xor_b64 s[6:7], s[10:11], -1
	v_mad_i64_i32 v[2:3], s[10:11], v10, s8, 0
	s_or_b64 s[0:1], s[0:1], s[6:7]
	v_cmp_gt_i32_e64 s[2:3], s24, v10
	v_lshl_add_u64 v[4:5], v[2:3], 3, s[4:5]
	v_cndmask_b32_e64 v2, 0, 1, s[0:1]
	s_and_b64 s[10:11], s[2:3], vcc
	v_ashrrev_i32_e32 v1, 31, v0
	v_cmp_ne_u32_e64 s[0:1], 1, v2
	s_and_saveexec_b64 s[6:7], s[10:11]
	s_cbranch_execz .LBB72_16
; %bb.13:
	v_pk_mul_f32 v[6:7], v[26:27], s[22:23] op_sel:[0,1] op_sel_hi:[0,0]
	v_pk_fma_f32 v[2:3], v[24:25], s[22:23], v[6:7] op_sel_hi:[0,1,1] neg_lo:[0,0,1] neg_hi:[0,0,1]
	v_pk_fma_f32 v[8:9], v[24:25], s[22:23], v[6:7] op_sel_hi:[0,1,1]
	s_and_b64 vcc, exec, s[0:1]
	v_lshl_add_u64 v[6:7], v[0:1], 3, v[4:5]
	s_cbranch_vccnz .LBB72_15
; %bb.14:
	global_load_dwordx2 v[24:25], v[6:7], off
	s_mov_b32 s10, s21
	v_mov_b32_e32 v3, v9
	s_waitcnt vmcnt(0)
	v_pk_mul_f32 v[8:9], v[24:25], s[10:11] op_sel:[1,0] op_sel_hi:[0,0]
	v_pk_fma_f32 v[26:27], v[24:25], s[20:21], v[8:9] neg_lo:[0,0,1] neg_hi:[0,0,1]
	v_pk_fma_f32 v[8:9], v[24:25], s[20:21], v[8:9] op_sel_hi:[1,0,1]
	s_nop 0
	v_mov_b32_e32 v27, v9
	v_pk_add_f32 v[2:3], v[2:3], v[26:27]
	s_nop 0
	v_mov_b32_e32 v9, v3
.LBB72_15:
	v_mov_b32_e32 v3, v9
	global_store_dwordx2 v[6:7], v[2:3], off
.LBB72_16:
	s_or_b64 exec, exec, s[6:7]
	v_add_u32_e32 v2, 16, v0
	v_cmp_le_i32_e32 vcc, v2, v10
	s_and_b64 s[6:7], s[2:3], vcc
	v_ashrrev_i32_e32 v3, 31, v2
	s_and_saveexec_b64 s[2:3], s[6:7]
	s_cbranch_execz .LBB72_20
; %bb.17:
	v_pk_mul_f32 v[8:9], v[22:23], s[22:23] op_sel:[0,1] op_sel_hi:[0,0]
	v_pk_fma_f32 v[6:7], v[20:21], s[22:23], v[8:9] op_sel_hi:[0,1,1] neg_lo:[0,0,1] neg_hi:[0,0,1]
	v_pk_fma_f32 v[8:9], v[20:21], s[22:23], v[8:9] op_sel_hi:[0,1,1]
	s_and_b64 vcc, exec, s[0:1]
	v_lshl_add_u64 v[4:5], v[2:3], 3, v[4:5]
	s_cbranch_vccnz .LBB72_19
; %bb.18:
	global_load_dwordx2 v[20:21], v[4:5], off
	s_mov_b32 s6, s21
	v_mov_b32_e32 v7, v9
	s_waitcnt vmcnt(0)
	v_pk_mul_f32 v[8:9], v[20:21], s[6:7] op_sel:[1,0] op_sel_hi:[0,0]
	v_pk_fma_f32 v[22:23], v[20:21], s[20:21], v[8:9] neg_lo:[0,0,1] neg_hi:[0,0,1]
	v_pk_fma_f32 v[8:9], v[20:21], s[20:21], v[8:9] op_sel_hi:[1,0,1]
	s_nop 0
	v_mov_b32_e32 v23, v9
	v_pk_add_f32 v[6:7], v[6:7], v[22:23]
	s_nop 0
	v_mov_b32_e32 v9, v7
.LBB72_19:
	v_mov_b32_e32 v7, v9
	global_store_dwordx2 v[4:5], v[6:7], off
.LBB72_20:
	s_or_b64 exec, exec, s[2:3]
	v_add_u32_e32 v10, 16, v10
	v_cmp_gt_i32_e64 s[2:3], s24, v10
	v_mad_i64_i32 v[4:5], s[6:7], v10, s8, 0
	v_cmp_le_i32_e32 vcc, v0, v10
	v_lshl_add_u64 v[4:5], v[4:5], 3, s[4:5]
	s_and_b64 s[6:7], s[2:3], vcc
	s_and_saveexec_b64 s[4:5], s[6:7]
	s_cbranch_execz .LBB72_24
; %bb.21:
	v_pk_mul_f32 v[8:9], v[18:19], s[22:23] op_sel:[0,1] op_sel_hi:[0,0]
	v_pk_fma_f32 v[6:7], v[16:17], s[22:23], v[8:9] op_sel_hi:[0,1,1] neg_lo:[0,0,1] neg_hi:[0,0,1]
	v_pk_fma_f32 v[8:9], v[16:17], s[22:23], v[8:9] op_sel_hi:[0,1,1]
	s_and_b64 vcc, exec, s[0:1]
	v_lshl_add_u64 v[0:1], v[0:1], 3, v[4:5]
	s_cbranch_vccnz .LBB72_23
; %bb.22:
	global_load_dwordx2 v[16:17], v[0:1], off
	s_mov_b32 s6, s21
	v_mov_b32_e32 v7, v9
	s_waitcnt vmcnt(0)
	v_pk_mul_f32 v[8:9], v[16:17], s[6:7] op_sel:[1,0] op_sel_hi:[0,0]
	v_pk_fma_f32 v[18:19], v[16:17], s[20:21], v[8:9] neg_lo:[0,0,1] neg_hi:[0,0,1]
	v_pk_fma_f32 v[8:9], v[16:17], s[20:21], v[8:9] op_sel_hi:[1,0,1]
	s_nop 0
	v_mov_b32_e32 v19, v9
	v_pk_add_f32 v[6:7], v[6:7], v[18:19]
	s_nop 0
	v_mov_b32_e32 v9, v7
.LBB72_23:
	v_mov_b32_e32 v7, v9
	global_store_dwordx2 v[0:1], v[6:7], off
.LBB72_24:
	s_or_b64 exec, exec, s[4:5]
	v_cmp_le_i32_e32 vcc, v2, v10
	s_and_b64 s[2:3], s[2:3], vcc
	s_and_saveexec_b64 s[4:5], s[2:3]
	s_cbranch_execz .LBB72_28
; %bb.25:
	v_pk_mul_f32 v[6:7], v[14:15], s[22:23] op_sel:[0,1] op_sel_hi:[0,0]
	v_pk_fma_f32 v[0:1], v[12:13], s[22:23], v[6:7] op_sel_hi:[0,1,1] neg_lo:[0,0,1] neg_hi:[0,0,1]
	v_pk_fma_f32 v[6:7], v[12:13], s[22:23], v[6:7] op_sel_hi:[0,1,1]
	s_and_b64 vcc, exec, s[0:1]
	v_lshl_add_u64 v[2:3], v[2:3], 3, v[4:5]
	s_cbranch_vccnz .LBB72_27
; %bb.26:
	global_load_dwordx2 v[4:5], v[2:3], off
	s_mov_b32 s0, s21
	v_mov_b32_e32 v1, v7
	s_waitcnt vmcnt(0)
	v_pk_mul_f32 v[6:7], v[4:5], s[0:1] op_sel:[1,0] op_sel_hi:[0,0]
	v_pk_fma_f32 v[8:9], v[4:5], s[20:21], v[6:7] neg_lo:[0,0,1] neg_hi:[0,0,1]
	v_pk_fma_f32 v[4:5], v[4:5], s[20:21], v[6:7] op_sel_hi:[1,0,1]
	s_nop 0
	v_mov_b32_e32 v9, v5
	v_pk_add_f32 v[0:1], v[0:1], v[8:9]
	s_nop 0
	v_mov_b32_e32 v7, v1
.LBB72_27:
	v_mov_b32_e32 v1, v7
	global_store_dwordx2 v[2:3], v[0:1], off
.LBB72_28:
	s_endpgm
	.section	.rodata,"a",@progbits
	.p2align	6, 0x0
	.amdhsa_kernel _ZL29rocblas_internal_gemmt_kernelIiLi16ELi32ELi8ELc78ELc78ELc85ELb0ELb0E19rocblas_complex_numIfEPKS1_S3_PS1_EviT_T9_T10_S5_lS7_S5_lS6_T11_S5_li
		.amdhsa_group_segment_fixed_size 4096
		.amdhsa_private_segment_fixed_size 0
		.amdhsa_kernarg_size 100
		.amdhsa_user_sgpr_count 2
		.amdhsa_user_sgpr_dispatch_ptr 0
		.amdhsa_user_sgpr_queue_ptr 0
		.amdhsa_user_sgpr_kernarg_segment_ptr 1
		.amdhsa_user_sgpr_dispatch_id 0
		.amdhsa_user_sgpr_kernarg_preload_length 0
		.amdhsa_user_sgpr_kernarg_preload_offset 0
		.amdhsa_user_sgpr_private_segment_size 0
		.amdhsa_uses_dynamic_stack 0
		.amdhsa_enable_private_segment 0
		.amdhsa_system_sgpr_workgroup_id_x 1
		.amdhsa_system_sgpr_workgroup_id_y 1
		.amdhsa_system_sgpr_workgroup_id_z 1
		.amdhsa_system_sgpr_workgroup_info 0
		.amdhsa_system_vgpr_workitem_id 1
		.amdhsa_next_free_vgpr 52
		.amdhsa_next_free_sgpr 31
		.amdhsa_accum_offset 52
		.amdhsa_reserve_vcc 1
		.amdhsa_float_round_mode_32 0
		.amdhsa_float_round_mode_16_64 0
		.amdhsa_float_denorm_mode_32 3
		.amdhsa_float_denorm_mode_16_64 3
		.amdhsa_dx10_clamp 1
		.amdhsa_ieee_mode 1
		.amdhsa_fp16_overflow 0
		.amdhsa_tg_split 0
		.amdhsa_exception_fp_ieee_invalid_op 0
		.amdhsa_exception_fp_denorm_src 0
		.amdhsa_exception_fp_ieee_div_zero 0
		.amdhsa_exception_fp_ieee_overflow 0
		.amdhsa_exception_fp_ieee_underflow 0
		.amdhsa_exception_fp_ieee_inexact 0
		.amdhsa_exception_int_div_zero 0
	.end_amdhsa_kernel
	.section	.text._ZL29rocblas_internal_gemmt_kernelIiLi16ELi32ELi8ELc78ELc78ELc85ELb0ELb0E19rocblas_complex_numIfEPKS1_S3_PS1_EviT_T9_T10_S5_lS7_S5_lS6_T11_S5_li,"axG",@progbits,_ZL29rocblas_internal_gemmt_kernelIiLi16ELi32ELi8ELc78ELc78ELc85ELb0ELb0E19rocblas_complex_numIfEPKS1_S3_PS1_EviT_T9_T10_S5_lS7_S5_lS6_T11_S5_li,comdat
.Lfunc_end72:
	.size	_ZL29rocblas_internal_gemmt_kernelIiLi16ELi32ELi8ELc78ELc78ELc85ELb0ELb0E19rocblas_complex_numIfEPKS1_S3_PS1_EviT_T9_T10_S5_lS7_S5_lS6_T11_S5_li, .Lfunc_end72-_ZL29rocblas_internal_gemmt_kernelIiLi16ELi32ELi8ELc78ELc78ELc85ELb0ELb0E19rocblas_complex_numIfEPKS1_S3_PS1_EviT_T9_T10_S5_lS7_S5_lS6_T11_S5_li
                                        ; -- End function
	.set _ZL29rocblas_internal_gemmt_kernelIiLi16ELi32ELi8ELc78ELc78ELc85ELb0ELb0E19rocblas_complex_numIfEPKS1_S3_PS1_EviT_T9_T10_S5_lS7_S5_lS6_T11_S5_li.num_vgpr, 52
	.set _ZL29rocblas_internal_gemmt_kernelIiLi16ELi32ELi8ELc78ELc78ELc85ELb0ELb0E19rocblas_complex_numIfEPKS1_S3_PS1_EviT_T9_T10_S5_lS7_S5_lS6_T11_S5_li.num_agpr, 0
	.set _ZL29rocblas_internal_gemmt_kernelIiLi16ELi32ELi8ELc78ELc78ELc85ELb0ELb0E19rocblas_complex_numIfEPKS1_S3_PS1_EviT_T9_T10_S5_lS7_S5_lS6_T11_S5_li.numbered_sgpr, 31
	.set _ZL29rocblas_internal_gemmt_kernelIiLi16ELi32ELi8ELc78ELc78ELc85ELb0ELb0E19rocblas_complex_numIfEPKS1_S3_PS1_EviT_T9_T10_S5_lS7_S5_lS6_T11_S5_li.num_named_barrier, 0
	.set _ZL29rocblas_internal_gemmt_kernelIiLi16ELi32ELi8ELc78ELc78ELc85ELb0ELb0E19rocblas_complex_numIfEPKS1_S3_PS1_EviT_T9_T10_S5_lS7_S5_lS6_T11_S5_li.private_seg_size, 0
	.set _ZL29rocblas_internal_gemmt_kernelIiLi16ELi32ELi8ELc78ELc78ELc85ELb0ELb0E19rocblas_complex_numIfEPKS1_S3_PS1_EviT_T9_T10_S5_lS7_S5_lS6_T11_S5_li.uses_vcc, 1
	.set _ZL29rocblas_internal_gemmt_kernelIiLi16ELi32ELi8ELc78ELc78ELc85ELb0ELb0E19rocblas_complex_numIfEPKS1_S3_PS1_EviT_T9_T10_S5_lS7_S5_lS6_T11_S5_li.uses_flat_scratch, 0
	.set _ZL29rocblas_internal_gemmt_kernelIiLi16ELi32ELi8ELc78ELc78ELc85ELb0ELb0E19rocblas_complex_numIfEPKS1_S3_PS1_EviT_T9_T10_S5_lS7_S5_lS6_T11_S5_li.has_dyn_sized_stack, 0
	.set _ZL29rocblas_internal_gemmt_kernelIiLi16ELi32ELi8ELc78ELc78ELc85ELb0ELb0E19rocblas_complex_numIfEPKS1_S3_PS1_EviT_T9_T10_S5_lS7_S5_lS6_T11_S5_li.has_recursion, 0
	.set _ZL29rocblas_internal_gemmt_kernelIiLi16ELi32ELi8ELc78ELc78ELc85ELb0ELb0E19rocblas_complex_numIfEPKS1_S3_PS1_EviT_T9_T10_S5_lS7_S5_lS6_T11_S5_li.has_indirect_call, 0
	.section	.AMDGPU.csdata,"",@progbits
; Kernel info:
; codeLenInByte = 2460
; TotalNumSgprs: 37
; NumVgprs: 52
; NumAgprs: 0
; TotalNumVgprs: 52
; ScratchSize: 0
; MemoryBound: 0
; FloatMode: 240
; IeeeMode: 1
; LDSByteSize: 4096 bytes/workgroup (compile time only)
; SGPRBlocks: 4
; VGPRBlocks: 6
; NumSGPRsForWavesPerEU: 37
; NumVGPRsForWavesPerEU: 52
; AccumOffset: 52
; Occupancy: 8
; WaveLimiterHint : 0
; COMPUTE_PGM_RSRC2:SCRATCH_EN: 0
; COMPUTE_PGM_RSRC2:USER_SGPR: 2
; COMPUTE_PGM_RSRC2:TRAP_HANDLER: 0
; COMPUTE_PGM_RSRC2:TGID_X_EN: 1
; COMPUTE_PGM_RSRC2:TGID_Y_EN: 1
; COMPUTE_PGM_RSRC2:TGID_Z_EN: 1
; COMPUTE_PGM_RSRC2:TIDIG_COMP_CNT: 1
; COMPUTE_PGM_RSRC3_GFX90A:ACCUM_OFFSET: 12
; COMPUTE_PGM_RSRC3_GFX90A:TG_SPLIT: 0
	.section	.text._ZL29rocblas_internal_gemmt_kernelIiLi16ELi32ELi8ELc78ELc84ELc85ELb0ELb0E19rocblas_complex_numIfEPKS1_S3_PS1_EviT_T9_T10_S5_lS7_S5_lS6_T11_S5_li,"axG",@progbits,_ZL29rocblas_internal_gemmt_kernelIiLi16ELi32ELi8ELc78ELc84ELc85ELb0ELb0E19rocblas_complex_numIfEPKS1_S3_PS1_EviT_T9_T10_S5_lS7_S5_lS6_T11_S5_li,comdat
	.globl	_ZL29rocblas_internal_gemmt_kernelIiLi16ELi32ELi8ELc78ELc84ELc85ELb0ELb0E19rocblas_complex_numIfEPKS1_S3_PS1_EviT_T9_T10_S5_lS7_S5_lS6_T11_S5_li ; -- Begin function _ZL29rocblas_internal_gemmt_kernelIiLi16ELi32ELi8ELc78ELc84ELc85ELb0ELb0E19rocblas_complex_numIfEPKS1_S3_PS1_EviT_T9_T10_S5_lS7_S5_lS6_T11_S5_li
	.p2align	8
	.type	_ZL29rocblas_internal_gemmt_kernelIiLi16ELi32ELi8ELc78ELc84ELc85ELb0ELb0E19rocblas_complex_numIfEPKS1_S3_PS1_EviT_T9_T10_S5_lS7_S5_lS6_T11_S5_li,@function
_ZL29rocblas_internal_gemmt_kernelIiLi16ELi32ELi8ELc78ELc84ELc85ELb0ELb0E19rocblas_complex_numIfEPKS1_S3_PS1_EviT_T9_T10_S5_lS7_S5_lS6_T11_S5_li: ; @_ZL29rocblas_internal_gemmt_kernelIiLi16ELi32ELi8ELc78ELc84ELc85ELb0ELb0E19rocblas_complex_numIfEPKS1_S3_PS1_EviT_T9_T10_S5_lS7_S5_lS6_T11_S5_li
; %bb.0:
	s_load_dwordx4 s[8:11], s[0:1], 0x38
	s_load_dwordx4 s[12:15], s[0:1], 0x8
	s_waitcnt lgkmcnt(0)
	s_load_dwordx2 s[20:21], s[10:11], 0x0
	s_load_dwordx2 s[24:25], s[0:1], 0x0
	;; [unrolled: 1-line block ×3, first 2 shown]
	s_waitcnt lgkmcnt(0)
	s_and_b32 s5, s21, 0x7fffffff
	s_cmp_eq_u32 s5, 0
	v_cmp_eq_f32_e64 s[6:7], s20, 1.0
	s_cselect_b64 s[10:11], -1, 0
	s_and_b64 s[6:7], s[6:7], s[10:11]
	s_and_b64 vcc, exec, s[6:7]
	s_cbranch_vccnz .LBB73_2
; %bb.1:
	s_mov_b64 s[6:7], -1
	s_cbranch_execz .LBB73_3
	s_branch .LBB73_4
.LBB73_2:
	s_mov_b64 s[6:7], 0
.LBB73_3:
	s_cmp_lg_u32 s25, 0
	v_cmp_neq_f32_e64 s[12:13], s22, 0
	v_cmp_neq_f32_e64 s[16:17], s23, 0
	s_cselect_b64 s[6:7], -1, 0
	s_or_b64 s[12:13], s[12:13], s[16:17]
	s_and_b64 s[6:7], s[6:7], s[12:13]
.LBB73_4:
	s_andn2_b64 vcc, exec, s[6:7]
	s_cbranch_vccnz .LBB73_28
; %bb.5:
	s_lshl_b32 s5, s2, 5
	s_lshl_b32 s26, s3, 5
	v_cmp_eq_f32_e64 s[2:3], s22, 0
	v_cmp_eq_f32_e64 s[6:7], s23, 0
	s_load_dwordx2 s[12:13], s[0:1], 0x48
	s_and_b64 s[2:3], s[2:3], s[6:7]
	s_cmp_lt_i32 s25, 1
	s_cselect_b64 s[6:7], -1, 0
	s_or_b64 s[2:3], s[2:3], s[6:7]
	v_and_b32_e32 v15, 0x3ff, v0
	v_bfe_u32 v13, v0, 10, 10
	s_mov_b32 s27, 0
	v_mov_b32_e32 v24, 0
	s_and_b64 vcc, exec, s[2:3]
	v_mov_b32_e32 v26, 0
	v_mov_b32_e32 v20, 0
	;; [unrolled: 1-line block ×7, first 2 shown]
	s_cbranch_vccnz .LBB73_12
; %bb.6:
	v_lshl_add_u32 v1, v13, 4, v15
	v_and_b32_e32 v4, 31, v1
	v_lshrrev_b32_e32 v19, 5, v1
	v_lshrrev_b32_e32 v2, 3, v1
	v_or_b32_e32 v1, s5, v4
	s_load_dword s6, s[0:1], 0x18
	s_load_dwordx4 s[16:19], s[0:1], 0x20
	s_load_dword s28, s[0:1], 0x30
	v_and_b32_e32 v17, 7, v15
	v_cmp_gt_i32_e32 vcc, s24, v1
	v_lshlrev_b32_e32 v1, 3, v4
	v_lshl_or_b32 v21, v19, 8, v1
	v_lshlrev_b32_e32 v1, 3, v17
	v_add_u32_e32 v0, s26, v2
	v_lshl_or_b32 v1, v2, 6, v1
	v_mov_b32_e32 v2, 0x800
	v_lshl_add_u32 v27, v13, 6, v2
	s_waitcnt lgkmcnt(0)
	v_mad_i64_i32 v[2:3], s[30:31], v19, s6, 0
	s_mul_i32 s17, s17, s4
	s_mul_hi_u32 s30, s16, s4
	s_add_i32 s17, s30, s17
	s_mul_i32 s16, s16, s4
	s_lshl_b64 s[16:17], s[16:17], 3
	v_add_u32_e32 v4, s5, v4
	v_lshl_add_u64 v[2:3], v[2:3], 3, s[16:17]
	v_ashrrev_i32_e32 v5, 31, v4
	s_ashr_i32 s7, s6, 31
	v_lshl_add_u64 v[2:3], v[4:5], 3, v[2:3]
	v_lshl_add_u64 v[8:9], s[14:15], 0, v[2:3]
	s_lshl_b64 s[14:15], s[6:7], 6
	s_mul_i32 s6, s9, s4
	s_mul_hi_u32 s7, s8, s4
	s_add_i32 s7, s7, s6
	s_mul_i32 s6, s8, s4
	v_mad_i64_i32 v[2:3], s[8:9], s28, v17, 0
	v_lshlrev_b64 v[2:3], 3, v[2:3]
	v_add_u32_e32 v23, 0x800, v1
	v_ashrrev_i32_e32 v1, 31, v0
	v_lshl_add_u64 v[2:3], s[6:7], 3, v[2:3]
	s_ashr_i32 s29, s28, 31
	v_cmp_gt_i32_e64 s[2:3], s24, v0
	v_lshl_add_u64 v[0:1], v[0:1], 3, v[2:3]
	v_lshlrev_b32_e32 v25, 3, v15
	v_lshl_add_u64 v[10:11], s[18:19], 0, v[0:1]
	s_lshl_b64 s[8:9], s[28:29], 6
	v_mov_b32_e32 v12, 0
	v_mov_b32_e32 v14, 0
	;; [unrolled: 1-line block ×8, first 2 shown]
	s_branch .LBB73_8
.LBB73_7:                               ;   in Loop: Header=BB73_8 Depth=1
	s_or_b64 exec, exec, s[6:7]
	s_waitcnt vmcnt(0)
	ds_write_b64 v23, v[0:1]
	s_waitcnt lgkmcnt(0)
	s_barrier
	ds_read2_b64 v[28:31], v25 offset1:16
	ds_read_b128 v[32:35], v27
	ds_read_b128 v[36:39], v27 offset:16
	ds_read_b128 v[4:7], v27 offset:32
	;; [unrolled: 1-line block ×3, first 2 shown]
	ds_read2_b64 v[48:51], v25 offset0:32 offset1:48
	s_waitcnt lgkmcnt(4)
	v_mul_f32_e32 v40, v33, v29
	v_fma_f32 v40, v32, v28, -v40
	v_mul_f32_e32 v41, v32, v29
	v_fmac_f32_e32 v41, v33, v28
	v_add_f32_e32 v24, v24, v40
	v_mul_f32_e32 v40, v33, v31
	v_add_f32_e32 v26, v26, v41
	v_fma_f32 v44, v32, v30, -v40
	ds_read_b128 v[40:43], v27 offset:1024
	v_mul_f32_e32 v32, v32, v31
	v_fmac_f32_e32 v32, v33, v30
	v_add_f32_e32 v20, v20, v44
	v_add_f32_e32 v22, v22, v32
	ds_read_b128 v[44:47], v27 offset:1040
	s_waitcnt lgkmcnt(1)
	v_mul_f32_e32 v32, v41, v29
	v_mul_f32_e32 v29, v40, v29
	v_fma_f32 v32, v40, v28, -v32
	v_fmac_f32_e32 v29, v41, v28
	v_mul_f32_e32 v28, v41, v31
	v_add_f32_e32 v18, v18, v29
	v_fma_f32 v28, v40, v30, -v28
	v_mul_f32_e32 v29, v40, v31
	v_fmac_f32_e32 v29, v41, v30
	v_add_f32_e32 v14, v14, v28
	v_mul_f32_e32 v28, v35, v49
	v_add_f32_e32 v12, v12, v29
	v_fma_f32 v28, v34, v48, -v28
	v_mul_f32_e32 v29, v34, v49
	v_fmac_f32_e32 v29, v35, v48
	v_add_f32_e32 v24, v24, v28
	;; [unrolled: 6-line block ×3, first 2 shown]
	v_mul_f32_e32 v28, v43, v49
	v_add_f32_e32 v16, v16, v32
	v_add_f32_e32 v22, v22, v29
	v_fma_f32 v28, v42, v48, -v28
	v_mul_f32_e32 v29, v42, v49
	v_fmac_f32_e32 v29, v43, v48
	v_add_f32_e32 v16, v16, v28
	v_mul_f32_e32 v28, v43, v51
	v_add_f32_e32 v18, v18, v29
	v_fma_f32 v32, v42, v50, -v28
	ds_read2_b64 v[28:31], v25 offset0:64 offset1:80
	v_mul_f32_e32 v33, v42, v51
	v_add_f32_e32 v14, v14, v32
	v_fmac_f32_e32 v33, v43, v50
	v_add_f32_e32 v12, v12, v33
	s_waitcnt lgkmcnt(0)
	v_mul_f32_e32 v32, v37, v29
	v_fma_f32 v32, v36, v28, -v32
	v_mul_f32_e32 v33, v36, v29
	v_add_f32_e32 v24, v24, v32
	v_mul_f32_e32 v32, v37, v31
	v_fmac_f32_e32 v33, v37, v28
	v_fma_f32 v32, v36, v30, -v32
	v_add_f32_e32 v26, v26, v33
	v_mul_f32_e32 v33, v36, v31
	v_add_f32_e32 v20, v20, v32
	v_mul_f32_e32 v32, v45, v29
	v_fmac_f32_e32 v33, v37, v30
	v_fma_f32 v32, v44, v28, -v32
	v_add_f32_e32 v22, v22, v33
	v_add_f32_e32 v16, v16, v32
	ds_read2_b64 v[32:35], v25 offset0:96 offset1:112
	v_mul_f32_e32 v29, v44, v29
	v_fmac_f32_e32 v29, v45, v28
	v_mul_f32_e32 v28, v45, v31
	v_add_f32_e32 v18, v18, v29
	v_fma_f32 v28, v44, v30, -v28
	v_mul_f32_e32 v29, v44, v31
	v_fmac_f32_e32 v29, v45, v30
	v_add_f32_e32 v14, v14, v28
	s_waitcnt lgkmcnt(0)
	v_mul_f32_e32 v28, v39, v33
	v_add_f32_e32 v12, v12, v29
	v_fma_f32 v28, v38, v32, -v28
	v_mul_f32_e32 v29, v38, v33
	v_fmac_f32_e32 v29, v39, v32
	v_add_f32_e32 v24, v24, v28
	v_mul_f32_e32 v28, v39, v35
	v_add_f32_e32 v26, v26, v29
	v_fma_f32 v28, v38, v34, -v28
	v_mul_f32_e32 v29, v38, v35
	v_fmac_f32_e32 v29, v39, v34
	v_add_f32_e32 v20, v20, v28
	;; [unrolled: 6-line block ×3, first 2 shown]
	v_mul_f32_e32 v28, v47, v35
	v_add_f32_e32 v18, v18, v29
	v_fma_f32 v32, v46, v34, -v28
	ds_read2_b64 v[28:31], v25 offset0:128 offset1:144
	v_mul_f32_e32 v33, v46, v35
	v_fmac_f32_e32 v33, v47, v34
	v_add_f32_e32 v14, v14, v32
	v_add_f32_e32 v12, v12, v33
	s_waitcnt lgkmcnt(0)
	v_mul_f32_e32 v32, v5, v29
	v_fma_f32 v32, v4, v28, -v32
	v_mul_f32_e32 v33, v4, v29
	v_fmac_f32_e32 v33, v5, v28
	v_add_f32_e32 v24, v24, v32
	v_mul_f32_e32 v32, v5, v31
	v_add_f32_e32 v26, v26, v33
	v_fma_f32 v36, v4, v30, -v32
	ds_read_b128 v[32:35], v27 offset:1056
	v_mul_f32_e32 v4, v4, v31
	ds_read2_b64 v[40:43], v25 offset0:160 offset1:176
	v_fmac_f32_e32 v4, v5, v30
	v_add_f32_e32 v5, v20, v36
	ds_read_b128 v[36:39], v27 offset:1072
	s_waitcnt lgkmcnt(2)
	v_mul_f32_e32 v20, v33, v29
	v_fma_f32 v20, v32, v28, -v20
	v_add_f32_e32 v16, v16, v20
	v_mul_f32_e32 v20, v33, v31
	v_add_f32_e32 v4, v22, v4
	v_mul_f32_e32 v22, v32, v29
	v_fma_f32 v20, v32, v30, -v20
	v_fmac_f32_e32 v22, v33, v28
	v_add_f32_e32 v14, v14, v20
	s_waitcnt lgkmcnt(1)
	v_mul_f32_e32 v20, v7, v41
	v_add_f32_e32 v18, v18, v22
	v_mul_f32_e32 v22, v32, v31
	v_fma_f32 v20, v6, v40, -v20
	v_fmac_f32_e32 v22, v33, v30
	v_add_f32_e32 v20, v24, v20
	v_mul_f32_e32 v24, v7, v43
	v_add_f32_e32 v12, v12, v22
	v_mul_f32_e32 v22, v6, v41
	v_fma_f32 v24, v6, v42, -v24
	v_mul_f32_e32 v6, v6, v43
	v_fmac_f32_e32 v22, v7, v40
	v_fmac_f32_e32 v6, v7, v42
	v_add_f32_e32 v22, v26, v22
	v_add_f32_e32 v26, v4, v6
	v_mul_f32_e32 v4, v35, v41
	v_add_f32_e32 v24, v5, v24
	v_fma_f32 v4, v34, v40, -v4
	v_mul_f32_e32 v5, v34, v41
	v_fmac_f32_e32 v5, v35, v40
	v_add_f32_e32 v16, v16, v4
	v_mul_f32_e32 v4, v35, v43
	v_add_f32_e32 v18, v18, v5
	v_fma_f32 v28, v34, v42, -v4
	ds_read2_b64 v[4:7], v25 offset0:192 offset1:208
	v_mul_f32_e32 v29, v34, v43
	v_add_f32_e32 v14, v14, v28
	v_fmac_f32_e32 v29, v35, v42
	v_add_f32_e32 v12, v12, v29
	s_waitcnt lgkmcnt(0)
	v_mul_f32_e32 v28, v1, v5
	v_fma_f32 v28, v0, v4, -v28
	v_mul_f32_e32 v29, v0, v5
	v_add_f32_e32 v20, v20, v28
	v_mul_f32_e32 v28, v1, v7
	v_fmac_f32_e32 v29, v1, v4
	v_fma_f32 v28, v0, v6, -v28
	v_mul_f32_e32 v0, v0, v7
	v_add_f32_e32 v22, v22, v29
	v_fmac_f32_e32 v0, v1, v6
	v_add_f32_e32 v1, v24, v28
	ds_read2_b64 v[28:31], v25 offset0:224 offset1:240
	v_mul_f32_e32 v24, v37, v5
	v_fma_f32 v24, v36, v4, -v24
	v_mul_f32_e32 v5, v36, v5
	v_fmac_f32_e32 v5, v37, v4
	v_add_f32_e32 v4, v16, v24
	v_mul_f32_e32 v16, v37, v7
	v_mul_f32_e32 v7, v36, v7
	v_fmac_f32_e32 v7, v37, v6
	v_add_f32_e32 v7, v12, v7
	s_waitcnt lgkmcnt(0)
	v_mul_f32_e32 v12, v3, v29
	v_fma_f32 v12, v2, v28, -v12
	v_fma_f32 v16, v36, v6, -v16
	v_add_f32_e32 v24, v20, v12
	v_mul_f32_e32 v12, v3, v31
	v_add_f32_e32 v6, v14, v16
	v_mul_f32_e32 v14, v2, v29
	v_fma_f32 v12, v2, v30, -v12
	v_mul_f32_e32 v2, v2, v31
	v_add_f32_e32 v0, v26, v0
	v_fmac_f32_e32 v14, v3, v28
	v_fmac_f32_e32 v2, v3, v30
	v_add_f32_e32 v26, v22, v14
	v_add_f32_e32 v20, v1, v12
	;; [unrolled: 1-line block ×3, first 2 shown]
	v_mul_f32_e32 v0, v39, v29
	v_mul_f32_e32 v1, v38, v29
	v_add_f32_e32 v5, v18, v5
	v_fma_f32 v0, v38, v28, -v0
	v_fmac_f32_e32 v1, v39, v28
	v_add_f32_e32 v16, v4, v0
	v_add_f32_e32 v18, v5, v1
	v_mul_f32_e32 v0, v39, v31
	v_mul_f32_e32 v1, v38, v31
	v_fma_f32 v0, v38, v30, -v0
	v_fmac_f32_e32 v1, v39, v30
	s_add_i32 s27, s27, 8
	v_add_f32_e32 v14, v6, v0
	v_add_f32_e32 v12, v7, v1
	v_lshl_add_u64 v[8:9], v[8:9], 0, s[14:15]
	s_cmp_lt_i32 s27, s25
	v_lshl_add_u64 v[10:11], v[10:11], 0, s[8:9]
	s_barrier
	s_cbranch_scc0 .LBB73_12
.LBB73_8:                               ; =>This Inner Loop Header: Depth=1
	v_add_u32_e32 v0, s27, v19
	v_cmp_gt_i32_e64 s[6:7], s25, v0
	s_and_b64 s[16:17], vcc, s[6:7]
	v_mov_b32_e32 v0, 0
	v_mov_b32_e32 v1, 0
	s_and_saveexec_b64 s[6:7], s[16:17]
	s_cbranch_execz .LBB73_10
; %bb.9:                                ;   in Loop: Header=BB73_8 Depth=1
	global_load_dwordx2 v[0:1], v[8:9], off
.LBB73_10:                              ;   in Loop: Header=BB73_8 Depth=1
	s_or_b64 exec, exec, s[6:7]
	s_waitcnt vmcnt(0)
	ds_write_b64 v21, v[0:1]
	v_add_u32_e32 v0, s27, v17
	v_cmp_gt_i32_e64 s[6:7], s25, v0
	s_and_b64 s[16:17], s[6:7], s[2:3]
	v_mov_b32_e32 v0, 0
	v_mov_b32_e32 v1, 0
	s_and_saveexec_b64 s[6:7], s[16:17]
	s_cbranch_execz .LBB73_7
; %bb.11:                               ;   in Loop: Header=BB73_8 Depth=1
	global_load_dwordx2 v[0:1], v[10:11], off
	s_branch .LBB73_7
.LBB73_12:
	s_load_dwordx2 s[2:3], s[0:1], 0x58
	s_load_dword s8, s[0:1], 0x50
	v_add_u32_e32 v0, s5, v15
	v_add_u32_e32 v10, s26, v13
	v_cmp_le_i32_e32 vcc, v0, v10
	s_waitcnt lgkmcnt(0)
	s_mul_i32 s1, s3, s4
	s_mul_hi_u32 s3, s2, s4
	s_mul_i32 s0, s2, s4
	s_add_i32 s1, s3, s1
	s_lshl_b64 s[0:1], s[0:1], 3
	s_add_u32 s4, s12, s0
	s_addc_u32 s5, s13, s1
	v_cmp_neq_f32_e64 s[0:1], s20, 0
	s_xor_b64 s[6:7], s[10:11], -1
	v_mad_i64_i32 v[2:3], s[10:11], v10, s8, 0
	s_or_b64 s[0:1], s[0:1], s[6:7]
	v_cmp_gt_i32_e64 s[2:3], s24, v10
	v_lshl_add_u64 v[4:5], v[2:3], 3, s[4:5]
	v_cndmask_b32_e64 v2, 0, 1, s[0:1]
	s_and_b64 s[10:11], s[2:3], vcc
	v_ashrrev_i32_e32 v1, 31, v0
	v_cmp_ne_u32_e64 s[0:1], 1, v2
	s_and_saveexec_b64 s[6:7], s[10:11]
	s_cbranch_execz .LBB73_16
; %bb.13:
	v_pk_mul_f32 v[6:7], v[26:27], s[22:23] op_sel:[0,1] op_sel_hi:[0,0]
	v_pk_fma_f32 v[2:3], v[24:25], s[22:23], v[6:7] op_sel_hi:[0,1,1] neg_lo:[0,0,1] neg_hi:[0,0,1]
	v_pk_fma_f32 v[8:9], v[24:25], s[22:23], v[6:7] op_sel_hi:[0,1,1]
	s_and_b64 vcc, exec, s[0:1]
	v_lshl_add_u64 v[6:7], v[0:1], 3, v[4:5]
	s_cbranch_vccnz .LBB73_15
; %bb.14:
	global_load_dwordx2 v[24:25], v[6:7], off
	s_mov_b32 s10, s21
	v_mov_b32_e32 v3, v9
	s_waitcnt vmcnt(0)
	v_pk_mul_f32 v[8:9], v[24:25], s[10:11] op_sel:[1,0] op_sel_hi:[0,0]
	v_pk_fma_f32 v[26:27], v[24:25], s[20:21], v[8:9] neg_lo:[0,0,1] neg_hi:[0,0,1]
	v_pk_fma_f32 v[8:9], v[24:25], s[20:21], v[8:9] op_sel_hi:[1,0,1]
	s_nop 0
	v_mov_b32_e32 v27, v9
	v_pk_add_f32 v[2:3], v[2:3], v[26:27]
	s_nop 0
	v_mov_b32_e32 v9, v3
.LBB73_15:
	v_mov_b32_e32 v3, v9
	global_store_dwordx2 v[6:7], v[2:3], off
.LBB73_16:
	s_or_b64 exec, exec, s[6:7]
	v_add_u32_e32 v2, 16, v0
	v_cmp_le_i32_e32 vcc, v2, v10
	s_and_b64 s[6:7], s[2:3], vcc
	v_ashrrev_i32_e32 v3, 31, v2
	s_and_saveexec_b64 s[2:3], s[6:7]
	s_cbranch_execz .LBB73_20
; %bb.17:
	v_pk_mul_f32 v[8:9], v[22:23], s[22:23] op_sel:[0,1] op_sel_hi:[0,0]
	v_pk_fma_f32 v[6:7], v[20:21], s[22:23], v[8:9] op_sel_hi:[0,1,1] neg_lo:[0,0,1] neg_hi:[0,0,1]
	v_pk_fma_f32 v[8:9], v[20:21], s[22:23], v[8:9] op_sel_hi:[0,1,1]
	s_and_b64 vcc, exec, s[0:1]
	v_lshl_add_u64 v[4:5], v[2:3], 3, v[4:5]
	s_cbranch_vccnz .LBB73_19
; %bb.18:
	global_load_dwordx2 v[20:21], v[4:5], off
	s_mov_b32 s6, s21
	v_mov_b32_e32 v7, v9
	s_waitcnt vmcnt(0)
	v_pk_mul_f32 v[8:9], v[20:21], s[6:7] op_sel:[1,0] op_sel_hi:[0,0]
	v_pk_fma_f32 v[22:23], v[20:21], s[20:21], v[8:9] neg_lo:[0,0,1] neg_hi:[0,0,1]
	v_pk_fma_f32 v[8:9], v[20:21], s[20:21], v[8:9] op_sel_hi:[1,0,1]
	s_nop 0
	v_mov_b32_e32 v23, v9
	v_pk_add_f32 v[6:7], v[6:7], v[22:23]
	s_nop 0
	v_mov_b32_e32 v9, v7
.LBB73_19:
	v_mov_b32_e32 v7, v9
	global_store_dwordx2 v[4:5], v[6:7], off
.LBB73_20:
	s_or_b64 exec, exec, s[2:3]
	v_add_u32_e32 v10, 16, v10
	v_cmp_gt_i32_e64 s[2:3], s24, v10
	v_mad_i64_i32 v[4:5], s[6:7], v10, s8, 0
	v_cmp_le_i32_e32 vcc, v0, v10
	v_lshl_add_u64 v[4:5], v[4:5], 3, s[4:5]
	s_and_b64 s[6:7], s[2:3], vcc
	s_and_saveexec_b64 s[4:5], s[6:7]
	s_cbranch_execz .LBB73_24
; %bb.21:
	v_pk_mul_f32 v[8:9], v[18:19], s[22:23] op_sel:[0,1] op_sel_hi:[0,0]
	v_pk_fma_f32 v[6:7], v[16:17], s[22:23], v[8:9] op_sel_hi:[0,1,1] neg_lo:[0,0,1] neg_hi:[0,0,1]
	v_pk_fma_f32 v[8:9], v[16:17], s[22:23], v[8:9] op_sel_hi:[0,1,1]
	s_and_b64 vcc, exec, s[0:1]
	v_lshl_add_u64 v[0:1], v[0:1], 3, v[4:5]
	s_cbranch_vccnz .LBB73_23
; %bb.22:
	global_load_dwordx2 v[16:17], v[0:1], off
	s_mov_b32 s6, s21
	v_mov_b32_e32 v7, v9
	s_waitcnt vmcnt(0)
	v_pk_mul_f32 v[8:9], v[16:17], s[6:7] op_sel:[1,0] op_sel_hi:[0,0]
	v_pk_fma_f32 v[18:19], v[16:17], s[20:21], v[8:9] neg_lo:[0,0,1] neg_hi:[0,0,1]
	v_pk_fma_f32 v[8:9], v[16:17], s[20:21], v[8:9] op_sel_hi:[1,0,1]
	s_nop 0
	v_mov_b32_e32 v19, v9
	v_pk_add_f32 v[6:7], v[6:7], v[18:19]
	s_nop 0
	v_mov_b32_e32 v9, v7
.LBB73_23:
	v_mov_b32_e32 v7, v9
	global_store_dwordx2 v[0:1], v[6:7], off
.LBB73_24:
	s_or_b64 exec, exec, s[4:5]
	v_cmp_le_i32_e32 vcc, v2, v10
	s_and_b64 s[2:3], s[2:3], vcc
	s_and_saveexec_b64 s[4:5], s[2:3]
	s_cbranch_execz .LBB73_28
; %bb.25:
	v_pk_mul_f32 v[6:7], v[12:13], s[22:23] op_sel:[0,1] op_sel_hi:[0,0]
	v_pk_fma_f32 v[0:1], v[14:15], s[22:23], v[6:7] op_sel_hi:[0,1,1] neg_lo:[0,0,1] neg_hi:[0,0,1]
	v_pk_fma_f32 v[6:7], v[14:15], s[22:23], v[6:7] op_sel_hi:[0,1,1]
	s_and_b64 vcc, exec, s[0:1]
	v_lshl_add_u64 v[2:3], v[2:3], 3, v[4:5]
	s_cbranch_vccnz .LBB73_27
; %bb.26:
	global_load_dwordx2 v[4:5], v[2:3], off
	s_mov_b32 s0, s21
	v_mov_b32_e32 v1, v7
	s_waitcnt vmcnt(0)
	v_pk_mul_f32 v[6:7], v[4:5], s[0:1] op_sel:[1,0] op_sel_hi:[0,0]
	v_pk_fma_f32 v[8:9], v[4:5], s[20:21], v[6:7] neg_lo:[0,0,1] neg_hi:[0,0,1]
	v_pk_fma_f32 v[4:5], v[4:5], s[20:21], v[6:7] op_sel_hi:[1,0,1]
	s_nop 0
	v_mov_b32_e32 v9, v5
	v_pk_add_f32 v[0:1], v[0:1], v[8:9]
	s_nop 0
	v_mov_b32_e32 v7, v1
.LBB73_27:
	v_mov_b32_e32 v1, v7
	global_store_dwordx2 v[2:3], v[0:1], off
.LBB73_28:
	s_endpgm
	.section	.rodata,"a",@progbits
	.p2align	6, 0x0
	.amdhsa_kernel _ZL29rocblas_internal_gemmt_kernelIiLi16ELi32ELi8ELc78ELc84ELc85ELb0ELb0E19rocblas_complex_numIfEPKS1_S3_PS1_EviT_T9_T10_S5_lS7_S5_lS6_T11_S5_li
		.amdhsa_group_segment_fixed_size 4096
		.amdhsa_private_segment_fixed_size 0
		.amdhsa_kernarg_size 100
		.amdhsa_user_sgpr_count 2
		.amdhsa_user_sgpr_dispatch_ptr 0
		.amdhsa_user_sgpr_queue_ptr 0
		.amdhsa_user_sgpr_kernarg_segment_ptr 1
		.amdhsa_user_sgpr_dispatch_id 0
		.amdhsa_user_sgpr_kernarg_preload_length 0
		.amdhsa_user_sgpr_kernarg_preload_offset 0
		.amdhsa_user_sgpr_private_segment_size 0
		.amdhsa_uses_dynamic_stack 0
		.amdhsa_enable_private_segment 0
		.amdhsa_system_sgpr_workgroup_id_x 1
		.amdhsa_system_sgpr_workgroup_id_y 1
		.amdhsa_system_sgpr_workgroup_id_z 1
		.amdhsa_system_sgpr_workgroup_info 0
		.amdhsa_system_vgpr_workitem_id 1
		.amdhsa_next_free_vgpr 52
		.amdhsa_next_free_sgpr 32
		.amdhsa_accum_offset 52
		.amdhsa_reserve_vcc 1
		.amdhsa_float_round_mode_32 0
		.amdhsa_float_round_mode_16_64 0
		.amdhsa_float_denorm_mode_32 3
		.amdhsa_float_denorm_mode_16_64 3
		.amdhsa_dx10_clamp 1
		.amdhsa_ieee_mode 1
		.amdhsa_fp16_overflow 0
		.amdhsa_tg_split 0
		.amdhsa_exception_fp_ieee_invalid_op 0
		.amdhsa_exception_fp_denorm_src 0
		.amdhsa_exception_fp_ieee_div_zero 0
		.amdhsa_exception_fp_ieee_overflow 0
		.amdhsa_exception_fp_ieee_underflow 0
		.amdhsa_exception_fp_ieee_inexact 0
		.amdhsa_exception_int_div_zero 0
	.end_amdhsa_kernel
	.section	.text._ZL29rocblas_internal_gemmt_kernelIiLi16ELi32ELi8ELc78ELc84ELc85ELb0ELb0E19rocblas_complex_numIfEPKS1_S3_PS1_EviT_T9_T10_S5_lS7_S5_lS6_T11_S5_li,"axG",@progbits,_ZL29rocblas_internal_gemmt_kernelIiLi16ELi32ELi8ELc78ELc84ELc85ELb0ELb0E19rocblas_complex_numIfEPKS1_S3_PS1_EviT_T9_T10_S5_lS7_S5_lS6_T11_S5_li,comdat
.Lfunc_end73:
	.size	_ZL29rocblas_internal_gemmt_kernelIiLi16ELi32ELi8ELc78ELc84ELc85ELb0ELb0E19rocblas_complex_numIfEPKS1_S3_PS1_EviT_T9_T10_S5_lS7_S5_lS6_T11_S5_li, .Lfunc_end73-_ZL29rocblas_internal_gemmt_kernelIiLi16ELi32ELi8ELc78ELc84ELc85ELb0ELb0E19rocblas_complex_numIfEPKS1_S3_PS1_EviT_T9_T10_S5_lS7_S5_lS6_T11_S5_li
                                        ; -- End function
	.set _ZL29rocblas_internal_gemmt_kernelIiLi16ELi32ELi8ELc78ELc84ELc85ELb0ELb0E19rocblas_complex_numIfEPKS1_S3_PS1_EviT_T9_T10_S5_lS7_S5_lS6_T11_S5_li.num_vgpr, 52
	.set _ZL29rocblas_internal_gemmt_kernelIiLi16ELi32ELi8ELc78ELc84ELc85ELb0ELb0E19rocblas_complex_numIfEPKS1_S3_PS1_EviT_T9_T10_S5_lS7_S5_lS6_T11_S5_li.num_agpr, 0
	.set _ZL29rocblas_internal_gemmt_kernelIiLi16ELi32ELi8ELc78ELc84ELc85ELb0ELb0E19rocblas_complex_numIfEPKS1_S3_PS1_EviT_T9_T10_S5_lS7_S5_lS6_T11_S5_li.numbered_sgpr, 32
	.set _ZL29rocblas_internal_gemmt_kernelIiLi16ELi32ELi8ELc78ELc84ELc85ELb0ELb0E19rocblas_complex_numIfEPKS1_S3_PS1_EviT_T9_T10_S5_lS7_S5_lS6_T11_S5_li.num_named_barrier, 0
	.set _ZL29rocblas_internal_gemmt_kernelIiLi16ELi32ELi8ELc78ELc84ELc85ELb0ELb0E19rocblas_complex_numIfEPKS1_S3_PS1_EviT_T9_T10_S5_lS7_S5_lS6_T11_S5_li.private_seg_size, 0
	.set _ZL29rocblas_internal_gemmt_kernelIiLi16ELi32ELi8ELc78ELc84ELc85ELb0ELb0E19rocblas_complex_numIfEPKS1_S3_PS1_EviT_T9_T10_S5_lS7_S5_lS6_T11_S5_li.uses_vcc, 1
	.set _ZL29rocblas_internal_gemmt_kernelIiLi16ELi32ELi8ELc78ELc84ELc85ELb0ELb0E19rocblas_complex_numIfEPKS1_S3_PS1_EviT_T9_T10_S5_lS7_S5_lS6_T11_S5_li.uses_flat_scratch, 0
	.set _ZL29rocblas_internal_gemmt_kernelIiLi16ELi32ELi8ELc78ELc84ELc85ELb0ELb0E19rocblas_complex_numIfEPKS1_S3_PS1_EviT_T9_T10_S5_lS7_S5_lS6_T11_S5_li.has_dyn_sized_stack, 0
	.set _ZL29rocblas_internal_gemmt_kernelIiLi16ELi32ELi8ELc78ELc84ELc85ELb0ELb0E19rocblas_complex_numIfEPKS1_S3_PS1_EviT_T9_T10_S5_lS7_S5_lS6_T11_S5_li.has_recursion, 0
	.set _ZL29rocblas_internal_gemmt_kernelIiLi16ELi32ELi8ELc78ELc84ELc85ELb0ELb0E19rocblas_complex_numIfEPKS1_S3_PS1_EviT_T9_T10_S5_lS7_S5_lS6_T11_S5_li.has_indirect_call, 0
	.section	.AMDGPU.csdata,"",@progbits
; Kernel info:
; codeLenInByte = 2472
; TotalNumSgprs: 38
; NumVgprs: 52
; NumAgprs: 0
; TotalNumVgprs: 52
; ScratchSize: 0
; MemoryBound: 0
; FloatMode: 240
; IeeeMode: 1
; LDSByteSize: 4096 bytes/workgroup (compile time only)
; SGPRBlocks: 4
; VGPRBlocks: 6
; NumSGPRsForWavesPerEU: 38
; NumVGPRsForWavesPerEU: 52
; AccumOffset: 52
; Occupancy: 8
; WaveLimiterHint : 0
; COMPUTE_PGM_RSRC2:SCRATCH_EN: 0
; COMPUTE_PGM_RSRC2:USER_SGPR: 2
; COMPUTE_PGM_RSRC2:TRAP_HANDLER: 0
; COMPUTE_PGM_RSRC2:TGID_X_EN: 1
; COMPUTE_PGM_RSRC2:TGID_Y_EN: 1
; COMPUTE_PGM_RSRC2:TGID_Z_EN: 1
; COMPUTE_PGM_RSRC2:TIDIG_COMP_CNT: 1
; COMPUTE_PGM_RSRC3_GFX90A:ACCUM_OFFSET: 12
; COMPUTE_PGM_RSRC3_GFX90A:TG_SPLIT: 0
	.section	.text._ZL29rocblas_internal_gemmt_kernelIiLi16ELi32ELi8ELc78ELc67ELc85ELb0ELb1E19rocblas_complex_numIfEPKS1_S3_PS1_EviT_T9_T10_S5_lS7_S5_lS6_T11_S5_li,"axG",@progbits,_ZL29rocblas_internal_gemmt_kernelIiLi16ELi32ELi8ELc78ELc67ELc85ELb0ELb1E19rocblas_complex_numIfEPKS1_S3_PS1_EviT_T9_T10_S5_lS7_S5_lS6_T11_S5_li,comdat
	.globl	_ZL29rocblas_internal_gemmt_kernelIiLi16ELi32ELi8ELc78ELc67ELc85ELb0ELb1E19rocblas_complex_numIfEPKS1_S3_PS1_EviT_T9_T10_S5_lS7_S5_lS6_T11_S5_li ; -- Begin function _ZL29rocblas_internal_gemmt_kernelIiLi16ELi32ELi8ELc78ELc67ELc85ELb0ELb1E19rocblas_complex_numIfEPKS1_S3_PS1_EviT_T9_T10_S5_lS7_S5_lS6_T11_S5_li
	.p2align	8
	.type	_ZL29rocblas_internal_gemmt_kernelIiLi16ELi32ELi8ELc78ELc67ELc85ELb0ELb1E19rocblas_complex_numIfEPKS1_S3_PS1_EviT_T9_T10_S5_lS7_S5_lS6_T11_S5_li,@function
_ZL29rocblas_internal_gemmt_kernelIiLi16ELi32ELi8ELc78ELc67ELc85ELb0ELb1E19rocblas_complex_numIfEPKS1_S3_PS1_EviT_T9_T10_S5_lS7_S5_lS6_T11_S5_li: ; @_ZL29rocblas_internal_gemmt_kernelIiLi16ELi32ELi8ELc78ELc67ELc85ELb0ELb1E19rocblas_complex_numIfEPKS1_S3_PS1_EviT_T9_T10_S5_lS7_S5_lS6_T11_S5_li
; %bb.0:
	s_load_dwordx4 s[8:11], s[0:1], 0x38
	s_load_dwordx4 s[12:15], s[0:1], 0x8
	s_waitcnt lgkmcnt(0)
	s_load_dwordx2 s[6:7], s[10:11], 0x0
	s_load_dwordx2 s[22:23], s[0:1], 0x0
	;; [unrolled: 1-line block ×3, first 2 shown]
	s_waitcnt lgkmcnt(0)
	s_and_b32 s5, s7, 0x7fffffff
	s_cmp_eq_u32 s5, 0
	v_cmp_eq_f32_e64 s[12:13], s6, 1.0
	s_cselect_b64 s[10:11], -1, 0
	s_and_b64 s[12:13], s[12:13], s[10:11]
	s_and_b64 vcc, exec, s[12:13]
	s_cbranch_vccnz .LBB74_2
; %bb.1:
	s_mov_b64 s[12:13], -1
	s_cbranch_execz .LBB74_3
	s_branch .LBB74_4
.LBB74_2:
	s_mov_b64 s[12:13], 0
.LBB74_3:
	s_cmp_lg_u32 s23, 0
	v_cmp_neq_f32_e64 s[16:17], s20, 0
	v_cmp_neq_f32_e64 s[18:19], s21, 0
	s_cselect_b64 s[12:13], -1, 0
	s_or_b64 s[16:17], s[16:17], s[18:19]
	s_and_b64 s[12:13], s[12:13], s[16:17]
.LBB74_4:
	s_andn2_b64 vcc, exec, s[12:13]
	s_cbranch_vccnz .LBB74_30
; %bb.5:
	s_lshl_b32 s5, s2, 5
	s_lshl_b32 s24, s3, 5
	v_cmp_eq_f32_e64 s[2:3], s20, 0
	v_cmp_eq_f32_e64 s[16:17], s21, 0
	s_load_dwordx2 s[12:13], s[0:1], 0x48
	s_and_b64 s[2:3], s[2:3], s[16:17]
	s_cmp_lt_i32 s23, 1
	s_cselect_b64 s[16:17], -1, 0
	s_or_b64 s[2:3], s[2:3], s[16:17]
	v_and_b32_e32 v15, 0x3ff, v0
	v_bfe_u32 v13, v0, 10, 10
	s_mov_b32 s25, 0
	v_mov_b32_e32 v24, 0
	s_and_b64 vcc, exec, s[2:3]
	v_mov_b32_e32 v26, 0
	v_mov_b32_e32 v20, 0
	;; [unrolled: 1-line block ×7, first 2 shown]
	s_cbranch_vccnz .LBB74_14
; %bb.6:
	v_lshl_add_u32 v1, v13, 4, v15
	v_and_b32_e32 v4, 31, v1
	v_lshrrev_b32_e32 v19, 5, v1
	v_lshrrev_b32_e32 v2, 3, v1
	v_or_b32_e32 v1, s5, v4
	s_load_dword s26, s[0:1], 0x18
	s_load_dwordx4 s[16:19], s[0:1], 0x20
	s_load_dword s28, s[0:1], 0x30
	v_and_b32_e32 v17, 7, v15
	v_cmp_gt_i32_e32 vcc, s22, v1
	v_lshlrev_b32_e32 v1, 3, v4
	v_lshl_or_b32 v21, v19, 8, v1
	v_lshlrev_b32_e32 v1, 3, v17
	v_add_u32_e32 v0, s24, v2
	v_lshl_or_b32 v1, v2, 6, v1
	v_mov_b32_e32 v2, 0x800
	v_lshl_add_u32 v27, v13, 6, v2
	s_waitcnt lgkmcnt(0)
	v_mad_i64_i32 v[2:3], s[30:31], v19, s26, 0
	s_mul_i32 s17, s17, s4
	s_mul_hi_u32 s30, s16, s4
	s_add_i32 s17, s30, s17
	s_mul_i32 s16, s16, s4
	s_lshl_b64 s[16:17], s[16:17], 3
	v_add_u32_e32 v4, s5, v4
	v_lshl_add_u64 v[2:3], v[2:3], 3, s[16:17]
	v_ashrrev_i32_e32 v5, 31, v4
	v_lshl_add_u64 v[2:3], v[4:5], 3, v[2:3]
	s_mul_i32 s9, s9, s4
	s_mul_hi_u32 s16, s8, s4
	v_lshl_add_u64 v[8:9], s[14:15], 0, v[2:3]
	s_add_i32 s9, s16, s9
	v_mad_i64_i32 v[2:3], s[16:17], s28, v17, 0
	s_mul_i32 s8, s8, s4
	v_lshlrev_b64 v[2:3], 3, v[2:3]
	v_add_u32_e32 v23, 0x800, v1
	v_ashrrev_i32_e32 v1, 31, v0
	v_lshl_add_u64 v[2:3], s[8:9], 3, v[2:3]
	v_cmp_gt_i32_e64 s[2:3], s22, v0
	v_lshl_add_u64 v[0:1], v[0:1], 3, v[2:3]
	s_ashr_i32 s27, s26, 31
	s_ashr_i32 s29, s28, 31
	v_lshl_add_u64 v[0:1], s[18:19], 0, v[0:1]
	v_lshlrev_b32_e32 v25, 3, v15
	s_lshl_b64 s[14:15], s[26:27], 6
	v_lshl_add_u64 v[10:11], v[0:1], 0, 4
	s_lshl_b64 s[8:9], s[28:29], 6
	v_mov_b32_e32 v28, 0
	s_xor_b64 s[16:17], s[2:3], -1
	v_mov_b32_e32 v14, 0
	v_mov_b32_e32 v12, 0
	;; [unrolled: 1-line block ×8, first 2 shown]
	s_branch .LBB74_8
.LBB74_7:                               ;   in Loop: Header=BB74_8 Depth=1
	s_or_b64 exec, exec, s[2:3]
	ds_write_b32 v23, v0 offset:4
	s_waitcnt lgkmcnt(0)
	s_barrier
	ds_read2_b64 v[30:33], v25 offset1:16
	ds_read_b128 v[34:37], v27
	ds_read_b128 v[38:41], v27 offset:16
	ds_read_b128 v[4:7], v27 offset:32
	;; [unrolled: 1-line block ×3, first 2 shown]
	ds_read2_b64 v[50:53], v25 offset0:32 offset1:48
	s_waitcnt lgkmcnt(4)
	v_mul_f32_e32 v42, v34, v31
	v_fmac_f32_e32 v42, v35, v30
	v_add_f32_e32 v26, v26, v42
	ds_read_b128 v[42:45], v27 offset:1024
	ds_read_b128 v[46:49], v27 offset:1040
	v_mul_f32_e32 v29, v35, v31
	v_fma_f32 v29, v34, v30, -v29
	v_add_f32_e32 v24, v24, v29
	v_mul_f32_e32 v29, v35, v33
	v_fma_f32 v29, v34, v32, -v29
	v_add_f32_e32 v20, v20, v29
	s_waitcnt lgkmcnt(1)
	v_mul_f32_e32 v29, v43, v31
	v_mul_f32_e32 v31, v42, v31
	v_fma_f32 v29, v42, v30, -v29
	v_fmac_f32_e32 v31, v43, v30
	v_mul_f32_e32 v30, v42, v33
	v_fmac_f32_e32 v30, v43, v32
	v_add_f32_e32 v14, v14, v30
	v_mul_f32_e32 v30, v36, v51
	v_mul_f32_e32 v34, v34, v33
	v_fmac_f32_e32 v30, v37, v50
	v_fmac_f32_e32 v34, v35, v32
	v_add_f32_e32 v26, v26, v30
	v_mul_f32_e32 v30, v36, v53
	v_add_f32_e32 v22, v22, v34
	v_add_f32_e32 v16, v16, v29
	v_mul_f32_e32 v29, v43, v33
	v_fmac_f32_e32 v30, v37, v52
	v_fma_f32 v29, v42, v32, -v29
	v_add_f32_e32 v22, v22, v30
	v_mul_f32_e32 v30, v44, v51
	v_add_f32_e32 v18, v18, v31
	v_add_f32_e32 v12, v12, v29
	v_mul_f32_e32 v29, v37, v51
	v_fmac_f32_e32 v30, v45, v50
	v_fma_f32 v29, v36, v50, -v29
	v_add_f32_e32 v18, v18, v30
	ds_read2_b64 v[30:33], v25 offset0:64 offset1:80
	v_add_f32_e32 v24, v24, v29
	v_mul_f32_e32 v29, v37, v53
	v_fma_f32 v29, v36, v52, -v29
	v_add_f32_e32 v20, v20, v29
	v_mul_f32_e32 v29, v45, v51
	v_mul_f32_e32 v34, v44, v53
	v_fma_f32 v29, v44, v50, -v29
	v_fmac_f32_e32 v34, v45, v52
	v_add_f32_e32 v16, v16, v29
	v_mul_f32_e32 v29, v45, v53
	v_add_f32_e32 v14, v14, v34
	s_waitcnt lgkmcnt(0)
	v_mul_f32_e32 v34, v38, v31
	v_fma_f32 v29, v44, v52, -v29
	v_fmac_f32_e32 v34, v39, v30
	v_add_f32_e32 v12, v12, v29
	v_mul_f32_e32 v29, v39, v31
	v_add_f32_e32 v26, v26, v34
	v_mul_f32_e32 v34, v38, v33
	v_fma_f32 v29, v38, v30, -v29
	v_fmac_f32_e32 v34, v39, v32
	v_add_f32_e32 v24, v24, v29
	v_mul_f32_e32 v29, v39, v33
	v_add_f32_e32 v22, v22, v34
	ds_read2_b64 v[34:37], v25 offset0:96 offset1:112
	v_fma_f32 v29, v38, v32, -v29
	v_add_f32_e32 v20, v20, v29
	v_mul_f32_e32 v29, v47, v31
	v_mul_f32_e32 v31, v46, v31
	v_fma_f32 v29, v46, v30, -v29
	v_fmac_f32_e32 v31, v47, v30
	v_mul_f32_e32 v30, v46, v33
	v_fmac_f32_e32 v30, v47, v32
	v_add_f32_e32 v14, v14, v30
	s_waitcnt lgkmcnt(0)
	v_mul_f32_e32 v30, v40, v35
	v_fmac_f32_e32 v30, v41, v34
	v_add_f32_e32 v16, v16, v29
	v_mul_f32_e32 v29, v47, v33
	v_add_f32_e32 v26, v26, v30
	v_mul_f32_e32 v30, v40, v37
	v_fma_f32 v29, v46, v32, -v29
	v_fmac_f32_e32 v30, v41, v36
	v_add_f32_e32 v12, v12, v29
	v_mul_f32_e32 v29, v41, v35
	v_add_f32_e32 v22, v22, v30
	v_mul_f32_e32 v30, v48, v35
	v_add_f32_e32 v18, v18, v31
	v_fma_f32 v29, v40, v34, -v29
	v_fmac_f32_e32 v30, v49, v34
	v_add_f32_e32 v24, v24, v29
	v_mul_f32_e32 v29, v41, v37
	v_add_f32_e32 v18, v18, v30
	ds_read2_b64 v[30:33], v25 offset0:128 offset1:144
	v_fma_f32 v29, v40, v36, -v29
	v_add_f32_e32 v20, v20, v29
	v_mul_f32_e32 v29, v49, v35
	v_fma_f32 v29, v48, v34, -v29
	v_mul_f32_e32 v34, v48, v37
	v_fmac_f32_e32 v34, v49, v36
	v_add_f32_e32 v14, v14, v34
	s_waitcnt lgkmcnt(0)
	v_mul_f32_e32 v34, v4, v31
	v_add_f32_e32 v16, v16, v29
	v_mul_f32_e32 v29, v49, v37
	v_fmac_f32_e32 v34, v5, v30
	v_fma_f32 v29, v48, v36, -v29
	v_add_f32_e32 v26, v26, v34
	ds_read_b128 v[34:37], v27 offset:1056
	ds_read_b128 v[38:41], v27 offset:1072
	v_add_f32_e32 v12, v12, v29
	v_mul_f32_e32 v29, v5, v31
	v_fma_f32 v29, v4, v30, -v29
	v_add_f32_e32 v24, v24, v29
	v_mul_f32_e32 v29, v5, v33
	v_fma_f32 v29, v4, v32, -v29
	v_mul_f32_e32 v4, v4, v33
	ds_read2_b64 v[42:45], v25 offset0:160 offset1:176
	v_fmac_f32_e32 v4, v5, v32
	v_add_f32_e32 v5, v20, v29
	s_waitcnt lgkmcnt(2)
	v_mul_f32_e32 v20, v35, v31
	v_fma_f32 v20, v34, v30, -v20
	v_add_f32_e32 v16, v16, v20
	v_mul_f32_e32 v20, v35, v33
	v_add_f32_e32 v4, v22, v4
	v_mul_f32_e32 v22, v34, v31
	v_fma_f32 v20, v34, v32, -v20
	v_fmac_f32_e32 v22, v35, v30
	v_add_f32_e32 v12, v12, v20
	s_waitcnt lgkmcnt(0)
	v_mul_f32_e32 v20, v7, v43
	v_add_f32_e32 v18, v18, v22
	v_mul_f32_e32 v22, v34, v33
	v_fma_f32 v20, v6, v42, -v20
	v_fmac_f32_e32 v22, v35, v32
	v_add_f32_e32 v20, v24, v20
	v_mul_f32_e32 v24, v7, v45
	v_add_f32_e32 v14, v14, v22
	v_mul_f32_e32 v22, v6, v43
	v_fma_f32 v24, v6, v44, -v24
	v_mul_f32_e32 v6, v6, v45
	v_fmac_f32_e32 v22, v7, v42
	v_fmac_f32_e32 v6, v7, v44
	v_add_f32_e32 v22, v26, v22
	v_add_f32_e32 v26, v4, v6
	v_mul_f32_e32 v4, v37, v43
	v_add_f32_e32 v24, v5, v24
	v_fma_f32 v4, v36, v42, -v4
	v_mul_f32_e32 v5, v36, v43
	v_fmac_f32_e32 v5, v37, v42
	v_add_f32_e32 v16, v16, v4
	v_mul_f32_e32 v4, v37, v45
	v_add_f32_e32 v18, v18, v5
	v_fma_f32 v29, v36, v44, -v4
	ds_read2_b64 v[4:7], v25 offset0:192 offset1:208
	v_mul_f32_e32 v30, v36, v45
	v_fmac_f32_e32 v30, v37, v44
	v_add_f32_e32 v12, v12, v29
	v_add_f32_e32 v14, v14, v30
	s_waitcnt lgkmcnt(0)
	v_mul_f32_e32 v29, v1, v5
	v_fma_f32 v29, v0, v4, -v29
	v_mul_f32_e32 v30, v0, v5
	v_fmac_f32_e32 v30, v1, v4
	v_add_f32_e32 v20, v20, v29
	v_mul_f32_e32 v29, v1, v7
	v_add_f32_e32 v22, v22, v30
	v_fma_f32 v29, v0, v6, -v29
	v_mul_f32_e32 v0, v0, v7
	ds_read2_b64 v[30:33], v25 offset0:224 offset1:240
	v_fmac_f32_e32 v0, v1, v6
	v_add_f32_e32 v1, v24, v29
	v_mul_f32_e32 v24, v39, v5
	v_fma_f32 v24, v38, v4, -v24
	v_mul_f32_e32 v5, v38, v5
	v_fmac_f32_e32 v5, v39, v4
	v_add_f32_e32 v4, v16, v24
	v_mul_f32_e32 v16, v39, v7
	v_fma_f32 v16, v38, v6, -v16
	v_mul_f32_e32 v7, v38, v7
	v_fmac_f32_e32 v7, v39, v6
	v_add_f32_e32 v6, v12, v16
	s_waitcnt lgkmcnt(0)
	v_mul_f32_e32 v12, v3, v31
	v_fma_f32 v12, v2, v30, -v12
	v_add_f32_e32 v24, v20, v12
	v_mul_f32_e32 v12, v3, v33
	v_add_f32_e32 v7, v14, v7
	v_mul_f32_e32 v14, v2, v31
	v_fma_f32 v12, v2, v32, -v12
	v_mul_f32_e32 v2, v2, v33
	v_add_f32_e32 v0, v26, v0
	v_fmac_f32_e32 v14, v3, v30
	v_fmac_f32_e32 v2, v3, v32
	v_add_f32_e32 v26, v22, v14
	v_add_f32_e32 v20, v1, v12
	;; [unrolled: 1-line block ×3, first 2 shown]
	v_mul_f32_e32 v0, v41, v31
	v_mul_f32_e32 v1, v40, v31
	v_add_f32_e32 v5, v18, v5
	v_fma_f32 v0, v40, v30, -v0
	v_fmac_f32_e32 v1, v41, v30
	v_add_f32_e32 v16, v4, v0
	v_add_f32_e32 v18, v5, v1
	v_mul_f32_e32 v0, v41, v33
	v_mul_f32_e32 v1, v40, v33
	v_fma_f32 v0, v40, v32, -v0
	v_fmac_f32_e32 v1, v41, v32
	s_add_i32 s25, s25, 8
	v_add_f32_e32 v12, v6, v0
	v_add_f32_e32 v14, v7, v1
	v_lshl_add_u64 v[8:9], v[8:9], 0, s[14:15]
	s_cmp_lt_i32 s25, s23
	v_lshl_add_u64 v[10:11], v[10:11], 0, s[8:9]
	s_barrier
	s_cbranch_scc0 .LBB74_14
.LBB74_8:                               ; =>This Inner Loop Header: Depth=1
	v_add_u32_e32 v0, s25, v19
	v_cmp_gt_i32_e64 s[2:3], s23, v0
	s_and_b64 s[18:19], vcc, s[2:3]
	v_mov_b32_e32 v0, 0
	v_mov_b32_e32 v1, 0
	s_and_saveexec_b64 s[2:3], s[18:19]
	s_cbranch_execz .LBB74_10
; %bb.9:                                ;   in Loop: Header=BB74_8 Depth=1
	global_load_dwordx2 v[0:1], v[8:9], off
.LBB74_10:                              ;   in Loop: Header=BB74_8 Depth=1
	s_or_b64 exec, exec, s[2:3]
	s_waitcnt vmcnt(0)
	ds_write_b64 v21, v[0:1]
	v_add_u32_e32 v0, s25, v17
	v_cmp_le_i32_e64 s[2:3], s23, v0
	s_or_b64 s[2:3], s[2:3], s[16:17]
	s_and_saveexec_b64 s[18:19], s[2:3]
	s_xor_b64 s[2:3], exec, s[18:19]
; %bb.11:                               ;   in Loop: Header=BB74_8 Depth=1
	ds_write_b32 v23, v28
; %bb.12:                               ;   in Loop: Header=BB74_8 Depth=1
	s_or_saveexec_b64 s[2:3], s[2:3]
	v_mov_b32_e32 v0, 0
	s_xor_b64 exec, exec, s[2:3]
	s_cbranch_execz .LBB74_7
; %bb.13:                               ;   in Loop: Header=BB74_8 Depth=1
	global_load_dwordx2 v[2:3], v[10:11], off offset:-4
	s_waitcnt vmcnt(0)
	v_xor_b32_e32 v0, 0x80000000, v3
	ds_write_b32 v23, v2
	s_branch .LBB74_7
.LBB74_14:
	s_load_dwordx2 s[2:3], s[0:1], 0x58
	s_load_dword s14, s[0:1], 0x50
	v_add_u32_e32 v0, s5, v15
	v_add_u32_e32 v10, s24, v13
	v_cmp_le_i32_e32 vcc, v0, v10
	s_waitcnt lgkmcnt(0)
	s_mul_i32 s1, s3, s4
	s_mul_hi_u32 s3, s2, s4
	s_mul_i32 s0, s2, s4
	s_add_i32 s1, s3, s1
	s_lshl_b64 s[0:1], s[0:1], 3
	s_add_u32 s4, s12, s0
	s_addc_u32 s5, s13, s1
	v_cmp_neq_f32_e64 s[0:1], s6, 0
	s_xor_b64 s[8:9], s[10:11], -1
	v_mad_i64_i32 v[2:3], s[10:11], v10, s14, 0
	s_or_b64 s[0:1], s[0:1], s[8:9]
	v_cmp_gt_i32_e64 s[2:3], s22, v10
	v_lshl_add_u64 v[4:5], v[2:3], 3, s[4:5]
	v_cndmask_b32_e64 v2, 0, 1, s[0:1]
	s_and_b64 s[10:11], s[2:3], vcc
	v_ashrrev_i32_e32 v1, 31, v0
	v_cmp_ne_u32_e64 s[0:1], 1, v2
	s_and_saveexec_b64 s[8:9], s[10:11]
	s_cbranch_execz .LBB74_18
; %bb.15:
	v_pk_mul_f32 v[6:7], v[26:27], s[20:21] op_sel:[0,1] op_sel_hi:[0,0]
	v_pk_fma_f32 v[2:3], v[24:25], s[20:21], v[6:7] op_sel_hi:[0,1,1] neg_lo:[0,0,1] neg_hi:[0,0,1]
	v_pk_fma_f32 v[8:9], v[24:25], s[20:21], v[6:7] op_sel_hi:[0,1,1]
	s_and_b64 vcc, exec, s[0:1]
	v_lshl_add_u64 v[6:7], v[0:1], 3, v[4:5]
	s_cbranch_vccnz .LBB74_17
; %bb.16:
	global_load_dwordx2 v[24:25], v[6:7], off
	s_mov_b32 s10, s7
	v_mov_b32_e32 v3, v9
	s_waitcnt vmcnt(0)
	v_pk_mul_f32 v[8:9], v[24:25], s[10:11] op_sel:[1,0] op_sel_hi:[0,0]
	v_pk_fma_f32 v[26:27], v[24:25], s[6:7], v[8:9] neg_lo:[0,0,1] neg_hi:[0,0,1]
	v_pk_fma_f32 v[8:9], v[24:25], s[6:7], v[8:9] op_sel_hi:[1,0,1]
	s_nop 0
	v_mov_b32_e32 v27, v9
	v_pk_add_f32 v[2:3], v[2:3], v[26:27]
	s_nop 0
	v_mov_b32_e32 v9, v3
.LBB74_17:
	v_mov_b32_e32 v3, v9
	global_store_dwordx2 v[6:7], v[2:3], off
.LBB74_18:
	s_or_b64 exec, exec, s[8:9]
	v_add_u32_e32 v2, 16, v0
	v_cmp_le_i32_e32 vcc, v2, v10
	s_and_b64 s[8:9], s[2:3], vcc
	v_ashrrev_i32_e32 v3, 31, v2
	s_and_saveexec_b64 s[2:3], s[8:9]
	s_cbranch_execz .LBB74_22
; %bb.19:
	v_pk_mul_f32 v[8:9], v[22:23], s[20:21] op_sel:[0,1] op_sel_hi:[0,0]
	v_pk_fma_f32 v[6:7], v[20:21], s[20:21], v[8:9] op_sel_hi:[0,1,1] neg_lo:[0,0,1] neg_hi:[0,0,1]
	v_pk_fma_f32 v[8:9], v[20:21], s[20:21], v[8:9] op_sel_hi:[0,1,1]
	s_and_b64 vcc, exec, s[0:1]
	v_lshl_add_u64 v[4:5], v[2:3], 3, v[4:5]
	s_cbranch_vccnz .LBB74_21
; %bb.20:
	global_load_dwordx2 v[20:21], v[4:5], off
	s_mov_b32 s8, s7
	v_mov_b32_e32 v7, v9
	s_waitcnt vmcnt(0)
	v_pk_mul_f32 v[8:9], v[20:21], s[8:9] op_sel:[1,0] op_sel_hi:[0,0]
	v_pk_fma_f32 v[22:23], v[20:21], s[6:7], v[8:9] neg_lo:[0,0,1] neg_hi:[0,0,1]
	v_pk_fma_f32 v[8:9], v[20:21], s[6:7], v[8:9] op_sel_hi:[1,0,1]
	s_nop 0
	v_mov_b32_e32 v23, v9
	v_pk_add_f32 v[6:7], v[6:7], v[22:23]
	s_nop 0
	v_mov_b32_e32 v9, v7
.LBB74_21:
	v_mov_b32_e32 v7, v9
	global_store_dwordx2 v[4:5], v[6:7], off
.LBB74_22:
	s_or_b64 exec, exec, s[2:3]
	v_add_u32_e32 v10, 16, v10
	v_cmp_gt_i32_e64 s[2:3], s22, v10
	v_mad_i64_i32 v[4:5], s[8:9], v10, s14, 0
	v_cmp_le_i32_e32 vcc, v0, v10
	v_lshl_add_u64 v[4:5], v[4:5], 3, s[4:5]
	s_and_b64 s[8:9], s[2:3], vcc
	s_and_saveexec_b64 s[4:5], s[8:9]
	s_cbranch_execz .LBB74_26
; %bb.23:
	v_pk_mul_f32 v[8:9], v[18:19], s[20:21] op_sel:[0,1] op_sel_hi:[0,0]
	v_pk_fma_f32 v[6:7], v[16:17], s[20:21], v[8:9] op_sel_hi:[0,1,1] neg_lo:[0,0,1] neg_hi:[0,0,1]
	v_pk_fma_f32 v[8:9], v[16:17], s[20:21], v[8:9] op_sel_hi:[0,1,1]
	s_and_b64 vcc, exec, s[0:1]
	v_lshl_add_u64 v[0:1], v[0:1], 3, v[4:5]
	s_cbranch_vccnz .LBB74_25
; %bb.24:
	global_load_dwordx2 v[16:17], v[0:1], off
	s_mov_b32 s8, s7
	v_mov_b32_e32 v7, v9
	s_waitcnt vmcnt(0)
	v_pk_mul_f32 v[8:9], v[16:17], s[8:9] op_sel:[1,0] op_sel_hi:[0,0]
	v_pk_fma_f32 v[18:19], v[16:17], s[6:7], v[8:9] neg_lo:[0,0,1] neg_hi:[0,0,1]
	v_pk_fma_f32 v[8:9], v[16:17], s[6:7], v[8:9] op_sel_hi:[1,0,1]
	s_nop 0
	v_mov_b32_e32 v19, v9
	v_pk_add_f32 v[6:7], v[6:7], v[18:19]
	s_nop 0
	v_mov_b32_e32 v9, v7
.LBB74_25:
	v_mov_b32_e32 v7, v9
	global_store_dwordx2 v[0:1], v[6:7], off
.LBB74_26:
	s_or_b64 exec, exec, s[4:5]
	v_cmp_le_i32_e32 vcc, v2, v10
	s_and_b64 s[2:3], s[2:3], vcc
	s_and_saveexec_b64 s[4:5], s[2:3]
	s_cbranch_execz .LBB74_30
; %bb.27:
	v_pk_mul_f32 v[6:7], v[14:15], s[20:21] op_sel:[0,1] op_sel_hi:[0,0]
	v_pk_fma_f32 v[0:1], v[12:13], s[20:21], v[6:7] op_sel_hi:[0,1,1] neg_lo:[0,0,1] neg_hi:[0,0,1]
	v_pk_fma_f32 v[6:7], v[12:13], s[20:21], v[6:7] op_sel_hi:[0,1,1]
	s_and_b64 vcc, exec, s[0:1]
	v_lshl_add_u64 v[2:3], v[2:3], 3, v[4:5]
	s_cbranch_vccnz .LBB74_29
; %bb.28:
	global_load_dwordx2 v[4:5], v[2:3], off
	s_mov_b32 s0, s7
	v_mov_b32_e32 v1, v7
	s_waitcnt vmcnt(0)
	v_pk_mul_f32 v[6:7], v[4:5], s[0:1] op_sel:[1,0] op_sel_hi:[0,0]
	v_pk_fma_f32 v[8:9], v[4:5], s[6:7], v[6:7] neg_lo:[0,0,1] neg_hi:[0,0,1]
	v_pk_fma_f32 v[4:5], v[4:5], s[6:7], v[6:7] op_sel_hi:[1,0,1]
	s_nop 0
	v_mov_b32_e32 v9, v5
	v_pk_add_f32 v[0:1], v[0:1], v[8:9]
	s_nop 0
	v_mov_b32_e32 v7, v1
.LBB74_29:
	v_mov_b32_e32 v1, v7
	global_store_dwordx2 v[2:3], v[0:1], off
.LBB74_30:
	s_endpgm
	.section	.rodata,"a",@progbits
	.p2align	6, 0x0
	.amdhsa_kernel _ZL29rocblas_internal_gemmt_kernelIiLi16ELi32ELi8ELc78ELc67ELc85ELb0ELb1E19rocblas_complex_numIfEPKS1_S3_PS1_EviT_T9_T10_S5_lS7_S5_lS6_T11_S5_li
		.amdhsa_group_segment_fixed_size 4096
		.amdhsa_private_segment_fixed_size 0
		.amdhsa_kernarg_size 100
		.amdhsa_user_sgpr_count 2
		.amdhsa_user_sgpr_dispatch_ptr 0
		.amdhsa_user_sgpr_queue_ptr 0
		.amdhsa_user_sgpr_kernarg_segment_ptr 1
		.amdhsa_user_sgpr_dispatch_id 0
		.amdhsa_user_sgpr_kernarg_preload_length 0
		.amdhsa_user_sgpr_kernarg_preload_offset 0
		.amdhsa_user_sgpr_private_segment_size 0
		.amdhsa_uses_dynamic_stack 0
		.amdhsa_enable_private_segment 0
		.amdhsa_system_sgpr_workgroup_id_x 1
		.amdhsa_system_sgpr_workgroup_id_y 1
		.amdhsa_system_sgpr_workgroup_id_z 1
		.amdhsa_system_sgpr_workgroup_info 0
		.amdhsa_system_vgpr_workitem_id 1
		.amdhsa_next_free_vgpr 54
		.amdhsa_next_free_sgpr 32
		.amdhsa_accum_offset 56
		.amdhsa_reserve_vcc 1
		.amdhsa_float_round_mode_32 0
		.amdhsa_float_round_mode_16_64 0
		.amdhsa_float_denorm_mode_32 3
		.amdhsa_float_denorm_mode_16_64 3
		.amdhsa_dx10_clamp 1
		.amdhsa_ieee_mode 1
		.amdhsa_fp16_overflow 0
		.amdhsa_tg_split 0
		.amdhsa_exception_fp_ieee_invalid_op 0
		.amdhsa_exception_fp_denorm_src 0
		.amdhsa_exception_fp_ieee_div_zero 0
		.amdhsa_exception_fp_ieee_overflow 0
		.amdhsa_exception_fp_ieee_underflow 0
		.amdhsa_exception_fp_ieee_inexact 0
		.amdhsa_exception_int_div_zero 0
	.end_amdhsa_kernel
	.section	.text._ZL29rocblas_internal_gemmt_kernelIiLi16ELi32ELi8ELc78ELc67ELc85ELb0ELb1E19rocblas_complex_numIfEPKS1_S3_PS1_EviT_T9_T10_S5_lS7_S5_lS6_T11_S5_li,"axG",@progbits,_ZL29rocblas_internal_gemmt_kernelIiLi16ELi32ELi8ELc78ELc67ELc85ELb0ELb1E19rocblas_complex_numIfEPKS1_S3_PS1_EviT_T9_T10_S5_lS7_S5_lS6_T11_S5_li,comdat
.Lfunc_end74:
	.size	_ZL29rocblas_internal_gemmt_kernelIiLi16ELi32ELi8ELc78ELc67ELc85ELb0ELb1E19rocblas_complex_numIfEPKS1_S3_PS1_EviT_T9_T10_S5_lS7_S5_lS6_T11_S5_li, .Lfunc_end74-_ZL29rocblas_internal_gemmt_kernelIiLi16ELi32ELi8ELc78ELc67ELc85ELb0ELb1E19rocblas_complex_numIfEPKS1_S3_PS1_EviT_T9_T10_S5_lS7_S5_lS6_T11_S5_li
                                        ; -- End function
	.set _ZL29rocblas_internal_gemmt_kernelIiLi16ELi32ELi8ELc78ELc67ELc85ELb0ELb1E19rocblas_complex_numIfEPKS1_S3_PS1_EviT_T9_T10_S5_lS7_S5_lS6_T11_S5_li.num_vgpr, 54
	.set _ZL29rocblas_internal_gemmt_kernelIiLi16ELi32ELi8ELc78ELc67ELc85ELb0ELb1E19rocblas_complex_numIfEPKS1_S3_PS1_EviT_T9_T10_S5_lS7_S5_lS6_T11_S5_li.num_agpr, 0
	.set _ZL29rocblas_internal_gemmt_kernelIiLi16ELi32ELi8ELc78ELc67ELc85ELb0ELb1E19rocblas_complex_numIfEPKS1_S3_PS1_EviT_T9_T10_S5_lS7_S5_lS6_T11_S5_li.numbered_sgpr, 32
	.set _ZL29rocblas_internal_gemmt_kernelIiLi16ELi32ELi8ELc78ELc67ELc85ELb0ELb1E19rocblas_complex_numIfEPKS1_S3_PS1_EviT_T9_T10_S5_lS7_S5_lS6_T11_S5_li.num_named_barrier, 0
	.set _ZL29rocblas_internal_gemmt_kernelIiLi16ELi32ELi8ELc78ELc67ELc85ELb0ELb1E19rocblas_complex_numIfEPKS1_S3_PS1_EviT_T9_T10_S5_lS7_S5_lS6_T11_S5_li.private_seg_size, 0
	.set _ZL29rocblas_internal_gemmt_kernelIiLi16ELi32ELi8ELc78ELc67ELc85ELb0ELb1E19rocblas_complex_numIfEPKS1_S3_PS1_EviT_T9_T10_S5_lS7_S5_lS6_T11_S5_li.uses_vcc, 1
	.set _ZL29rocblas_internal_gemmt_kernelIiLi16ELi32ELi8ELc78ELc67ELc85ELb0ELb1E19rocblas_complex_numIfEPKS1_S3_PS1_EviT_T9_T10_S5_lS7_S5_lS6_T11_S5_li.uses_flat_scratch, 0
	.set _ZL29rocblas_internal_gemmt_kernelIiLi16ELi32ELi8ELc78ELc67ELc85ELb0ELb1E19rocblas_complex_numIfEPKS1_S3_PS1_EviT_T9_T10_S5_lS7_S5_lS6_T11_S5_li.has_dyn_sized_stack, 0
	.set _ZL29rocblas_internal_gemmt_kernelIiLi16ELi32ELi8ELc78ELc67ELc85ELb0ELb1E19rocblas_complex_numIfEPKS1_S3_PS1_EviT_T9_T10_S5_lS7_S5_lS6_T11_S5_li.has_recursion, 0
	.set _ZL29rocblas_internal_gemmt_kernelIiLi16ELi32ELi8ELc78ELc67ELc85ELb0ELb1E19rocblas_complex_numIfEPKS1_S3_PS1_EviT_T9_T10_S5_lS7_S5_lS6_T11_S5_li.has_indirect_call, 0
	.section	.AMDGPU.csdata,"",@progbits
; Kernel info:
; codeLenInByte = 2520
; TotalNumSgprs: 38
; NumVgprs: 54
; NumAgprs: 0
; TotalNumVgprs: 54
; ScratchSize: 0
; MemoryBound: 0
; FloatMode: 240
; IeeeMode: 1
; LDSByteSize: 4096 bytes/workgroup (compile time only)
; SGPRBlocks: 4
; VGPRBlocks: 6
; NumSGPRsForWavesPerEU: 38
; NumVGPRsForWavesPerEU: 54
; AccumOffset: 56
; Occupancy: 8
; WaveLimiterHint : 0
; COMPUTE_PGM_RSRC2:SCRATCH_EN: 0
; COMPUTE_PGM_RSRC2:USER_SGPR: 2
; COMPUTE_PGM_RSRC2:TRAP_HANDLER: 0
; COMPUTE_PGM_RSRC2:TGID_X_EN: 1
; COMPUTE_PGM_RSRC2:TGID_Y_EN: 1
; COMPUTE_PGM_RSRC2:TGID_Z_EN: 1
; COMPUTE_PGM_RSRC2:TIDIG_COMP_CNT: 1
; COMPUTE_PGM_RSRC3_GFX90A:ACCUM_OFFSET: 13
; COMPUTE_PGM_RSRC3_GFX90A:TG_SPLIT: 0
	.section	.text._ZL29rocblas_internal_gemmt_kernelIiLi16ELi32ELi8ELc84ELc78ELc85ELb0ELb0E19rocblas_complex_numIfEPKS1_S3_PS1_EviT_T9_T10_S5_lS7_S5_lS6_T11_S5_li,"axG",@progbits,_ZL29rocblas_internal_gemmt_kernelIiLi16ELi32ELi8ELc84ELc78ELc85ELb0ELb0E19rocblas_complex_numIfEPKS1_S3_PS1_EviT_T9_T10_S5_lS7_S5_lS6_T11_S5_li,comdat
	.globl	_ZL29rocblas_internal_gemmt_kernelIiLi16ELi32ELi8ELc84ELc78ELc85ELb0ELb0E19rocblas_complex_numIfEPKS1_S3_PS1_EviT_T9_T10_S5_lS7_S5_lS6_T11_S5_li ; -- Begin function _ZL29rocblas_internal_gemmt_kernelIiLi16ELi32ELi8ELc84ELc78ELc85ELb0ELb0E19rocblas_complex_numIfEPKS1_S3_PS1_EviT_T9_T10_S5_lS7_S5_lS6_T11_S5_li
	.p2align	8
	.type	_ZL29rocblas_internal_gemmt_kernelIiLi16ELi32ELi8ELc84ELc78ELc85ELb0ELb0E19rocblas_complex_numIfEPKS1_S3_PS1_EviT_T9_T10_S5_lS7_S5_lS6_T11_S5_li,@function
_ZL29rocblas_internal_gemmt_kernelIiLi16ELi32ELi8ELc84ELc78ELc85ELb0ELb0E19rocblas_complex_numIfEPKS1_S3_PS1_EviT_T9_T10_S5_lS7_S5_lS6_T11_S5_li: ; @_ZL29rocblas_internal_gemmt_kernelIiLi16ELi32ELi8ELc84ELc78ELc85ELb0ELb0E19rocblas_complex_numIfEPKS1_S3_PS1_EviT_T9_T10_S5_lS7_S5_lS6_T11_S5_li
; %bb.0:
	s_load_dwordx4 s[8:11], s[0:1], 0x38
	s_load_dwordx4 s[12:15], s[0:1], 0x8
	s_waitcnt lgkmcnt(0)
	s_load_dwordx2 s[20:21], s[10:11], 0x0
	s_load_dwordx2 s[24:25], s[0:1], 0x0
	;; [unrolled: 1-line block ×3, first 2 shown]
	s_waitcnt lgkmcnt(0)
	s_and_b32 s5, s21, 0x7fffffff
	s_cmp_eq_u32 s5, 0
	v_cmp_eq_f32_e64 s[6:7], s20, 1.0
	s_cselect_b64 s[10:11], -1, 0
	s_and_b64 s[6:7], s[6:7], s[10:11]
	s_and_b64 vcc, exec, s[6:7]
	s_cbranch_vccnz .LBB75_2
; %bb.1:
	s_mov_b64 s[6:7], -1
	s_cbranch_execz .LBB75_3
	s_branch .LBB75_4
.LBB75_2:
	s_mov_b64 s[6:7], 0
.LBB75_3:
	s_cmp_lg_u32 s25, 0
	v_cmp_neq_f32_e64 s[12:13], s22, 0
	v_cmp_neq_f32_e64 s[16:17], s23, 0
	s_cselect_b64 s[6:7], -1, 0
	s_or_b64 s[12:13], s[12:13], s[16:17]
	s_and_b64 s[6:7], s[6:7], s[12:13]
.LBB75_4:
	s_andn2_b64 vcc, exec, s[6:7]
	s_cbranch_vccnz .LBB75_28
; %bb.5:
	s_lshl_b32 s5, s2, 5
	s_lshl_b32 s26, s3, 5
	v_cmp_eq_f32_e64 s[2:3], s22, 0
	v_cmp_eq_f32_e64 s[6:7], s23, 0
	s_load_dwordx2 s[12:13], s[0:1], 0x48
	s_and_b64 s[2:3], s[2:3], s[6:7]
	s_cmp_lt_i32 s25, 1
	s_cselect_b64 s[6:7], -1, 0
	s_or_b64 s[2:3], s[2:3], s[6:7]
	v_and_b32_e32 v15, 0x3ff, v0
	v_bfe_u32 v13, v0, 10, 10
	s_mov_b32 s27, 0
	v_mov_b32_e32 v24, 0
	s_and_b64 vcc, exec, s[2:3]
	v_mov_b32_e32 v26, 0
	v_mov_b32_e32 v20, 0
	;; [unrolled: 1-line block ×7, first 2 shown]
	s_cbranch_vccnz .LBB75_12
; %bb.6:
	v_lshl_add_u32 v0, v13, 4, v15
	v_and_b32_e32 v2, 31, v0
	v_lshrrev_b32_e32 v19, 5, v0
	v_lshrrev_b32_e32 v1, 3, v0
	v_or_b32_e32 v0, s5, v2
	v_and_b32_e32 v17, 7, v15
	v_cmp_gt_i32_e32 vcc, s24, v0
	v_lshlrev_b32_e32 v0, 3, v2
	v_lshl_or_b32 v21, v19, 8, v0
	v_lshlrev_b32_e32 v0, 3, v17
	s_load_dword s6, s[0:1], 0x18
	s_load_dwordx4 s[16:19], s[0:1], 0x20
	s_load_dword s28, s[0:1], 0x30
	v_add_u32_e32 v6, s26, v1
	v_lshl_or_b32 v1, v1, 6, v0
	v_add_u32_e32 v23, 0x800, v1
	v_mov_b32_e32 v1, 0x800
	v_lshl_add_u32 v27, v13, 6, v1
	v_add_u32_e32 v1, s5, v2
	s_waitcnt lgkmcnt(0)
	v_mad_i64_i32 v[2:3], s[6:7], s6, v1, 0
	s_mul_i32 s6, s17, s4
	s_mul_hi_u32 s7, s16, s4
	s_add_i32 s7, s7, s6
	s_mul_i32 s6, s16, s4
	s_lshl_b64 s[6:7], s[6:7], 3
	v_lshl_add_u64 v[2:3], v[2:3], 3, s[6:7]
	v_lshlrev_b32_e32 v4, 3, v19
	v_mov_b32_e32 v5, 0
	v_lshl_add_u64 v[2:3], v[2:3], 0, v[4:5]
	v_lshl_add_u64 v[8:9], s[14:15], 0, v[2:3]
	v_mad_i64_i32 v[2:3], s[6:7], s28, v6, 0
	s_mul_i32 s6, s9, s4
	s_mul_hi_u32 s7, s8, s4
	s_add_i32 s7, s7, s6
	s_mul_i32 s6, s8, s4
	s_lshl_b64 s[6:7], s[6:7], 3
	v_lshl_add_u64 v[2:3], v[2:3], 3, s[6:7]
	v_mov_b32_e32 v1, v5
	v_lshl_add_u64 v[0:1], v[2:3], 0, v[0:1]
	v_cmp_gt_i32_e64 s[2:3], s24, v6
	v_lshlrev_b32_e32 v25, 3, v15
	v_lshl_add_u64 v[10:11], s[18:19], 0, v[0:1]
	v_mov_b32_e32 v14, v5
	v_mov_b32_e32 v12, v5
	;; [unrolled: 1-line block ×8, first 2 shown]
	s_branch .LBB75_8
.LBB75_7:                               ;   in Loop: Header=BB75_8 Depth=1
	s_or_b64 exec, exec, s[6:7]
	s_waitcnt vmcnt(0)
	ds_write_b64 v23, v[0:1]
	s_waitcnt lgkmcnt(0)
	s_barrier
	ds_read2_b64 v[28:31], v25 offset1:16
	ds_read_b128 v[32:35], v27
	ds_read_b128 v[36:39], v27 offset:16
	ds_read_b128 v[4:7], v27 offset:32
	;; [unrolled: 1-line block ×3, first 2 shown]
	ds_read2_b64 v[48:51], v25 offset0:32 offset1:48
	s_waitcnt lgkmcnt(4)
	v_mul_f32_e32 v40, v33, v29
	v_fma_f32 v40, v32, v28, -v40
	v_mul_f32_e32 v41, v32, v29
	v_fmac_f32_e32 v41, v33, v28
	v_add_f32_e32 v24, v24, v40
	v_mul_f32_e32 v40, v33, v31
	v_add_f32_e32 v26, v26, v41
	v_fma_f32 v44, v32, v30, -v40
	ds_read_b128 v[40:43], v27 offset:1024
	v_mul_f32_e32 v32, v32, v31
	v_fmac_f32_e32 v32, v33, v30
	v_add_f32_e32 v20, v20, v44
	v_add_f32_e32 v22, v22, v32
	ds_read_b128 v[44:47], v27 offset:1040
	s_waitcnt lgkmcnt(1)
	v_mul_f32_e32 v32, v41, v29
	v_mul_f32_e32 v29, v40, v29
	v_fma_f32 v32, v40, v28, -v32
	v_fmac_f32_e32 v29, v41, v28
	v_mul_f32_e32 v28, v41, v31
	v_add_f32_e32 v18, v18, v29
	v_fma_f32 v28, v40, v30, -v28
	v_mul_f32_e32 v29, v40, v31
	v_fmac_f32_e32 v29, v41, v30
	v_add_f32_e32 v12, v12, v28
	v_mul_f32_e32 v28, v35, v49
	v_add_f32_e32 v14, v14, v29
	v_fma_f32 v28, v34, v48, -v28
	v_mul_f32_e32 v29, v34, v49
	v_fmac_f32_e32 v29, v35, v48
	v_add_f32_e32 v24, v24, v28
	;; [unrolled: 6-line block ×3, first 2 shown]
	v_mul_f32_e32 v28, v43, v49
	v_add_f32_e32 v16, v16, v32
	v_add_f32_e32 v22, v22, v29
	v_fma_f32 v28, v42, v48, -v28
	v_mul_f32_e32 v29, v42, v49
	v_fmac_f32_e32 v29, v43, v48
	v_add_f32_e32 v16, v16, v28
	v_mul_f32_e32 v28, v43, v51
	v_add_f32_e32 v18, v18, v29
	v_fma_f32 v32, v42, v50, -v28
	ds_read2_b64 v[28:31], v25 offset0:64 offset1:80
	v_mul_f32_e32 v33, v42, v51
	v_add_f32_e32 v12, v12, v32
	v_fmac_f32_e32 v33, v43, v50
	v_add_f32_e32 v14, v14, v33
	s_waitcnt lgkmcnt(0)
	v_mul_f32_e32 v32, v37, v29
	v_fma_f32 v32, v36, v28, -v32
	v_mul_f32_e32 v33, v36, v29
	v_add_f32_e32 v24, v24, v32
	v_mul_f32_e32 v32, v37, v31
	v_fmac_f32_e32 v33, v37, v28
	v_fma_f32 v32, v36, v30, -v32
	v_add_f32_e32 v26, v26, v33
	v_mul_f32_e32 v33, v36, v31
	v_add_f32_e32 v20, v20, v32
	v_mul_f32_e32 v32, v45, v29
	v_fmac_f32_e32 v33, v37, v30
	v_fma_f32 v32, v44, v28, -v32
	v_add_f32_e32 v22, v22, v33
	v_add_f32_e32 v16, v16, v32
	ds_read2_b64 v[32:35], v25 offset0:96 offset1:112
	v_mul_f32_e32 v29, v44, v29
	v_fmac_f32_e32 v29, v45, v28
	v_mul_f32_e32 v28, v45, v31
	v_add_f32_e32 v18, v18, v29
	v_fma_f32 v28, v44, v30, -v28
	v_mul_f32_e32 v29, v44, v31
	v_fmac_f32_e32 v29, v45, v30
	v_add_f32_e32 v12, v12, v28
	s_waitcnt lgkmcnt(0)
	v_mul_f32_e32 v28, v39, v33
	v_add_f32_e32 v14, v14, v29
	v_fma_f32 v28, v38, v32, -v28
	v_mul_f32_e32 v29, v38, v33
	v_fmac_f32_e32 v29, v39, v32
	v_add_f32_e32 v24, v24, v28
	v_mul_f32_e32 v28, v39, v35
	v_add_f32_e32 v26, v26, v29
	v_fma_f32 v28, v38, v34, -v28
	v_mul_f32_e32 v29, v38, v35
	v_fmac_f32_e32 v29, v39, v34
	v_add_f32_e32 v20, v20, v28
	v_mul_f32_e32 v28, v47, v33
	v_add_f32_e32 v22, v22, v29
	v_fma_f32 v28, v46, v32, -v28
	v_mul_f32_e32 v29, v46, v33
	v_fmac_f32_e32 v29, v47, v32
	v_add_f32_e32 v16, v16, v28
	v_mul_f32_e32 v28, v47, v35
	v_add_f32_e32 v18, v18, v29
	v_fma_f32 v32, v46, v34, -v28
	ds_read2_b64 v[28:31], v25 offset0:128 offset1:144
	v_mul_f32_e32 v33, v46, v35
	v_fmac_f32_e32 v33, v47, v34
	v_add_f32_e32 v12, v12, v32
	v_add_f32_e32 v14, v14, v33
	s_waitcnt lgkmcnt(0)
	v_mul_f32_e32 v32, v5, v29
	v_fma_f32 v32, v4, v28, -v32
	v_mul_f32_e32 v33, v4, v29
	v_fmac_f32_e32 v33, v5, v28
	v_add_f32_e32 v24, v24, v32
	v_mul_f32_e32 v32, v5, v31
	v_add_f32_e32 v26, v26, v33
	v_fma_f32 v36, v4, v30, -v32
	ds_read_b128 v[32:35], v27 offset:1056
	v_mul_f32_e32 v4, v4, v31
	ds_read2_b64 v[40:43], v25 offset0:160 offset1:176
	v_fmac_f32_e32 v4, v5, v30
	v_add_f32_e32 v5, v20, v36
	ds_read_b128 v[36:39], v27 offset:1072
	s_waitcnt lgkmcnt(2)
	v_mul_f32_e32 v20, v33, v29
	v_fma_f32 v20, v32, v28, -v20
	v_add_f32_e32 v16, v16, v20
	v_mul_f32_e32 v20, v33, v31
	v_add_f32_e32 v4, v22, v4
	v_mul_f32_e32 v22, v32, v29
	v_fma_f32 v20, v32, v30, -v20
	v_fmac_f32_e32 v22, v33, v28
	v_add_f32_e32 v12, v12, v20
	s_waitcnt lgkmcnt(1)
	v_mul_f32_e32 v20, v7, v41
	v_add_f32_e32 v18, v18, v22
	v_mul_f32_e32 v22, v32, v31
	v_fma_f32 v20, v6, v40, -v20
	v_fmac_f32_e32 v22, v33, v30
	v_add_f32_e32 v20, v24, v20
	v_mul_f32_e32 v24, v7, v43
	v_add_f32_e32 v14, v14, v22
	v_mul_f32_e32 v22, v6, v41
	v_fma_f32 v24, v6, v42, -v24
	v_mul_f32_e32 v6, v6, v43
	v_fmac_f32_e32 v22, v7, v40
	v_fmac_f32_e32 v6, v7, v42
	v_add_f32_e32 v22, v26, v22
	v_add_f32_e32 v26, v4, v6
	v_mul_f32_e32 v4, v35, v41
	v_add_f32_e32 v24, v5, v24
	v_fma_f32 v4, v34, v40, -v4
	v_mul_f32_e32 v5, v34, v41
	v_fmac_f32_e32 v5, v35, v40
	v_add_f32_e32 v16, v16, v4
	v_mul_f32_e32 v4, v35, v43
	v_add_f32_e32 v18, v18, v5
	v_fma_f32 v28, v34, v42, -v4
	ds_read2_b64 v[4:7], v25 offset0:192 offset1:208
	v_mul_f32_e32 v29, v34, v43
	v_add_f32_e32 v12, v12, v28
	v_fmac_f32_e32 v29, v35, v42
	v_add_f32_e32 v14, v14, v29
	s_waitcnt lgkmcnt(0)
	v_mul_f32_e32 v28, v1, v5
	v_fma_f32 v28, v0, v4, -v28
	v_mul_f32_e32 v29, v0, v5
	v_add_f32_e32 v20, v20, v28
	v_mul_f32_e32 v28, v1, v7
	v_fmac_f32_e32 v29, v1, v4
	v_fma_f32 v28, v0, v6, -v28
	v_mul_f32_e32 v0, v0, v7
	v_add_f32_e32 v22, v22, v29
	v_fmac_f32_e32 v0, v1, v6
	v_add_f32_e32 v1, v24, v28
	ds_read2_b64 v[28:31], v25 offset0:224 offset1:240
	v_mul_f32_e32 v24, v37, v5
	v_fma_f32 v24, v36, v4, -v24
	v_mul_f32_e32 v5, v36, v5
	v_fmac_f32_e32 v5, v37, v4
	v_add_f32_e32 v4, v16, v24
	v_mul_f32_e32 v16, v37, v7
	v_fma_f32 v16, v36, v6, -v16
	v_mul_f32_e32 v7, v36, v7
	v_fmac_f32_e32 v7, v37, v6
	v_add_f32_e32 v6, v12, v16
	s_waitcnt lgkmcnt(0)
	v_mul_f32_e32 v12, v3, v29
	v_fma_f32 v12, v2, v28, -v12
	v_add_f32_e32 v24, v20, v12
	v_mul_f32_e32 v12, v3, v31
	v_add_f32_e32 v7, v14, v7
	v_mul_f32_e32 v14, v2, v29
	v_fma_f32 v12, v2, v30, -v12
	v_mul_f32_e32 v2, v2, v31
	v_add_f32_e32 v0, v26, v0
	v_fmac_f32_e32 v14, v3, v28
	v_fmac_f32_e32 v2, v3, v30
	v_add_f32_e32 v26, v22, v14
	v_add_f32_e32 v20, v1, v12
	;; [unrolled: 1-line block ×3, first 2 shown]
	v_mul_f32_e32 v0, v39, v29
	v_mul_f32_e32 v1, v38, v29
	v_add_f32_e32 v5, v18, v5
	v_fma_f32 v0, v38, v28, -v0
	v_fmac_f32_e32 v1, v39, v28
	v_add_f32_e32 v16, v4, v0
	v_add_f32_e32 v18, v5, v1
	v_mul_f32_e32 v0, v39, v31
	v_mul_f32_e32 v1, v38, v31
	v_fma_f32 v0, v38, v30, -v0
	v_fmac_f32_e32 v1, v39, v30
	s_add_i32 s27, s27, 8
	v_add_f32_e32 v12, v6, v0
	v_add_f32_e32 v14, v7, v1
	v_lshl_add_u64 v[8:9], v[8:9], 0, 64
	s_cmp_lt_i32 s27, s25
	v_lshl_add_u64 v[10:11], v[10:11], 0, 64
	s_barrier
	s_cbranch_scc0 .LBB75_12
.LBB75_8:                               ; =>This Inner Loop Header: Depth=1
	v_add_u32_e32 v0, s27, v19
	v_cmp_gt_i32_e64 s[6:7], s25, v0
	s_and_b64 s[8:9], vcc, s[6:7]
	v_mov_b32_e32 v0, 0
	v_mov_b32_e32 v1, 0
	s_and_saveexec_b64 s[6:7], s[8:9]
	s_cbranch_execz .LBB75_10
; %bb.9:                                ;   in Loop: Header=BB75_8 Depth=1
	global_load_dwordx2 v[0:1], v[8:9], off
.LBB75_10:                              ;   in Loop: Header=BB75_8 Depth=1
	s_or_b64 exec, exec, s[6:7]
	s_waitcnt vmcnt(0)
	ds_write_b64 v21, v[0:1]
	v_add_u32_e32 v0, s27, v17
	v_cmp_gt_i32_e64 s[6:7], s25, v0
	s_and_b64 s[8:9], s[6:7], s[2:3]
	v_mov_b32_e32 v0, 0
	v_mov_b32_e32 v1, 0
	s_and_saveexec_b64 s[6:7], s[8:9]
	s_cbranch_execz .LBB75_7
; %bb.11:                               ;   in Loop: Header=BB75_8 Depth=1
	global_load_dwordx2 v[0:1], v[10:11], off
	s_branch .LBB75_7
.LBB75_12:
	s_load_dwordx2 s[2:3], s[0:1], 0x58
	s_load_dword s8, s[0:1], 0x50
	v_add_u32_e32 v0, s5, v15
	v_add_u32_e32 v10, s26, v13
	v_cmp_le_i32_e32 vcc, v0, v10
	s_waitcnt lgkmcnt(0)
	s_mul_i32 s1, s3, s4
	s_mul_hi_u32 s3, s2, s4
	s_mul_i32 s0, s2, s4
	s_add_i32 s1, s3, s1
	s_lshl_b64 s[0:1], s[0:1], 3
	s_add_u32 s4, s12, s0
	s_addc_u32 s5, s13, s1
	v_cmp_neq_f32_e64 s[0:1], s20, 0
	s_xor_b64 s[6:7], s[10:11], -1
	v_mad_i64_i32 v[2:3], s[10:11], v10, s8, 0
	s_or_b64 s[0:1], s[0:1], s[6:7]
	v_cmp_gt_i32_e64 s[2:3], s24, v10
	v_lshl_add_u64 v[4:5], v[2:3], 3, s[4:5]
	v_cndmask_b32_e64 v2, 0, 1, s[0:1]
	s_and_b64 s[10:11], s[2:3], vcc
	v_ashrrev_i32_e32 v1, 31, v0
	v_cmp_ne_u32_e64 s[0:1], 1, v2
	s_and_saveexec_b64 s[6:7], s[10:11]
	s_cbranch_execz .LBB75_16
; %bb.13:
	v_pk_mul_f32 v[6:7], v[26:27], s[22:23] op_sel:[0,1] op_sel_hi:[0,0]
	v_pk_fma_f32 v[2:3], v[24:25], s[22:23], v[6:7] op_sel_hi:[0,1,1] neg_lo:[0,0,1] neg_hi:[0,0,1]
	v_pk_fma_f32 v[8:9], v[24:25], s[22:23], v[6:7] op_sel_hi:[0,1,1]
	s_and_b64 vcc, exec, s[0:1]
	v_lshl_add_u64 v[6:7], v[0:1], 3, v[4:5]
	s_cbranch_vccnz .LBB75_15
; %bb.14:
	global_load_dwordx2 v[24:25], v[6:7], off
	s_mov_b32 s10, s21
	v_mov_b32_e32 v3, v9
	s_waitcnt vmcnt(0)
	v_pk_mul_f32 v[8:9], v[24:25], s[10:11] op_sel:[1,0] op_sel_hi:[0,0]
	v_pk_fma_f32 v[26:27], v[24:25], s[20:21], v[8:9] neg_lo:[0,0,1] neg_hi:[0,0,1]
	v_pk_fma_f32 v[8:9], v[24:25], s[20:21], v[8:9] op_sel_hi:[1,0,1]
	s_nop 0
	v_mov_b32_e32 v27, v9
	v_pk_add_f32 v[2:3], v[2:3], v[26:27]
	s_nop 0
	v_mov_b32_e32 v9, v3
.LBB75_15:
	v_mov_b32_e32 v3, v9
	global_store_dwordx2 v[6:7], v[2:3], off
.LBB75_16:
	s_or_b64 exec, exec, s[6:7]
	v_add_u32_e32 v2, 16, v0
	v_cmp_le_i32_e32 vcc, v2, v10
	s_and_b64 s[6:7], s[2:3], vcc
	v_ashrrev_i32_e32 v3, 31, v2
	s_and_saveexec_b64 s[2:3], s[6:7]
	s_cbranch_execz .LBB75_20
; %bb.17:
	v_pk_mul_f32 v[8:9], v[22:23], s[22:23] op_sel:[0,1] op_sel_hi:[0,0]
	v_pk_fma_f32 v[6:7], v[20:21], s[22:23], v[8:9] op_sel_hi:[0,1,1] neg_lo:[0,0,1] neg_hi:[0,0,1]
	v_pk_fma_f32 v[8:9], v[20:21], s[22:23], v[8:9] op_sel_hi:[0,1,1]
	s_and_b64 vcc, exec, s[0:1]
	v_lshl_add_u64 v[4:5], v[2:3], 3, v[4:5]
	s_cbranch_vccnz .LBB75_19
; %bb.18:
	global_load_dwordx2 v[20:21], v[4:5], off
	s_mov_b32 s6, s21
	v_mov_b32_e32 v7, v9
	s_waitcnt vmcnt(0)
	v_pk_mul_f32 v[8:9], v[20:21], s[6:7] op_sel:[1,0] op_sel_hi:[0,0]
	v_pk_fma_f32 v[22:23], v[20:21], s[20:21], v[8:9] neg_lo:[0,0,1] neg_hi:[0,0,1]
	v_pk_fma_f32 v[8:9], v[20:21], s[20:21], v[8:9] op_sel_hi:[1,0,1]
	s_nop 0
	v_mov_b32_e32 v23, v9
	v_pk_add_f32 v[6:7], v[6:7], v[22:23]
	s_nop 0
	v_mov_b32_e32 v9, v7
.LBB75_19:
	v_mov_b32_e32 v7, v9
	global_store_dwordx2 v[4:5], v[6:7], off
.LBB75_20:
	s_or_b64 exec, exec, s[2:3]
	v_add_u32_e32 v10, 16, v10
	v_cmp_gt_i32_e64 s[2:3], s24, v10
	v_mad_i64_i32 v[4:5], s[6:7], v10, s8, 0
	v_cmp_le_i32_e32 vcc, v0, v10
	v_lshl_add_u64 v[4:5], v[4:5], 3, s[4:5]
	s_and_b64 s[6:7], s[2:3], vcc
	s_and_saveexec_b64 s[4:5], s[6:7]
	s_cbranch_execz .LBB75_24
; %bb.21:
	v_pk_mul_f32 v[8:9], v[18:19], s[22:23] op_sel:[0,1] op_sel_hi:[0,0]
	v_pk_fma_f32 v[6:7], v[16:17], s[22:23], v[8:9] op_sel_hi:[0,1,1] neg_lo:[0,0,1] neg_hi:[0,0,1]
	v_pk_fma_f32 v[8:9], v[16:17], s[22:23], v[8:9] op_sel_hi:[0,1,1]
	s_and_b64 vcc, exec, s[0:1]
	v_lshl_add_u64 v[0:1], v[0:1], 3, v[4:5]
	s_cbranch_vccnz .LBB75_23
; %bb.22:
	global_load_dwordx2 v[16:17], v[0:1], off
	s_mov_b32 s6, s21
	v_mov_b32_e32 v7, v9
	s_waitcnt vmcnt(0)
	v_pk_mul_f32 v[8:9], v[16:17], s[6:7] op_sel:[1,0] op_sel_hi:[0,0]
	v_pk_fma_f32 v[18:19], v[16:17], s[20:21], v[8:9] neg_lo:[0,0,1] neg_hi:[0,0,1]
	v_pk_fma_f32 v[8:9], v[16:17], s[20:21], v[8:9] op_sel_hi:[1,0,1]
	s_nop 0
	v_mov_b32_e32 v19, v9
	v_pk_add_f32 v[6:7], v[6:7], v[18:19]
	s_nop 0
	v_mov_b32_e32 v9, v7
.LBB75_23:
	v_mov_b32_e32 v7, v9
	global_store_dwordx2 v[0:1], v[6:7], off
.LBB75_24:
	s_or_b64 exec, exec, s[4:5]
	v_cmp_le_i32_e32 vcc, v2, v10
	s_and_b64 s[2:3], s[2:3], vcc
	s_and_saveexec_b64 s[4:5], s[2:3]
	s_cbranch_execz .LBB75_28
; %bb.25:
	v_pk_mul_f32 v[6:7], v[14:15], s[22:23] op_sel:[0,1] op_sel_hi:[0,0]
	v_pk_fma_f32 v[0:1], v[12:13], s[22:23], v[6:7] op_sel_hi:[0,1,1] neg_lo:[0,0,1] neg_hi:[0,0,1]
	v_pk_fma_f32 v[6:7], v[12:13], s[22:23], v[6:7] op_sel_hi:[0,1,1]
	s_and_b64 vcc, exec, s[0:1]
	v_lshl_add_u64 v[2:3], v[2:3], 3, v[4:5]
	s_cbranch_vccnz .LBB75_27
; %bb.26:
	global_load_dwordx2 v[4:5], v[2:3], off
	s_mov_b32 s0, s21
	v_mov_b32_e32 v1, v7
	s_waitcnt vmcnt(0)
	v_pk_mul_f32 v[6:7], v[4:5], s[0:1] op_sel:[1,0] op_sel_hi:[0,0]
	v_pk_fma_f32 v[8:9], v[4:5], s[20:21], v[6:7] neg_lo:[0,0,1] neg_hi:[0,0,1]
	v_pk_fma_f32 v[4:5], v[4:5], s[20:21], v[6:7] op_sel_hi:[1,0,1]
	s_nop 0
	v_mov_b32_e32 v9, v5
	v_pk_add_f32 v[0:1], v[0:1], v[8:9]
	s_nop 0
	v_mov_b32_e32 v7, v1
.LBB75_27:
	v_mov_b32_e32 v1, v7
	global_store_dwordx2 v[2:3], v[0:1], off
.LBB75_28:
	s_endpgm
	.section	.rodata,"a",@progbits
	.p2align	6, 0x0
	.amdhsa_kernel _ZL29rocblas_internal_gemmt_kernelIiLi16ELi32ELi8ELc84ELc78ELc85ELb0ELb0E19rocblas_complex_numIfEPKS1_S3_PS1_EviT_T9_T10_S5_lS7_S5_lS6_T11_S5_li
		.amdhsa_group_segment_fixed_size 4096
		.amdhsa_private_segment_fixed_size 0
		.amdhsa_kernarg_size 100
		.amdhsa_user_sgpr_count 2
		.amdhsa_user_sgpr_dispatch_ptr 0
		.amdhsa_user_sgpr_queue_ptr 0
		.amdhsa_user_sgpr_kernarg_segment_ptr 1
		.amdhsa_user_sgpr_dispatch_id 0
		.amdhsa_user_sgpr_kernarg_preload_length 0
		.amdhsa_user_sgpr_kernarg_preload_offset 0
		.amdhsa_user_sgpr_private_segment_size 0
		.amdhsa_uses_dynamic_stack 0
		.amdhsa_enable_private_segment 0
		.amdhsa_system_sgpr_workgroup_id_x 1
		.amdhsa_system_sgpr_workgroup_id_y 1
		.amdhsa_system_sgpr_workgroup_id_z 1
		.amdhsa_system_sgpr_workgroup_info 0
		.amdhsa_system_vgpr_workitem_id 1
		.amdhsa_next_free_vgpr 52
		.amdhsa_next_free_sgpr 29
		.amdhsa_accum_offset 52
		.amdhsa_reserve_vcc 1
		.amdhsa_float_round_mode_32 0
		.amdhsa_float_round_mode_16_64 0
		.amdhsa_float_denorm_mode_32 3
		.amdhsa_float_denorm_mode_16_64 3
		.amdhsa_dx10_clamp 1
		.amdhsa_ieee_mode 1
		.amdhsa_fp16_overflow 0
		.amdhsa_tg_split 0
		.amdhsa_exception_fp_ieee_invalid_op 0
		.amdhsa_exception_fp_denorm_src 0
		.amdhsa_exception_fp_ieee_div_zero 0
		.amdhsa_exception_fp_ieee_overflow 0
		.amdhsa_exception_fp_ieee_underflow 0
		.amdhsa_exception_fp_ieee_inexact 0
		.amdhsa_exception_int_div_zero 0
	.end_amdhsa_kernel
	.section	.text._ZL29rocblas_internal_gemmt_kernelIiLi16ELi32ELi8ELc84ELc78ELc85ELb0ELb0E19rocblas_complex_numIfEPKS1_S3_PS1_EviT_T9_T10_S5_lS7_S5_lS6_T11_S5_li,"axG",@progbits,_ZL29rocblas_internal_gemmt_kernelIiLi16ELi32ELi8ELc84ELc78ELc85ELb0ELb0E19rocblas_complex_numIfEPKS1_S3_PS1_EviT_T9_T10_S5_lS7_S5_lS6_T11_S5_li,comdat
.Lfunc_end75:
	.size	_ZL29rocblas_internal_gemmt_kernelIiLi16ELi32ELi8ELc84ELc78ELc85ELb0ELb0E19rocblas_complex_numIfEPKS1_S3_PS1_EviT_T9_T10_S5_lS7_S5_lS6_T11_S5_li, .Lfunc_end75-_ZL29rocblas_internal_gemmt_kernelIiLi16ELi32ELi8ELc84ELc78ELc85ELb0ELb0E19rocblas_complex_numIfEPKS1_S3_PS1_EviT_T9_T10_S5_lS7_S5_lS6_T11_S5_li
                                        ; -- End function
	.set _ZL29rocblas_internal_gemmt_kernelIiLi16ELi32ELi8ELc84ELc78ELc85ELb0ELb0E19rocblas_complex_numIfEPKS1_S3_PS1_EviT_T9_T10_S5_lS7_S5_lS6_T11_S5_li.num_vgpr, 52
	.set _ZL29rocblas_internal_gemmt_kernelIiLi16ELi32ELi8ELc84ELc78ELc85ELb0ELb0E19rocblas_complex_numIfEPKS1_S3_PS1_EviT_T9_T10_S5_lS7_S5_lS6_T11_S5_li.num_agpr, 0
	.set _ZL29rocblas_internal_gemmt_kernelIiLi16ELi32ELi8ELc84ELc78ELc85ELb0ELb0E19rocblas_complex_numIfEPKS1_S3_PS1_EviT_T9_T10_S5_lS7_S5_lS6_T11_S5_li.numbered_sgpr, 29
	.set _ZL29rocblas_internal_gemmt_kernelIiLi16ELi32ELi8ELc84ELc78ELc85ELb0ELb0E19rocblas_complex_numIfEPKS1_S3_PS1_EviT_T9_T10_S5_lS7_S5_lS6_T11_S5_li.num_named_barrier, 0
	.set _ZL29rocblas_internal_gemmt_kernelIiLi16ELi32ELi8ELc84ELc78ELc85ELb0ELb0E19rocblas_complex_numIfEPKS1_S3_PS1_EviT_T9_T10_S5_lS7_S5_lS6_T11_S5_li.private_seg_size, 0
	.set _ZL29rocblas_internal_gemmt_kernelIiLi16ELi32ELi8ELc84ELc78ELc85ELb0ELb0E19rocblas_complex_numIfEPKS1_S3_PS1_EviT_T9_T10_S5_lS7_S5_lS6_T11_S5_li.uses_vcc, 1
	.set _ZL29rocblas_internal_gemmt_kernelIiLi16ELi32ELi8ELc84ELc78ELc85ELb0ELb0E19rocblas_complex_numIfEPKS1_S3_PS1_EviT_T9_T10_S5_lS7_S5_lS6_T11_S5_li.uses_flat_scratch, 0
	.set _ZL29rocblas_internal_gemmt_kernelIiLi16ELi32ELi8ELc84ELc78ELc85ELb0ELb0E19rocblas_complex_numIfEPKS1_S3_PS1_EviT_T9_T10_S5_lS7_S5_lS6_T11_S5_li.has_dyn_sized_stack, 0
	.set _ZL29rocblas_internal_gemmt_kernelIiLi16ELi32ELi8ELc84ELc78ELc85ELb0ELb0E19rocblas_complex_numIfEPKS1_S3_PS1_EviT_T9_T10_S5_lS7_S5_lS6_T11_S5_li.has_recursion, 0
	.set _ZL29rocblas_internal_gemmt_kernelIiLi16ELi32ELi8ELc84ELc78ELc85ELb0ELb0E19rocblas_complex_numIfEPKS1_S3_PS1_EviT_T9_T10_S5_lS7_S5_lS6_T11_S5_li.has_indirect_call, 0
	.section	.AMDGPU.csdata,"",@progbits
; Kernel info:
; codeLenInByte = 2456
; TotalNumSgprs: 35
; NumVgprs: 52
; NumAgprs: 0
; TotalNumVgprs: 52
; ScratchSize: 0
; MemoryBound: 0
; FloatMode: 240
; IeeeMode: 1
; LDSByteSize: 4096 bytes/workgroup (compile time only)
; SGPRBlocks: 4
; VGPRBlocks: 6
; NumSGPRsForWavesPerEU: 35
; NumVGPRsForWavesPerEU: 52
; AccumOffset: 52
; Occupancy: 8
; WaveLimiterHint : 0
; COMPUTE_PGM_RSRC2:SCRATCH_EN: 0
; COMPUTE_PGM_RSRC2:USER_SGPR: 2
; COMPUTE_PGM_RSRC2:TRAP_HANDLER: 0
; COMPUTE_PGM_RSRC2:TGID_X_EN: 1
; COMPUTE_PGM_RSRC2:TGID_Y_EN: 1
; COMPUTE_PGM_RSRC2:TGID_Z_EN: 1
; COMPUTE_PGM_RSRC2:TIDIG_COMP_CNT: 1
; COMPUTE_PGM_RSRC3_GFX90A:ACCUM_OFFSET: 12
; COMPUTE_PGM_RSRC3_GFX90A:TG_SPLIT: 0
	.section	.text._ZL29rocblas_internal_gemmt_kernelIiLi16ELi32ELi8ELc84ELc84ELc85ELb0ELb0E19rocblas_complex_numIfEPKS1_S3_PS1_EviT_T9_T10_S5_lS7_S5_lS6_T11_S5_li,"axG",@progbits,_ZL29rocblas_internal_gemmt_kernelIiLi16ELi32ELi8ELc84ELc84ELc85ELb0ELb0E19rocblas_complex_numIfEPKS1_S3_PS1_EviT_T9_T10_S5_lS7_S5_lS6_T11_S5_li,comdat
	.globl	_ZL29rocblas_internal_gemmt_kernelIiLi16ELi32ELi8ELc84ELc84ELc85ELb0ELb0E19rocblas_complex_numIfEPKS1_S3_PS1_EviT_T9_T10_S5_lS7_S5_lS6_T11_S5_li ; -- Begin function _ZL29rocblas_internal_gemmt_kernelIiLi16ELi32ELi8ELc84ELc84ELc85ELb0ELb0E19rocblas_complex_numIfEPKS1_S3_PS1_EviT_T9_T10_S5_lS7_S5_lS6_T11_S5_li
	.p2align	8
	.type	_ZL29rocblas_internal_gemmt_kernelIiLi16ELi32ELi8ELc84ELc84ELc85ELb0ELb0E19rocblas_complex_numIfEPKS1_S3_PS1_EviT_T9_T10_S5_lS7_S5_lS6_T11_S5_li,@function
_ZL29rocblas_internal_gemmt_kernelIiLi16ELi32ELi8ELc84ELc84ELc85ELb0ELb0E19rocblas_complex_numIfEPKS1_S3_PS1_EviT_T9_T10_S5_lS7_S5_lS6_T11_S5_li: ; @_ZL29rocblas_internal_gemmt_kernelIiLi16ELi32ELi8ELc84ELc84ELc85ELb0ELb0E19rocblas_complex_numIfEPKS1_S3_PS1_EviT_T9_T10_S5_lS7_S5_lS6_T11_S5_li
; %bb.0:
	s_load_dwordx4 s[8:11], s[0:1], 0x38
	s_load_dwordx4 s[12:15], s[0:1], 0x8
	s_waitcnt lgkmcnt(0)
	s_load_dwordx2 s[20:21], s[10:11], 0x0
	s_load_dwordx2 s[24:25], s[0:1], 0x0
	;; [unrolled: 1-line block ×3, first 2 shown]
	s_waitcnt lgkmcnt(0)
	s_and_b32 s5, s21, 0x7fffffff
	s_cmp_eq_u32 s5, 0
	v_cmp_eq_f32_e64 s[6:7], s20, 1.0
	s_cselect_b64 s[10:11], -1, 0
	s_and_b64 s[6:7], s[6:7], s[10:11]
	s_and_b64 vcc, exec, s[6:7]
	s_cbranch_vccnz .LBB76_2
; %bb.1:
	s_mov_b64 s[6:7], -1
	s_cbranch_execz .LBB76_3
	s_branch .LBB76_4
.LBB76_2:
	s_mov_b64 s[6:7], 0
.LBB76_3:
	s_cmp_lg_u32 s25, 0
	v_cmp_neq_f32_e64 s[12:13], s22, 0
	v_cmp_neq_f32_e64 s[16:17], s23, 0
	s_cselect_b64 s[6:7], -1, 0
	s_or_b64 s[12:13], s[12:13], s[16:17]
	s_and_b64 s[6:7], s[6:7], s[12:13]
.LBB76_4:
	s_andn2_b64 vcc, exec, s[6:7]
	s_cbranch_vccnz .LBB76_28
; %bb.5:
	s_lshl_b32 s5, s2, 5
	s_lshl_b32 s26, s3, 5
	v_cmp_eq_f32_e64 s[2:3], s22, 0
	v_cmp_eq_f32_e64 s[6:7], s23, 0
	s_load_dwordx2 s[12:13], s[0:1], 0x48
	s_and_b64 s[2:3], s[2:3], s[6:7]
	s_cmp_lt_i32 s25, 1
	s_cselect_b64 s[6:7], -1, 0
	s_or_b64 s[2:3], s[2:3], s[6:7]
	v_and_b32_e32 v15, 0x3ff, v0
	v_bfe_u32 v13, v0, 10, 10
	s_mov_b32 s27, 0
	v_mov_b32_e32 v24, 0
	s_and_b64 vcc, exec, s[2:3]
	v_mov_b32_e32 v26, 0
	v_mov_b32_e32 v20, 0
	;; [unrolled: 1-line block ×7, first 2 shown]
	s_cbranch_vccnz .LBB76_12
; %bb.6:
	v_lshl_add_u32 v1, v13, 4, v15
	v_and_b32_e32 v3, 31, v1
	v_lshrrev_b32_e32 v19, 5, v1
	v_lshrrev_b32_e32 v2, 3, v1
	v_or_b32_e32 v1, s5, v3
	s_load_dword s28, s[0:1], 0x18
	s_load_dword s6, s[0:1], 0x30
	s_load_dwordx4 s[16:19], s[0:1], 0x20
	v_and_b32_e32 v17, 7, v15
	v_cmp_gt_i32_e32 vcc, s24, v1
	v_lshlrev_b32_e32 v1, 3, v3
	v_lshl_or_b32 v21, v19, 8, v1
	v_lshlrev_b32_e32 v1, 3, v17
	v_add_u32_e32 v0, s26, v2
	v_lshl_or_b32 v1, v2, 6, v1
	v_mov_b32_e32 v2, 0x800
	v_lshl_add_u32 v27, v13, 6, v2
	v_add_u32_e32 v2, s5, v3
	s_waitcnt lgkmcnt(0)
	v_mad_i64_i32 v[2:3], s[28:29], s28, v2, 0
	s_mul_i32 s17, s17, s4
	s_mul_hi_u32 s28, s16, s4
	s_add_i32 s17, s28, s17
	s_mul_i32 s16, s16, s4
	s_lshl_b64 s[16:17], s[16:17], 3
	v_lshl_add_u64 v[2:3], v[2:3], 3, s[16:17]
	v_lshlrev_b32_e32 v4, 3, v19
	v_mov_b32_e32 v5, 0
	v_lshl_add_u64 v[2:3], v[2:3], 0, v[4:5]
	v_lshl_add_u64 v[8:9], s[14:15], 0, v[2:3]
	s_mul_i32 s9, s9, s4
	s_mul_hi_u32 s14, s8, s4
	s_add_i32 s9, s14, s9
	v_mad_i64_i32 v[2:3], s[14:15], s6, v17, 0
	s_mul_i32 s8, s8, s4
	v_lshlrev_b64 v[2:3], 3, v[2:3]
	v_add_u32_e32 v23, 0x800, v1
	v_ashrrev_i32_e32 v1, 31, v0
	v_lshl_add_u64 v[2:3], s[8:9], 3, v[2:3]
	s_ashr_i32 s7, s6, 31
	v_cmp_gt_i32_e64 s[2:3], s24, v0
	v_lshl_add_u64 v[0:1], v[0:1], 3, v[2:3]
	v_lshlrev_b32_e32 v25, 3, v15
	v_lshl_add_u64 v[10:11], s[18:19], 0, v[0:1]
	s_lshl_b64 s[8:9], s[6:7], 6
	v_mov_b32_e32 v14, v5
	v_mov_b32_e32 v12, v5
	;; [unrolled: 1-line block ×8, first 2 shown]
	s_branch .LBB76_8
.LBB76_7:                               ;   in Loop: Header=BB76_8 Depth=1
	s_or_b64 exec, exec, s[6:7]
	s_waitcnt vmcnt(0)
	ds_write_b64 v23, v[0:1]
	s_waitcnt lgkmcnt(0)
	s_barrier
	ds_read2_b64 v[28:31], v25 offset1:16
	ds_read_b128 v[32:35], v27
	ds_read_b128 v[36:39], v27 offset:16
	ds_read_b128 v[4:7], v27 offset:32
	;; [unrolled: 1-line block ×3, first 2 shown]
	ds_read2_b64 v[48:51], v25 offset0:32 offset1:48
	s_waitcnt lgkmcnt(4)
	v_mul_f32_e32 v40, v33, v29
	v_fma_f32 v40, v32, v28, -v40
	v_mul_f32_e32 v41, v32, v29
	v_fmac_f32_e32 v41, v33, v28
	v_add_f32_e32 v24, v24, v40
	v_mul_f32_e32 v40, v33, v31
	v_add_f32_e32 v26, v26, v41
	v_fma_f32 v44, v32, v30, -v40
	ds_read_b128 v[40:43], v27 offset:1024
	v_mul_f32_e32 v32, v32, v31
	v_fmac_f32_e32 v32, v33, v30
	v_add_f32_e32 v20, v20, v44
	v_add_f32_e32 v22, v22, v32
	ds_read_b128 v[44:47], v27 offset:1040
	s_waitcnt lgkmcnt(1)
	v_mul_f32_e32 v32, v41, v29
	v_mul_f32_e32 v29, v40, v29
	v_fma_f32 v32, v40, v28, -v32
	v_fmac_f32_e32 v29, v41, v28
	v_mul_f32_e32 v28, v41, v31
	v_add_f32_e32 v18, v18, v29
	v_fma_f32 v28, v40, v30, -v28
	v_mul_f32_e32 v29, v40, v31
	v_fmac_f32_e32 v29, v41, v30
	v_add_f32_e32 v12, v12, v28
	v_mul_f32_e32 v28, v35, v49
	v_add_f32_e32 v14, v14, v29
	v_fma_f32 v28, v34, v48, -v28
	v_mul_f32_e32 v29, v34, v49
	v_fmac_f32_e32 v29, v35, v48
	v_add_f32_e32 v24, v24, v28
	;; [unrolled: 6-line block ×3, first 2 shown]
	v_mul_f32_e32 v28, v43, v49
	v_add_f32_e32 v16, v16, v32
	v_add_f32_e32 v22, v22, v29
	v_fma_f32 v28, v42, v48, -v28
	v_mul_f32_e32 v29, v42, v49
	v_fmac_f32_e32 v29, v43, v48
	v_add_f32_e32 v16, v16, v28
	v_mul_f32_e32 v28, v43, v51
	v_add_f32_e32 v18, v18, v29
	v_fma_f32 v32, v42, v50, -v28
	ds_read2_b64 v[28:31], v25 offset0:64 offset1:80
	v_mul_f32_e32 v33, v42, v51
	v_add_f32_e32 v12, v12, v32
	v_fmac_f32_e32 v33, v43, v50
	v_add_f32_e32 v14, v14, v33
	s_waitcnt lgkmcnt(0)
	v_mul_f32_e32 v32, v37, v29
	v_fma_f32 v32, v36, v28, -v32
	v_mul_f32_e32 v33, v36, v29
	v_add_f32_e32 v24, v24, v32
	v_mul_f32_e32 v32, v37, v31
	v_fmac_f32_e32 v33, v37, v28
	v_fma_f32 v32, v36, v30, -v32
	v_add_f32_e32 v26, v26, v33
	v_mul_f32_e32 v33, v36, v31
	v_add_f32_e32 v20, v20, v32
	v_mul_f32_e32 v32, v45, v29
	v_fmac_f32_e32 v33, v37, v30
	v_fma_f32 v32, v44, v28, -v32
	v_add_f32_e32 v22, v22, v33
	v_add_f32_e32 v16, v16, v32
	ds_read2_b64 v[32:35], v25 offset0:96 offset1:112
	v_mul_f32_e32 v29, v44, v29
	v_fmac_f32_e32 v29, v45, v28
	v_mul_f32_e32 v28, v45, v31
	v_add_f32_e32 v18, v18, v29
	v_fma_f32 v28, v44, v30, -v28
	v_mul_f32_e32 v29, v44, v31
	v_fmac_f32_e32 v29, v45, v30
	v_add_f32_e32 v12, v12, v28
	s_waitcnt lgkmcnt(0)
	v_mul_f32_e32 v28, v39, v33
	v_add_f32_e32 v14, v14, v29
	v_fma_f32 v28, v38, v32, -v28
	v_mul_f32_e32 v29, v38, v33
	v_fmac_f32_e32 v29, v39, v32
	v_add_f32_e32 v24, v24, v28
	v_mul_f32_e32 v28, v39, v35
	v_add_f32_e32 v26, v26, v29
	v_fma_f32 v28, v38, v34, -v28
	v_mul_f32_e32 v29, v38, v35
	v_fmac_f32_e32 v29, v39, v34
	v_add_f32_e32 v20, v20, v28
	;; [unrolled: 6-line block ×3, first 2 shown]
	v_mul_f32_e32 v28, v47, v35
	v_add_f32_e32 v18, v18, v29
	v_fma_f32 v32, v46, v34, -v28
	ds_read2_b64 v[28:31], v25 offset0:128 offset1:144
	v_mul_f32_e32 v33, v46, v35
	v_fmac_f32_e32 v33, v47, v34
	v_add_f32_e32 v12, v12, v32
	v_add_f32_e32 v14, v14, v33
	s_waitcnt lgkmcnt(0)
	v_mul_f32_e32 v32, v5, v29
	v_fma_f32 v32, v4, v28, -v32
	v_mul_f32_e32 v33, v4, v29
	v_fmac_f32_e32 v33, v5, v28
	v_add_f32_e32 v24, v24, v32
	v_mul_f32_e32 v32, v5, v31
	v_add_f32_e32 v26, v26, v33
	v_fma_f32 v36, v4, v30, -v32
	ds_read_b128 v[32:35], v27 offset:1056
	v_mul_f32_e32 v4, v4, v31
	ds_read2_b64 v[40:43], v25 offset0:160 offset1:176
	v_fmac_f32_e32 v4, v5, v30
	v_add_f32_e32 v5, v20, v36
	ds_read_b128 v[36:39], v27 offset:1072
	s_waitcnt lgkmcnt(2)
	v_mul_f32_e32 v20, v33, v29
	v_fma_f32 v20, v32, v28, -v20
	v_add_f32_e32 v16, v16, v20
	v_mul_f32_e32 v20, v33, v31
	v_add_f32_e32 v4, v22, v4
	v_mul_f32_e32 v22, v32, v29
	v_fma_f32 v20, v32, v30, -v20
	v_fmac_f32_e32 v22, v33, v28
	v_add_f32_e32 v12, v12, v20
	s_waitcnt lgkmcnt(1)
	v_mul_f32_e32 v20, v7, v41
	v_add_f32_e32 v18, v18, v22
	v_mul_f32_e32 v22, v32, v31
	v_fma_f32 v20, v6, v40, -v20
	v_fmac_f32_e32 v22, v33, v30
	v_add_f32_e32 v20, v24, v20
	v_mul_f32_e32 v24, v7, v43
	v_add_f32_e32 v14, v14, v22
	v_mul_f32_e32 v22, v6, v41
	v_fma_f32 v24, v6, v42, -v24
	v_mul_f32_e32 v6, v6, v43
	v_fmac_f32_e32 v22, v7, v40
	v_fmac_f32_e32 v6, v7, v42
	v_add_f32_e32 v22, v26, v22
	v_add_f32_e32 v26, v4, v6
	v_mul_f32_e32 v4, v35, v41
	v_add_f32_e32 v24, v5, v24
	v_fma_f32 v4, v34, v40, -v4
	v_mul_f32_e32 v5, v34, v41
	v_fmac_f32_e32 v5, v35, v40
	v_add_f32_e32 v16, v16, v4
	v_mul_f32_e32 v4, v35, v43
	v_add_f32_e32 v18, v18, v5
	v_fma_f32 v28, v34, v42, -v4
	ds_read2_b64 v[4:7], v25 offset0:192 offset1:208
	v_mul_f32_e32 v29, v34, v43
	v_add_f32_e32 v12, v12, v28
	v_fmac_f32_e32 v29, v35, v42
	v_add_f32_e32 v14, v14, v29
	s_waitcnt lgkmcnt(0)
	v_mul_f32_e32 v28, v1, v5
	v_fma_f32 v28, v0, v4, -v28
	v_mul_f32_e32 v29, v0, v5
	v_add_f32_e32 v20, v20, v28
	v_mul_f32_e32 v28, v1, v7
	v_fmac_f32_e32 v29, v1, v4
	v_fma_f32 v28, v0, v6, -v28
	v_mul_f32_e32 v0, v0, v7
	v_add_f32_e32 v22, v22, v29
	v_fmac_f32_e32 v0, v1, v6
	v_add_f32_e32 v1, v24, v28
	ds_read2_b64 v[28:31], v25 offset0:224 offset1:240
	v_mul_f32_e32 v24, v37, v5
	v_fma_f32 v24, v36, v4, -v24
	v_mul_f32_e32 v5, v36, v5
	v_fmac_f32_e32 v5, v37, v4
	v_add_f32_e32 v4, v16, v24
	v_mul_f32_e32 v16, v37, v7
	v_fma_f32 v16, v36, v6, -v16
	v_mul_f32_e32 v7, v36, v7
	v_fmac_f32_e32 v7, v37, v6
	v_add_f32_e32 v6, v12, v16
	s_waitcnt lgkmcnt(0)
	v_mul_f32_e32 v12, v3, v29
	v_fma_f32 v12, v2, v28, -v12
	v_add_f32_e32 v24, v20, v12
	v_mul_f32_e32 v12, v3, v31
	v_add_f32_e32 v7, v14, v7
	v_mul_f32_e32 v14, v2, v29
	v_fma_f32 v12, v2, v30, -v12
	v_mul_f32_e32 v2, v2, v31
	v_add_f32_e32 v0, v26, v0
	v_fmac_f32_e32 v14, v3, v28
	v_fmac_f32_e32 v2, v3, v30
	v_add_f32_e32 v26, v22, v14
	v_add_f32_e32 v20, v1, v12
	;; [unrolled: 1-line block ×3, first 2 shown]
	v_mul_f32_e32 v0, v39, v29
	v_mul_f32_e32 v1, v38, v29
	v_add_f32_e32 v5, v18, v5
	v_fma_f32 v0, v38, v28, -v0
	v_fmac_f32_e32 v1, v39, v28
	v_add_f32_e32 v16, v4, v0
	v_add_f32_e32 v18, v5, v1
	v_mul_f32_e32 v0, v39, v31
	v_mul_f32_e32 v1, v38, v31
	v_fma_f32 v0, v38, v30, -v0
	v_fmac_f32_e32 v1, v39, v30
	s_add_i32 s27, s27, 8
	v_add_f32_e32 v12, v6, v0
	v_add_f32_e32 v14, v7, v1
	v_lshl_add_u64 v[8:9], v[8:9], 0, 64
	s_cmp_lt_i32 s27, s25
	v_lshl_add_u64 v[10:11], v[10:11], 0, s[8:9]
	s_barrier
	s_cbranch_scc0 .LBB76_12
.LBB76_8:                               ; =>This Inner Loop Header: Depth=1
	v_add_u32_e32 v0, s27, v19
	v_cmp_gt_i32_e64 s[6:7], s25, v0
	s_and_b64 s[14:15], vcc, s[6:7]
	v_mov_b32_e32 v0, 0
	v_mov_b32_e32 v1, 0
	s_and_saveexec_b64 s[6:7], s[14:15]
	s_cbranch_execz .LBB76_10
; %bb.9:                                ;   in Loop: Header=BB76_8 Depth=1
	global_load_dwordx2 v[0:1], v[8:9], off
.LBB76_10:                              ;   in Loop: Header=BB76_8 Depth=1
	s_or_b64 exec, exec, s[6:7]
	s_waitcnt vmcnt(0)
	ds_write_b64 v21, v[0:1]
	v_add_u32_e32 v0, s27, v17
	v_cmp_gt_i32_e64 s[6:7], s25, v0
	s_and_b64 s[14:15], s[6:7], s[2:3]
	v_mov_b32_e32 v0, 0
	v_mov_b32_e32 v1, 0
	s_and_saveexec_b64 s[6:7], s[14:15]
	s_cbranch_execz .LBB76_7
; %bb.11:                               ;   in Loop: Header=BB76_8 Depth=1
	global_load_dwordx2 v[0:1], v[10:11], off
	s_branch .LBB76_7
.LBB76_12:
	s_load_dwordx2 s[2:3], s[0:1], 0x58
	s_load_dword s8, s[0:1], 0x50
	v_add_u32_e32 v0, s5, v15
	v_add_u32_e32 v10, s26, v13
	v_cmp_le_i32_e32 vcc, v0, v10
	s_waitcnt lgkmcnt(0)
	s_mul_i32 s1, s3, s4
	s_mul_hi_u32 s3, s2, s4
	s_mul_i32 s0, s2, s4
	s_add_i32 s1, s3, s1
	s_lshl_b64 s[0:1], s[0:1], 3
	s_add_u32 s4, s12, s0
	s_addc_u32 s5, s13, s1
	v_cmp_neq_f32_e64 s[0:1], s20, 0
	s_xor_b64 s[6:7], s[10:11], -1
	v_mad_i64_i32 v[2:3], s[10:11], v10, s8, 0
	s_or_b64 s[0:1], s[0:1], s[6:7]
	v_cmp_gt_i32_e64 s[2:3], s24, v10
	v_lshl_add_u64 v[4:5], v[2:3], 3, s[4:5]
	v_cndmask_b32_e64 v2, 0, 1, s[0:1]
	s_and_b64 s[10:11], s[2:3], vcc
	v_ashrrev_i32_e32 v1, 31, v0
	v_cmp_ne_u32_e64 s[0:1], 1, v2
	s_and_saveexec_b64 s[6:7], s[10:11]
	s_cbranch_execz .LBB76_16
; %bb.13:
	v_pk_mul_f32 v[6:7], v[26:27], s[22:23] op_sel:[0,1] op_sel_hi:[0,0]
	v_pk_fma_f32 v[2:3], v[24:25], s[22:23], v[6:7] op_sel_hi:[0,1,1] neg_lo:[0,0,1] neg_hi:[0,0,1]
	v_pk_fma_f32 v[8:9], v[24:25], s[22:23], v[6:7] op_sel_hi:[0,1,1]
	s_and_b64 vcc, exec, s[0:1]
	v_lshl_add_u64 v[6:7], v[0:1], 3, v[4:5]
	s_cbranch_vccnz .LBB76_15
; %bb.14:
	global_load_dwordx2 v[24:25], v[6:7], off
	s_mov_b32 s10, s21
	v_mov_b32_e32 v3, v9
	s_waitcnt vmcnt(0)
	v_pk_mul_f32 v[8:9], v[24:25], s[10:11] op_sel:[1,0] op_sel_hi:[0,0]
	v_pk_fma_f32 v[26:27], v[24:25], s[20:21], v[8:9] neg_lo:[0,0,1] neg_hi:[0,0,1]
	v_pk_fma_f32 v[8:9], v[24:25], s[20:21], v[8:9] op_sel_hi:[1,0,1]
	s_nop 0
	v_mov_b32_e32 v27, v9
	v_pk_add_f32 v[2:3], v[2:3], v[26:27]
	s_nop 0
	v_mov_b32_e32 v9, v3
.LBB76_15:
	v_mov_b32_e32 v3, v9
	global_store_dwordx2 v[6:7], v[2:3], off
.LBB76_16:
	s_or_b64 exec, exec, s[6:7]
	v_add_u32_e32 v2, 16, v0
	v_cmp_le_i32_e32 vcc, v2, v10
	s_and_b64 s[6:7], s[2:3], vcc
	v_ashrrev_i32_e32 v3, 31, v2
	s_and_saveexec_b64 s[2:3], s[6:7]
	s_cbranch_execz .LBB76_20
; %bb.17:
	v_pk_mul_f32 v[8:9], v[22:23], s[22:23] op_sel:[0,1] op_sel_hi:[0,0]
	v_pk_fma_f32 v[6:7], v[20:21], s[22:23], v[8:9] op_sel_hi:[0,1,1] neg_lo:[0,0,1] neg_hi:[0,0,1]
	v_pk_fma_f32 v[8:9], v[20:21], s[22:23], v[8:9] op_sel_hi:[0,1,1]
	s_and_b64 vcc, exec, s[0:1]
	v_lshl_add_u64 v[4:5], v[2:3], 3, v[4:5]
	s_cbranch_vccnz .LBB76_19
; %bb.18:
	global_load_dwordx2 v[20:21], v[4:5], off
	s_mov_b32 s6, s21
	v_mov_b32_e32 v7, v9
	s_waitcnt vmcnt(0)
	v_pk_mul_f32 v[8:9], v[20:21], s[6:7] op_sel:[1,0] op_sel_hi:[0,0]
	v_pk_fma_f32 v[22:23], v[20:21], s[20:21], v[8:9] neg_lo:[0,0,1] neg_hi:[0,0,1]
	v_pk_fma_f32 v[8:9], v[20:21], s[20:21], v[8:9] op_sel_hi:[1,0,1]
	s_nop 0
	v_mov_b32_e32 v23, v9
	v_pk_add_f32 v[6:7], v[6:7], v[22:23]
	s_nop 0
	v_mov_b32_e32 v9, v7
.LBB76_19:
	v_mov_b32_e32 v7, v9
	global_store_dwordx2 v[4:5], v[6:7], off
.LBB76_20:
	s_or_b64 exec, exec, s[2:3]
	v_add_u32_e32 v10, 16, v10
	v_cmp_gt_i32_e64 s[2:3], s24, v10
	v_mad_i64_i32 v[4:5], s[6:7], v10, s8, 0
	v_cmp_le_i32_e32 vcc, v0, v10
	v_lshl_add_u64 v[4:5], v[4:5], 3, s[4:5]
	s_and_b64 s[6:7], s[2:3], vcc
	s_and_saveexec_b64 s[4:5], s[6:7]
	s_cbranch_execz .LBB76_24
; %bb.21:
	v_pk_mul_f32 v[8:9], v[18:19], s[22:23] op_sel:[0,1] op_sel_hi:[0,0]
	v_pk_fma_f32 v[6:7], v[16:17], s[22:23], v[8:9] op_sel_hi:[0,1,1] neg_lo:[0,0,1] neg_hi:[0,0,1]
	v_pk_fma_f32 v[8:9], v[16:17], s[22:23], v[8:9] op_sel_hi:[0,1,1]
	s_and_b64 vcc, exec, s[0:1]
	v_lshl_add_u64 v[0:1], v[0:1], 3, v[4:5]
	s_cbranch_vccnz .LBB76_23
; %bb.22:
	global_load_dwordx2 v[16:17], v[0:1], off
	s_mov_b32 s6, s21
	v_mov_b32_e32 v7, v9
	s_waitcnt vmcnt(0)
	v_pk_mul_f32 v[8:9], v[16:17], s[6:7] op_sel:[1,0] op_sel_hi:[0,0]
	v_pk_fma_f32 v[18:19], v[16:17], s[20:21], v[8:9] neg_lo:[0,0,1] neg_hi:[0,0,1]
	v_pk_fma_f32 v[8:9], v[16:17], s[20:21], v[8:9] op_sel_hi:[1,0,1]
	s_nop 0
	v_mov_b32_e32 v19, v9
	v_pk_add_f32 v[6:7], v[6:7], v[18:19]
	s_nop 0
	v_mov_b32_e32 v9, v7
.LBB76_23:
	v_mov_b32_e32 v7, v9
	global_store_dwordx2 v[0:1], v[6:7], off
.LBB76_24:
	s_or_b64 exec, exec, s[4:5]
	v_cmp_le_i32_e32 vcc, v2, v10
	s_and_b64 s[2:3], s[2:3], vcc
	s_and_saveexec_b64 s[4:5], s[2:3]
	s_cbranch_execz .LBB76_28
; %bb.25:
	v_pk_mul_f32 v[6:7], v[14:15], s[22:23] op_sel:[0,1] op_sel_hi:[0,0]
	v_pk_fma_f32 v[0:1], v[12:13], s[22:23], v[6:7] op_sel_hi:[0,1,1] neg_lo:[0,0,1] neg_hi:[0,0,1]
	v_pk_fma_f32 v[6:7], v[12:13], s[22:23], v[6:7] op_sel_hi:[0,1,1]
	s_and_b64 vcc, exec, s[0:1]
	v_lshl_add_u64 v[2:3], v[2:3], 3, v[4:5]
	s_cbranch_vccnz .LBB76_27
; %bb.26:
	global_load_dwordx2 v[4:5], v[2:3], off
	s_mov_b32 s0, s21
	v_mov_b32_e32 v1, v7
	s_waitcnt vmcnt(0)
	v_pk_mul_f32 v[6:7], v[4:5], s[0:1] op_sel:[1,0] op_sel_hi:[0,0]
	v_pk_fma_f32 v[8:9], v[4:5], s[20:21], v[6:7] neg_lo:[0,0,1] neg_hi:[0,0,1]
	v_pk_fma_f32 v[4:5], v[4:5], s[20:21], v[6:7] op_sel_hi:[1,0,1]
	s_nop 0
	v_mov_b32_e32 v9, v5
	v_pk_add_f32 v[0:1], v[0:1], v[8:9]
	s_nop 0
	v_mov_b32_e32 v7, v1
.LBB76_27:
	v_mov_b32_e32 v1, v7
	global_store_dwordx2 v[2:3], v[0:1], off
.LBB76_28:
	s_endpgm
	.section	.rodata,"a",@progbits
	.p2align	6, 0x0
	.amdhsa_kernel _ZL29rocblas_internal_gemmt_kernelIiLi16ELi32ELi8ELc84ELc84ELc85ELb0ELb0E19rocblas_complex_numIfEPKS1_S3_PS1_EviT_T9_T10_S5_lS7_S5_lS6_T11_S5_li
		.amdhsa_group_segment_fixed_size 4096
		.amdhsa_private_segment_fixed_size 0
		.amdhsa_kernarg_size 100
		.amdhsa_user_sgpr_count 2
		.amdhsa_user_sgpr_dispatch_ptr 0
		.amdhsa_user_sgpr_queue_ptr 0
		.amdhsa_user_sgpr_kernarg_segment_ptr 1
		.amdhsa_user_sgpr_dispatch_id 0
		.amdhsa_user_sgpr_kernarg_preload_length 0
		.amdhsa_user_sgpr_kernarg_preload_offset 0
		.amdhsa_user_sgpr_private_segment_size 0
		.amdhsa_uses_dynamic_stack 0
		.amdhsa_enable_private_segment 0
		.amdhsa_system_sgpr_workgroup_id_x 1
		.amdhsa_system_sgpr_workgroup_id_y 1
		.amdhsa_system_sgpr_workgroup_id_z 1
		.amdhsa_system_sgpr_workgroup_info 0
		.amdhsa_system_vgpr_workitem_id 1
		.amdhsa_next_free_vgpr 52
		.amdhsa_next_free_sgpr 30
		.amdhsa_accum_offset 52
		.amdhsa_reserve_vcc 1
		.amdhsa_float_round_mode_32 0
		.amdhsa_float_round_mode_16_64 0
		.amdhsa_float_denorm_mode_32 3
		.amdhsa_float_denorm_mode_16_64 3
		.amdhsa_dx10_clamp 1
		.amdhsa_ieee_mode 1
		.amdhsa_fp16_overflow 0
		.amdhsa_tg_split 0
		.amdhsa_exception_fp_ieee_invalid_op 0
		.amdhsa_exception_fp_denorm_src 0
		.amdhsa_exception_fp_ieee_div_zero 0
		.amdhsa_exception_fp_ieee_overflow 0
		.amdhsa_exception_fp_ieee_underflow 0
		.amdhsa_exception_fp_ieee_inexact 0
		.amdhsa_exception_int_div_zero 0
	.end_amdhsa_kernel
	.section	.text._ZL29rocblas_internal_gemmt_kernelIiLi16ELi32ELi8ELc84ELc84ELc85ELb0ELb0E19rocblas_complex_numIfEPKS1_S3_PS1_EviT_T9_T10_S5_lS7_S5_lS6_T11_S5_li,"axG",@progbits,_ZL29rocblas_internal_gemmt_kernelIiLi16ELi32ELi8ELc84ELc84ELc85ELb0ELb0E19rocblas_complex_numIfEPKS1_S3_PS1_EviT_T9_T10_S5_lS7_S5_lS6_T11_S5_li,comdat
.Lfunc_end76:
	.size	_ZL29rocblas_internal_gemmt_kernelIiLi16ELi32ELi8ELc84ELc84ELc85ELb0ELb0E19rocblas_complex_numIfEPKS1_S3_PS1_EviT_T9_T10_S5_lS7_S5_lS6_T11_S5_li, .Lfunc_end76-_ZL29rocblas_internal_gemmt_kernelIiLi16ELi32ELi8ELc84ELc84ELc85ELb0ELb0E19rocblas_complex_numIfEPKS1_S3_PS1_EviT_T9_T10_S5_lS7_S5_lS6_T11_S5_li
                                        ; -- End function
	.set _ZL29rocblas_internal_gemmt_kernelIiLi16ELi32ELi8ELc84ELc84ELc85ELb0ELb0E19rocblas_complex_numIfEPKS1_S3_PS1_EviT_T9_T10_S5_lS7_S5_lS6_T11_S5_li.num_vgpr, 52
	.set _ZL29rocblas_internal_gemmt_kernelIiLi16ELi32ELi8ELc84ELc84ELc85ELb0ELb0E19rocblas_complex_numIfEPKS1_S3_PS1_EviT_T9_T10_S5_lS7_S5_lS6_T11_S5_li.num_agpr, 0
	.set _ZL29rocblas_internal_gemmt_kernelIiLi16ELi32ELi8ELc84ELc84ELc85ELb0ELb0E19rocblas_complex_numIfEPKS1_S3_PS1_EviT_T9_T10_S5_lS7_S5_lS6_T11_S5_li.numbered_sgpr, 30
	.set _ZL29rocblas_internal_gemmt_kernelIiLi16ELi32ELi8ELc84ELc84ELc85ELb0ELb0E19rocblas_complex_numIfEPKS1_S3_PS1_EviT_T9_T10_S5_lS7_S5_lS6_T11_S5_li.num_named_barrier, 0
	.set _ZL29rocblas_internal_gemmt_kernelIiLi16ELi32ELi8ELc84ELc84ELc85ELb0ELb0E19rocblas_complex_numIfEPKS1_S3_PS1_EviT_T9_T10_S5_lS7_S5_lS6_T11_S5_li.private_seg_size, 0
	.set _ZL29rocblas_internal_gemmt_kernelIiLi16ELi32ELi8ELc84ELc84ELc85ELb0ELb0E19rocblas_complex_numIfEPKS1_S3_PS1_EviT_T9_T10_S5_lS7_S5_lS6_T11_S5_li.uses_vcc, 1
	.set _ZL29rocblas_internal_gemmt_kernelIiLi16ELi32ELi8ELc84ELc84ELc85ELb0ELb0E19rocblas_complex_numIfEPKS1_S3_PS1_EviT_T9_T10_S5_lS7_S5_lS6_T11_S5_li.uses_flat_scratch, 0
	.set _ZL29rocblas_internal_gemmt_kernelIiLi16ELi32ELi8ELc84ELc84ELc85ELb0ELb0E19rocblas_complex_numIfEPKS1_S3_PS1_EviT_T9_T10_S5_lS7_S5_lS6_T11_S5_li.has_dyn_sized_stack, 0
	.set _ZL29rocblas_internal_gemmt_kernelIiLi16ELi32ELi8ELc84ELc84ELc85ELb0ELb0E19rocblas_complex_numIfEPKS1_S3_PS1_EviT_T9_T10_S5_lS7_S5_lS6_T11_S5_li.has_recursion, 0
	.set _ZL29rocblas_internal_gemmt_kernelIiLi16ELi32ELi8ELc84ELc84ELc85ELb0ELb0E19rocblas_complex_numIfEPKS1_S3_PS1_EviT_T9_T10_S5_lS7_S5_lS6_T11_S5_li.has_indirect_call, 0
	.section	.AMDGPU.csdata,"",@progbits
; Kernel info:
; codeLenInByte = 2468
; TotalNumSgprs: 36
; NumVgprs: 52
; NumAgprs: 0
; TotalNumVgprs: 52
; ScratchSize: 0
; MemoryBound: 0
; FloatMode: 240
; IeeeMode: 1
; LDSByteSize: 4096 bytes/workgroup (compile time only)
; SGPRBlocks: 4
; VGPRBlocks: 6
; NumSGPRsForWavesPerEU: 36
; NumVGPRsForWavesPerEU: 52
; AccumOffset: 52
; Occupancy: 8
; WaveLimiterHint : 0
; COMPUTE_PGM_RSRC2:SCRATCH_EN: 0
; COMPUTE_PGM_RSRC2:USER_SGPR: 2
; COMPUTE_PGM_RSRC2:TRAP_HANDLER: 0
; COMPUTE_PGM_RSRC2:TGID_X_EN: 1
; COMPUTE_PGM_RSRC2:TGID_Y_EN: 1
; COMPUTE_PGM_RSRC2:TGID_Z_EN: 1
; COMPUTE_PGM_RSRC2:TIDIG_COMP_CNT: 1
; COMPUTE_PGM_RSRC3_GFX90A:ACCUM_OFFSET: 12
; COMPUTE_PGM_RSRC3_GFX90A:TG_SPLIT: 0
	.section	.text._ZL29rocblas_internal_gemmt_kernelIiLi16ELi32ELi8ELc84ELc67ELc85ELb0ELb1E19rocblas_complex_numIfEPKS1_S3_PS1_EviT_T9_T10_S5_lS7_S5_lS6_T11_S5_li,"axG",@progbits,_ZL29rocblas_internal_gemmt_kernelIiLi16ELi32ELi8ELc84ELc67ELc85ELb0ELb1E19rocblas_complex_numIfEPKS1_S3_PS1_EviT_T9_T10_S5_lS7_S5_lS6_T11_S5_li,comdat
	.globl	_ZL29rocblas_internal_gemmt_kernelIiLi16ELi32ELi8ELc84ELc67ELc85ELb0ELb1E19rocblas_complex_numIfEPKS1_S3_PS1_EviT_T9_T10_S5_lS7_S5_lS6_T11_S5_li ; -- Begin function _ZL29rocblas_internal_gemmt_kernelIiLi16ELi32ELi8ELc84ELc67ELc85ELb0ELb1E19rocblas_complex_numIfEPKS1_S3_PS1_EviT_T9_T10_S5_lS7_S5_lS6_T11_S5_li
	.p2align	8
	.type	_ZL29rocblas_internal_gemmt_kernelIiLi16ELi32ELi8ELc84ELc67ELc85ELb0ELb1E19rocblas_complex_numIfEPKS1_S3_PS1_EviT_T9_T10_S5_lS7_S5_lS6_T11_S5_li,@function
_ZL29rocblas_internal_gemmt_kernelIiLi16ELi32ELi8ELc84ELc67ELc85ELb0ELb1E19rocblas_complex_numIfEPKS1_S3_PS1_EviT_T9_T10_S5_lS7_S5_lS6_T11_S5_li: ; @_ZL29rocblas_internal_gemmt_kernelIiLi16ELi32ELi8ELc84ELc67ELc85ELb0ELb1E19rocblas_complex_numIfEPKS1_S3_PS1_EviT_T9_T10_S5_lS7_S5_lS6_T11_S5_li
; %bb.0:
	s_load_dwordx4 s[8:11], s[0:1], 0x38
	s_load_dwordx4 s[12:15], s[0:1], 0x8
	s_waitcnt lgkmcnt(0)
	s_load_dwordx2 s[6:7], s[10:11], 0x0
	s_load_dwordx2 s[22:23], s[0:1], 0x0
	;; [unrolled: 1-line block ×3, first 2 shown]
	s_waitcnt lgkmcnt(0)
	s_and_b32 s5, s7, 0x7fffffff
	s_cmp_eq_u32 s5, 0
	v_cmp_eq_f32_e64 s[12:13], s6, 1.0
	s_cselect_b64 s[10:11], -1, 0
	s_and_b64 s[12:13], s[12:13], s[10:11]
	s_and_b64 vcc, exec, s[12:13]
	s_cbranch_vccnz .LBB77_2
; %bb.1:
	s_mov_b64 s[12:13], -1
	s_cbranch_execz .LBB77_3
	s_branch .LBB77_4
.LBB77_2:
	s_mov_b64 s[12:13], 0
.LBB77_3:
	s_cmp_lg_u32 s23, 0
	v_cmp_neq_f32_e64 s[16:17], s20, 0
	v_cmp_neq_f32_e64 s[18:19], s21, 0
	s_cselect_b64 s[12:13], -1, 0
	s_or_b64 s[16:17], s[16:17], s[18:19]
	s_and_b64 s[12:13], s[12:13], s[16:17]
.LBB77_4:
	s_andn2_b64 vcc, exec, s[12:13]
	s_cbranch_vccnz .LBB77_30
; %bb.5:
	s_lshl_b32 s5, s2, 5
	s_lshl_b32 s24, s3, 5
	v_cmp_eq_f32_e64 s[2:3], s20, 0
	v_cmp_eq_f32_e64 s[16:17], s21, 0
	s_load_dwordx2 s[12:13], s[0:1], 0x48
	s_and_b64 s[2:3], s[2:3], s[16:17]
	s_cmp_lt_i32 s23, 1
	s_cselect_b64 s[16:17], -1, 0
	s_or_b64 s[2:3], s[2:3], s[16:17]
	v_and_b32_e32 v17, 0x3ff, v0
	v_bfe_u32 v15, v0, 10, 10
	s_mov_b32 s25, 0
	v_mov_b32_e32 v24, 0
	s_and_b64 vcc, exec, s[2:3]
	v_mov_b32_e32 v26, 0
	v_mov_b32_e32 v20, 0
	;; [unrolled: 1-line block ×7, first 2 shown]
	s_cbranch_vccnz .LBB77_14
; %bb.6:
	v_lshl_add_u32 v1, v15, 4, v17
	v_and_b32_e32 v3, 31, v1
	v_lshrrev_b32_e32 v21, 5, v1
	v_lshrrev_b32_e32 v2, 3, v1
	v_or_b32_e32 v1, s5, v3
	s_load_dword s28, s[0:1], 0x18
	s_load_dword s26, s[0:1], 0x30
	s_load_dwordx4 s[16:19], s[0:1], 0x20
	v_and_b32_e32 v19, 7, v17
	v_cmp_gt_i32_e32 vcc, s22, v1
	v_lshlrev_b32_e32 v1, 3, v3
	v_lshl_or_b32 v23, v21, 8, v1
	v_lshlrev_b32_e32 v1, 3, v19
	v_add_u32_e32 v0, s24, v2
	v_lshl_or_b32 v1, v2, 6, v1
	v_mov_b32_e32 v2, 0x800
	v_lshl_add_u32 v28, v15, 6, v2
	v_add_u32_e32 v2, s5, v3
	s_waitcnt lgkmcnt(0)
	v_mad_i64_i32 v[2:3], s[28:29], s28, v2, 0
	s_mul_i32 s17, s17, s4
	s_mul_hi_u32 s28, s16, s4
	s_add_i32 s17, s28, s17
	s_mul_i32 s16, s16, s4
	s_lshl_b64 s[16:17], s[16:17], 3
	v_lshl_add_u64 v[2:3], v[2:3], 3, s[16:17]
	v_lshlrev_b32_e32 v8, 3, v21
	v_mov_b32_e32 v9, 0
	v_lshl_add_u64 v[2:3], v[2:3], 0, v[8:9]
	v_lshl_add_u64 v[10:11], s[14:15], 0, v[2:3]
	s_mul_i32 s9, s9, s4
	s_mul_hi_u32 s14, s8, s4
	s_add_i32 s9, s14, s9
	v_mad_i64_i32 v[2:3], s[14:15], s26, v19, 0
	s_mul_i32 s8, s8, s4
	v_lshlrev_b64 v[2:3], 3, v[2:3]
	v_add_u32_e32 v25, 0x800, v1
	v_ashrrev_i32_e32 v1, 31, v0
	v_lshl_add_u64 v[2:3], s[8:9], 3, v[2:3]
	v_cmp_gt_i32_e64 s[2:3], s22, v0
	v_lshl_add_u64 v[0:1], v[0:1], 3, v[2:3]
	s_ashr_i32 s27, s26, 31
	v_lshl_add_u64 v[0:1], s[18:19], 0, v[0:1]
	v_lshlrev_b32_e32 v27, 3, v17
	v_lshl_add_u64 v[12:13], v[0:1], 0, 4
	s_lshl_b64 s[8:9], s[26:27], 6
	s_xor_b64 s[14:15], s[2:3], -1
	v_mov_b32_e32 v14, 0
	v_mov_b32_e32 v8, 0
	;; [unrolled: 1-line block ×8, first 2 shown]
	s_branch .LBB77_8
.LBB77_7:                               ;   in Loop: Header=BB77_8 Depth=1
	s_or_b64 exec, exec, s[2:3]
	ds_write_b32 v25, v0 offset:4
	s_waitcnt lgkmcnt(0)
	s_barrier
	ds_read2_b64 v[30:33], v27 offset1:16
	ds_read_b128 v[34:37], v28
	ds_read_b128 v[38:41], v28 offset:16
	ds_read_b128 v[4:7], v28 offset:32
	ds_read_b128 v[0:3], v28 offset:48
	ds_read2_b64 v[50:53], v27 offset0:32 offset1:48
	s_waitcnt lgkmcnt(4)
	v_mul_f32_e32 v42, v34, v31
	v_fmac_f32_e32 v42, v35, v30
	v_add_f32_e32 v26, v26, v42
	ds_read_b128 v[42:45], v28 offset:1024
	ds_read_b128 v[46:49], v28 offset:1040
	v_mul_f32_e32 v29, v35, v31
	v_fma_f32 v29, v34, v30, -v29
	v_add_f32_e32 v24, v24, v29
	v_mul_f32_e32 v29, v35, v33
	v_fma_f32 v29, v34, v32, -v29
	v_add_f32_e32 v20, v20, v29
	s_waitcnt lgkmcnt(1)
	v_mul_f32_e32 v29, v43, v31
	v_mul_f32_e32 v31, v42, v31
	v_fma_f32 v29, v42, v30, -v29
	v_fmac_f32_e32 v31, v43, v30
	v_mul_f32_e32 v30, v42, v33
	v_fmac_f32_e32 v30, v43, v32
	v_add_f32_e32 v14, v14, v30
	v_mul_f32_e32 v30, v36, v51
	v_mul_f32_e32 v34, v34, v33
	v_fmac_f32_e32 v30, v37, v50
	v_fmac_f32_e32 v34, v35, v32
	v_add_f32_e32 v26, v26, v30
	v_mul_f32_e32 v30, v36, v53
	v_add_f32_e32 v22, v22, v34
	v_add_f32_e32 v16, v16, v29
	v_mul_f32_e32 v29, v43, v33
	v_fmac_f32_e32 v30, v37, v52
	v_fma_f32 v29, v42, v32, -v29
	v_add_f32_e32 v22, v22, v30
	v_mul_f32_e32 v30, v44, v51
	v_add_f32_e32 v18, v18, v31
	v_add_f32_e32 v8, v8, v29
	v_mul_f32_e32 v29, v37, v51
	v_fmac_f32_e32 v30, v45, v50
	v_fma_f32 v29, v36, v50, -v29
	v_add_f32_e32 v18, v18, v30
	ds_read2_b64 v[30:33], v27 offset0:64 offset1:80
	v_add_f32_e32 v24, v24, v29
	v_mul_f32_e32 v29, v37, v53
	v_fma_f32 v29, v36, v52, -v29
	v_add_f32_e32 v20, v20, v29
	v_mul_f32_e32 v29, v45, v51
	v_mul_f32_e32 v34, v44, v53
	v_fma_f32 v29, v44, v50, -v29
	v_fmac_f32_e32 v34, v45, v52
	v_add_f32_e32 v16, v16, v29
	v_mul_f32_e32 v29, v45, v53
	v_add_f32_e32 v14, v14, v34
	s_waitcnt lgkmcnt(0)
	v_mul_f32_e32 v34, v38, v31
	v_fma_f32 v29, v44, v52, -v29
	v_fmac_f32_e32 v34, v39, v30
	v_add_f32_e32 v8, v8, v29
	v_mul_f32_e32 v29, v39, v31
	v_add_f32_e32 v26, v26, v34
	v_mul_f32_e32 v34, v38, v33
	v_fma_f32 v29, v38, v30, -v29
	v_fmac_f32_e32 v34, v39, v32
	v_add_f32_e32 v24, v24, v29
	v_mul_f32_e32 v29, v39, v33
	v_add_f32_e32 v22, v22, v34
	ds_read2_b64 v[34:37], v27 offset0:96 offset1:112
	v_fma_f32 v29, v38, v32, -v29
	v_add_f32_e32 v20, v20, v29
	v_mul_f32_e32 v29, v47, v31
	v_mul_f32_e32 v31, v46, v31
	v_fma_f32 v29, v46, v30, -v29
	v_fmac_f32_e32 v31, v47, v30
	v_mul_f32_e32 v30, v46, v33
	v_fmac_f32_e32 v30, v47, v32
	v_add_f32_e32 v14, v14, v30
	s_waitcnt lgkmcnt(0)
	v_mul_f32_e32 v30, v40, v35
	v_fmac_f32_e32 v30, v41, v34
	v_add_f32_e32 v16, v16, v29
	v_mul_f32_e32 v29, v47, v33
	v_add_f32_e32 v26, v26, v30
	v_mul_f32_e32 v30, v40, v37
	v_fma_f32 v29, v46, v32, -v29
	v_fmac_f32_e32 v30, v41, v36
	v_add_f32_e32 v8, v8, v29
	v_mul_f32_e32 v29, v41, v35
	v_add_f32_e32 v22, v22, v30
	v_mul_f32_e32 v30, v48, v35
	v_add_f32_e32 v18, v18, v31
	v_fma_f32 v29, v40, v34, -v29
	v_fmac_f32_e32 v30, v49, v34
	v_add_f32_e32 v24, v24, v29
	v_mul_f32_e32 v29, v41, v37
	v_add_f32_e32 v18, v18, v30
	ds_read2_b64 v[30:33], v27 offset0:128 offset1:144
	v_fma_f32 v29, v40, v36, -v29
	v_add_f32_e32 v20, v20, v29
	v_mul_f32_e32 v29, v49, v35
	v_fma_f32 v29, v48, v34, -v29
	v_mul_f32_e32 v34, v48, v37
	v_fmac_f32_e32 v34, v49, v36
	v_add_f32_e32 v14, v14, v34
	s_waitcnt lgkmcnt(0)
	v_mul_f32_e32 v34, v4, v31
	v_add_f32_e32 v16, v16, v29
	v_mul_f32_e32 v29, v49, v37
	v_fmac_f32_e32 v34, v5, v30
	v_fma_f32 v29, v48, v36, -v29
	v_add_f32_e32 v26, v26, v34
	ds_read_b128 v[34:37], v28 offset:1056
	ds_read_b128 v[38:41], v28 offset:1072
	v_add_f32_e32 v8, v8, v29
	v_mul_f32_e32 v29, v5, v31
	v_fma_f32 v29, v4, v30, -v29
	v_add_f32_e32 v24, v24, v29
	v_mul_f32_e32 v29, v5, v33
	v_fma_f32 v29, v4, v32, -v29
	v_mul_f32_e32 v4, v4, v33
	ds_read2_b64 v[42:45], v27 offset0:160 offset1:176
	v_fmac_f32_e32 v4, v5, v32
	v_add_f32_e32 v5, v20, v29
	s_waitcnt lgkmcnt(2)
	v_mul_f32_e32 v20, v35, v31
	v_fma_f32 v20, v34, v30, -v20
	v_add_f32_e32 v16, v16, v20
	v_mul_f32_e32 v20, v35, v33
	v_add_f32_e32 v4, v22, v4
	v_mul_f32_e32 v22, v34, v31
	v_fma_f32 v20, v34, v32, -v20
	v_fmac_f32_e32 v22, v35, v30
	v_add_f32_e32 v8, v8, v20
	s_waitcnt lgkmcnt(0)
	v_mul_f32_e32 v20, v7, v43
	v_add_f32_e32 v18, v18, v22
	v_mul_f32_e32 v22, v34, v33
	v_fma_f32 v20, v6, v42, -v20
	v_fmac_f32_e32 v22, v35, v32
	v_add_f32_e32 v20, v24, v20
	v_mul_f32_e32 v24, v7, v45
	v_add_f32_e32 v14, v14, v22
	v_mul_f32_e32 v22, v6, v43
	v_fma_f32 v24, v6, v44, -v24
	v_mul_f32_e32 v6, v6, v45
	v_fmac_f32_e32 v22, v7, v42
	v_fmac_f32_e32 v6, v7, v44
	v_add_f32_e32 v22, v26, v22
	v_add_f32_e32 v26, v4, v6
	v_mul_f32_e32 v4, v37, v43
	v_add_f32_e32 v24, v5, v24
	v_fma_f32 v4, v36, v42, -v4
	v_mul_f32_e32 v5, v36, v43
	v_fmac_f32_e32 v5, v37, v42
	v_add_f32_e32 v16, v16, v4
	v_mul_f32_e32 v4, v37, v45
	v_add_f32_e32 v18, v18, v5
	v_fma_f32 v29, v36, v44, -v4
	ds_read2_b64 v[4:7], v27 offset0:192 offset1:208
	v_mul_f32_e32 v30, v36, v45
	v_fmac_f32_e32 v30, v37, v44
	v_add_f32_e32 v8, v8, v29
	v_add_f32_e32 v14, v14, v30
	s_waitcnt lgkmcnt(0)
	v_mul_f32_e32 v29, v1, v5
	v_fma_f32 v29, v0, v4, -v29
	v_mul_f32_e32 v30, v0, v5
	v_fmac_f32_e32 v30, v1, v4
	v_add_f32_e32 v20, v20, v29
	v_mul_f32_e32 v29, v1, v7
	v_add_f32_e32 v22, v22, v30
	v_fma_f32 v29, v0, v6, -v29
	v_mul_f32_e32 v0, v0, v7
	ds_read2_b64 v[30:33], v27 offset0:224 offset1:240
	v_fmac_f32_e32 v0, v1, v6
	v_add_f32_e32 v1, v24, v29
	v_mul_f32_e32 v24, v39, v5
	v_fma_f32 v24, v38, v4, -v24
	v_mul_f32_e32 v5, v38, v5
	v_fmac_f32_e32 v5, v39, v4
	v_add_f32_e32 v4, v16, v24
	v_mul_f32_e32 v16, v39, v7
	v_fma_f32 v16, v38, v6, -v16
	v_mul_f32_e32 v7, v38, v7
	v_fmac_f32_e32 v7, v39, v6
	v_add_f32_e32 v6, v8, v16
	s_waitcnt lgkmcnt(0)
	v_mul_f32_e32 v8, v3, v31
	v_fma_f32 v8, v2, v30, -v8
	v_add_f32_e32 v24, v20, v8
	v_mul_f32_e32 v8, v3, v33
	v_add_f32_e32 v7, v14, v7
	v_mul_f32_e32 v14, v2, v31
	v_fma_f32 v8, v2, v32, -v8
	v_mul_f32_e32 v2, v2, v33
	v_add_f32_e32 v0, v26, v0
	v_fmac_f32_e32 v14, v3, v30
	v_fmac_f32_e32 v2, v3, v32
	v_add_f32_e32 v26, v22, v14
	v_add_f32_e32 v20, v1, v8
	;; [unrolled: 1-line block ×3, first 2 shown]
	v_mul_f32_e32 v0, v41, v31
	v_mul_f32_e32 v1, v40, v31
	v_add_f32_e32 v5, v18, v5
	v_fma_f32 v0, v40, v30, -v0
	v_fmac_f32_e32 v1, v41, v30
	v_add_f32_e32 v16, v4, v0
	v_add_f32_e32 v18, v5, v1
	v_mul_f32_e32 v0, v41, v33
	v_mul_f32_e32 v1, v40, v33
	v_fma_f32 v0, v40, v32, -v0
	v_fmac_f32_e32 v1, v41, v32
	s_add_i32 s25, s25, 8
	v_add_f32_e32 v8, v6, v0
	v_add_f32_e32 v14, v7, v1
	v_lshl_add_u64 v[10:11], v[10:11], 0, 64
	s_cmp_lt_i32 s25, s23
	v_lshl_add_u64 v[12:13], v[12:13], 0, s[8:9]
	s_barrier
	s_cbranch_scc0 .LBB77_14
.LBB77_8:                               ; =>This Inner Loop Header: Depth=1
	v_add_u32_e32 v0, s25, v21
	v_cmp_gt_i32_e64 s[2:3], s23, v0
	s_and_b64 s[16:17], vcc, s[2:3]
	v_mov_b32_e32 v0, 0
	v_mov_b32_e32 v1, 0
	s_and_saveexec_b64 s[2:3], s[16:17]
	s_cbranch_execz .LBB77_10
; %bb.9:                                ;   in Loop: Header=BB77_8 Depth=1
	global_load_dwordx2 v[0:1], v[10:11], off
.LBB77_10:                              ;   in Loop: Header=BB77_8 Depth=1
	s_or_b64 exec, exec, s[2:3]
	s_waitcnt vmcnt(0)
	ds_write_b64 v23, v[0:1]
	v_add_u32_e32 v0, s25, v19
	v_cmp_le_i32_e64 s[2:3], s23, v0
	s_or_b64 s[2:3], s[2:3], s[14:15]
	s_and_saveexec_b64 s[16:17], s[2:3]
	s_xor_b64 s[2:3], exec, s[16:17]
; %bb.11:                               ;   in Loop: Header=BB77_8 Depth=1
	ds_write_b32 v25, v9
; %bb.12:                               ;   in Loop: Header=BB77_8 Depth=1
	s_or_saveexec_b64 s[2:3], s[2:3]
	v_mov_b32_e32 v0, 0
	s_xor_b64 exec, exec, s[2:3]
	s_cbranch_execz .LBB77_7
; %bb.13:                               ;   in Loop: Header=BB77_8 Depth=1
	global_load_dwordx2 v[2:3], v[12:13], off offset:-4
	s_waitcnt vmcnt(0)
	v_xor_b32_e32 v0, 0x80000000, v3
	ds_write_b32 v25, v2
	s_branch .LBB77_7
.LBB77_14:
	s_load_dwordx2 s[2:3], s[0:1], 0x58
	s_load_dword s14, s[0:1], 0x50
	v_add_u32_e32 v0, s5, v17
	v_add_u32_e32 v9, s24, v15
	v_cmp_le_i32_e32 vcc, v0, v9
	s_waitcnt lgkmcnt(0)
	s_mul_i32 s1, s3, s4
	s_mul_hi_u32 s3, s2, s4
	s_mul_i32 s0, s2, s4
	s_add_i32 s1, s3, s1
	s_lshl_b64 s[0:1], s[0:1], 3
	s_add_u32 s4, s12, s0
	s_addc_u32 s5, s13, s1
	v_cmp_neq_f32_e64 s[0:1], s6, 0
	s_xor_b64 s[8:9], s[10:11], -1
	v_mad_i64_i32 v[2:3], s[10:11], v9, s14, 0
	s_or_b64 s[0:1], s[0:1], s[8:9]
	v_cmp_gt_i32_e64 s[2:3], s22, v9
	v_lshl_add_u64 v[4:5], v[2:3], 3, s[4:5]
	v_cndmask_b32_e64 v2, 0, 1, s[0:1]
	s_and_b64 s[10:11], s[2:3], vcc
	v_ashrrev_i32_e32 v1, 31, v0
	v_cmp_ne_u32_e64 s[0:1], 1, v2
	s_and_saveexec_b64 s[8:9], s[10:11]
	s_cbranch_execz .LBB77_18
; %bb.15:
	v_pk_mul_f32 v[6:7], v[26:27], s[20:21] op_sel:[0,1] op_sel_hi:[0,0]
	v_pk_fma_f32 v[2:3], v[24:25], s[20:21], v[6:7] op_sel_hi:[0,1,1] neg_lo:[0,0,1] neg_hi:[0,0,1]
	v_pk_fma_f32 v[10:11], v[24:25], s[20:21], v[6:7] op_sel_hi:[0,1,1]
	s_and_b64 vcc, exec, s[0:1]
	v_lshl_add_u64 v[6:7], v[0:1], 3, v[4:5]
	s_cbranch_vccnz .LBB77_17
; %bb.16:
	global_load_dwordx2 v[12:13], v[6:7], off
	s_mov_b32 s10, s7
	v_mov_b32_e32 v3, v11
	s_waitcnt vmcnt(0)
	v_pk_mul_f32 v[10:11], v[12:13], s[10:11] op_sel:[1,0] op_sel_hi:[0,0]
	v_pk_fma_f32 v[24:25], v[12:13], s[6:7], v[10:11] neg_lo:[0,0,1] neg_hi:[0,0,1]
	v_pk_fma_f32 v[10:11], v[12:13], s[6:7], v[10:11] op_sel_hi:[1,0,1]
	s_nop 0
	v_mov_b32_e32 v25, v11
	v_pk_add_f32 v[2:3], v[2:3], v[24:25]
	s_nop 0
	v_mov_b32_e32 v11, v3
.LBB77_17:
	v_mov_b32_e32 v3, v11
	global_store_dwordx2 v[6:7], v[2:3], off
.LBB77_18:
	s_or_b64 exec, exec, s[8:9]
	v_add_u32_e32 v2, 16, v0
	v_cmp_le_i32_e32 vcc, v2, v9
	s_and_b64 s[8:9], s[2:3], vcc
	v_ashrrev_i32_e32 v3, 31, v2
	s_and_saveexec_b64 s[2:3], s[8:9]
	s_cbranch_execz .LBB77_22
; %bb.19:
	v_pk_mul_f32 v[10:11], v[22:23], s[20:21] op_sel:[0,1] op_sel_hi:[0,0]
	v_pk_fma_f32 v[6:7], v[20:21], s[20:21], v[10:11] op_sel_hi:[0,1,1] neg_lo:[0,0,1] neg_hi:[0,0,1]
	v_pk_fma_f32 v[10:11], v[20:21], s[20:21], v[10:11] op_sel_hi:[0,1,1]
	s_and_b64 vcc, exec, s[0:1]
	v_lshl_add_u64 v[4:5], v[2:3], 3, v[4:5]
	s_cbranch_vccnz .LBB77_21
; %bb.20:
	global_load_dwordx2 v[12:13], v[4:5], off
	s_mov_b32 s8, s7
	v_mov_b32_e32 v7, v11
	s_waitcnt vmcnt(0)
	v_pk_mul_f32 v[10:11], v[12:13], s[8:9] op_sel:[1,0] op_sel_hi:[0,0]
	v_pk_fma_f32 v[20:21], v[12:13], s[6:7], v[10:11] neg_lo:[0,0,1] neg_hi:[0,0,1]
	v_pk_fma_f32 v[10:11], v[12:13], s[6:7], v[10:11] op_sel_hi:[1,0,1]
	s_nop 0
	v_mov_b32_e32 v21, v11
	v_pk_add_f32 v[6:7], v[6:7], v[20:21]
	s_nop 0
	v_mov_b32_e32 v11, v7
.LBB77_21:
	v_mov_b32_e32 v7, v11
	global_store_dwordx2 v[4:5], v[6:7], off
.LBB77_22:
	s_or_b64 exec, exec, s[2:3]
	v_add_u32_e32 v9, 16, v9
	v_cmp_gt_i32_e64 s[2:3], s22, v9
	v_mad_i64_i32 v[4:5], s[8:9], v9, s14, 0
	v_cmp_le_i32_e32 vcc, v0, v9
	v_lshl_add_u64 v[4:5], v[4:5], 3, s[4:5]
	s_and_b64 s[8:9], s[2:3], vcc
	s_and_saveexec_b64 s[4:5], s[8:9]
	s_cbranch_execz .LBB77_26
; %bb.23:
	v_pk_mul_f32 v[10:11], v[18:19], s[20:21] op_sel:[0,1] op_sel_hi:[0,0]
	v_pk_fma_f32 v[6:7], v[16:17], s[20:21], v[10:11] op_sel_hi:[0,1,1] neg_lo:[0,0,1] neg_hi:[0,0,1]
	v_pk_fma_f32 v[10:11], v[16:17], s[20:21], v[10:11] op_sel_hi:[0,1,1]
	s_and_b64 vcc, exec, s[0:1]
	v_lshl_add_u64 v[0:1], v[0:1], 3, v[4:5]
	s_cbranch_vccnz .LBB77_25
; %bb.24:
	global_load_dwordx2 v[12:13], v[0:1], off
	s_mov_b32 s8, s7
	v_mov_b32_e32 v7, v11
	s_waitcnt vmcnt(0)
	v_pk_mul_f32 v[10:11], v[12:13], s[8:9] op_sel:[1,0] op_sel_hi:[0,0]
	v_pk_fma_f32 v[16:17], v[12:13], s[6:7], v[10:11] neg_lo:[0,0,1] neg_hi:[0,0,1]
	v_pk_fma_f32 v[10:11], v[12:13], s[6:7], v[10:11] op_sel_hi:[1,0,1]
	s_nop 0
	v_mov_b32_e32 v17, v11
	v_pk_add_f32 v[6:7], v[6:7], v[16:17]
	s_nop 0
	v_mov_b32_e32 v11, v7
.LBB77_25:
	v_mov_b32_e32 v7, v11
	global_store_dwordx2 v[0:1], v[6:7], off
.LBB77_26:
	s_or_b64 exec, exec, s[4:5]
	v_cmp_le_i32_e32 vcc, v2, v9
	s_and_b64 s[2:3], s[2:3], vcc
	s_and_saveexec_b64 s[4:5], s[2:3]
	s_cbranch_execz .LBB77_30
; %bb.27:
	v_pk_mul_f32 v[6:7], v[14:15], s[20:21] op_sel:[0,1] op_sel_hi:[0,0]
	v_pk_fma_f32 v[0:1], v[8:9], s[20:21], v[6:7] op_sel_hi:[0,1,1] neg_lo:[0,0,1] neg_hi:[0,0,1]
	v_pk_fma_f32 v[6:7], v[8:9], s[20:21], v[6:7] op_sel_hi:[0,1,1]
	s_and_b64 vcc, exec, s[0:1]
	v_lshl_add_u64 v[2:3], v[2:3], 3, v[4:5]
	s_cbranch_vccnz .LBB77_29
; %bb.28:
	global_load_dwordx2 v[4:5], v[2:3], off
	s_mov_b32 s0, s7
	v_mov_b32_e32 v1, v7
	s_waitcnt vmcnt(0)
	v_pk_mul_f32 v[6:7], v[4:5], s[0:1] op_sel:[1,0] op_sel_hi:[0,0]
	v_pk_fma_f32 v[8:9], v[4:5], s[6:7], v[6:7] neg_lo:[0,0,1] neg_hi:[0,0,1]
	v_pk_fma_f32 v[4:5], v[4:5], s[6:7], v[6:7] op_sel_hi:[1,0,1]
	s_nop 0
	v_mov_b32_e32 v9, v5
	v_pk_add_f32 v[0:1], v[0:1], v[8:9]
	s_nop 0
	v_mov_b32_e32 v7, v1
.LBB77_29:
	v_mov_b32_e32 v1, v7
	global_store_dwordx2 v[2:3], v[0:1], off
.LBB77_30:
	s_endpgm
	.section	.rodata,"a",@progbits
	.p2align	6, 0x0
	.amdhsa_kernel _ZL29rocblas_internal_gemmt_kernelIiLi16ELi32ELi8ELc84ELc67ELc85ELb0ELb1E19rocblas_complex_numIfEPKS1_S3_PS1_EviT_T9_T10_S5_lS7_S5_lS6_T11_S5_li
		.amdhsa_group_segment_fixed_size 4096
		.amdhsa_private_segment_fixed_size 0
		.amdhsa_kernarg_size 100
		.amdhsa_user_sgpr_count 2
		.amdhsa_user_sgpr_dispatch_ptr 0
		.amdhsa_user_sgpr_queue_ptr 0
		.amdhsa_user_sgpr_kernarg_segment_ptr 1
		.amdhsa_user_sgpr_dispatch_id 0
		.amdhsa_user_sgpr_kernarg_preload_length 0
		.amdhsa_user_sgpr_kernarg_preload_offset 0
		.amdhsa_user_sgpr_private_segment_size 0
		.amdhsa_uses_dynamic_stack 0
		.amdhsa_enable_private_segment 0
		.amdhsa_system_sgpr_workgroup_id_x 1
		.amdhsa_system_sgpr_workgroup_id_y 1
		.amdhsa_system_sgpr_workgroup_id_z 1
		.amdhsa_system_sgpr_workgroup_info 0
		.amdhsa_system_vgpr_workitem_id 1
		.amdhsa_next_free_vgpr 54
		.amdhsa_next_free_sgpr 30
		.amdhsa_accum_offset 56
		.amdhsa_reserve_vcc 1
		.amdhsa_float_round_mode_32 0
		.amdhsa_float_round_mode_16_64 0
		.amdhsa_float_denorm_mode_32 3
		.amdhsa_float_denorm_mode_16_64 3
		.amdhsa_dx10_clamp 1
		.amdhsa_ieee_mode 1
		.amdhsa_fp16_overflow 0
		.amdhsa_tg_split 0
		.amdhsa_exception_fp_ieee_invalid_op 0
		.amdhsa_exception_fp_denorm_src 0
		.amdhsa_exception_fp_ieee_div_zero 0
		.amdhsa_exception_fp_ieee_overflow 0
		.amdhsa_exception_fp_ieee_underflow 0
		.amdhsa_exception_fp_ieee_inexact 0
		.amdhsa_exception_int_div_zero 0
	.end_amdhsa_kernel
	.section	.text._ZL29rocblas_internal_gemmt_kernelIiLi16ELi32ELi8ELc84ELc67ELc85ELb0ELb1E19rocblas_complex_numIfEPKS1_S3_PS1_EviT_T9_T10_S5_lS7_S5_lS6_T11_S5_li,"axG",@progbits,_ZL29rocblas_internal_gemmt_kernelIiLi16ELi32ELi8ELc84ELc67ELc85ELb0ELb1E19rocblas_complex_numIfEPKS1_S3_PS1_EviT_T9_T10_S5_lS7_S5_lS6_T11_S5_li,comdat
.Lfunc_end77:
	.size	_ZL29rocblas_internal_gemmt_kernelIiLi16ELi32ELi8ELc84ELc67ELc85ELb0ELb1E19rocblas_complex_numIfEPKS1_S3_PS1_EviT_T9_T10_S5_lS7_S5_lS6_T11_S5_li, .Lfunc_end77-_ZL29rocblas_internal_gemmt_kernelIiLi16ELi32ELi8ELc84ELc67ELc85ELb0ELb1E19rocblas_complex_numIfEPKS1_S3_PS1_EviT_T9_T10_S5_lS7_S5_lS6_T11_S5_li
                                        ; -- End function
	.set _ZL29rocblas_internal_gemmt_kernelIiLi16ELi32ELi8ELc84ELc67ELc85ELb0ELb1E19rocblas_complex_numIfEPKS1_S3_PS1_EviT_T9_T10_S5_lS7_S5_lS6_T11_S5_li.num_vgpr, 54
	.set _ZL29rocblas_internal_gemmt_kernelIiLi16ELi32ELi8ELc84ELc67ELc85ELb0ELb1E19rocblas_complex_numIfEPKS1_S3_PS1_EviT_T9_T10_S5_lS7_S5_lS6_T11_S5_li.num_agpr, 0
	.set _ZL29rocblas_internal_gemmt_kernelIiLi16ELi32ELi8ELc84ELc67ELc85ELb0ELb1E19rocblas_complex_numIfEPKS1_S3_PS1_EviT_T9_T10_S5_lS7_S5_lS6_T11_S5_li.numbered_sgpr, 30
	.set _ZL29rocblas_internal_gemmt_kernelIiLi16ELi32ELi8ELc84ELc67ELc85ELb0ELb1E19rocblas_complex_numIfEPKS1_S3_PS1_EviT_T9_T10_S5_lS7_S5_lS6_T11_S5_li.num_named_barrier, 0
	.set _ZL29rocblas_internal_gemmt_kernelIiLi16ELi32ELi8ELc84ELc67ELc85ELb0ELb1E19rocblas_complex_numIfEPKS1_S3_PS1_EviT_T9_T10_S5_lS7_S5_lS6_T11_S5_li.private_seg_size, 0
	.set _ZL29rocblas_internal_gemmt_kernelIiLi16ELi32ELi8ELc84ELc67ELc85ELb0ELb1E19rocblas_complex_numIfEPKS1_S3_PS1_EviT_T9_T10_S5_lS7_S5_lS6_T11_S5_li.uses_vcc, 1
	.set _ZL29rocblas_internal_gemmt_kernelIiLi16ELi32ELi8ELc84ELc67ELc85ELb0ELb1E19rocblas_complex_numIfEPKS1_S3_PS1_EviT_T9_T10_S5_lS7_S5_lS6_T11_S5_li.uses_flat_scratch, 0
	.set _ZL29rocblas_internal_gemmt_kernelIiLi16ELi32ELi8ELc84ELc67ELc85ELb0ELb1E19rocblas_complex_numIfEPKS1_S3_PS1_EviT_T9_T10_S5_lS7_S5_lS6_T11_S5_li.has_dyn_sized_stack, 0
	.set _ZL29rocblas_internal_gemmt_kernelIiLi16ELi32ELi8ELc84ELc67ELc85ELb0ELb1E19rocblas_complex_numIfEPKS1_S3_PS1_EviT_T9_T10_S5_lS7_S5_lS6_T11_S5_li.has_recursion, 0
	.set _ZL29rocblas_internal_gemmt_kernelIiLi16ELi32ELi8ELc84ELc67ELc85ELb0ELb1E19rocblas_complex_numIfEPKS1_S3_PS1_EviT_T9_T10_S5_lS7_S5_lS6_T11_S5_li.has_indirect_call, 0
	.section	.AMDGPU.csdata,"",@progbits
; Kernel info:
; codeLenInByte = 2512
; TotalNumSgprs: 36
; NumVgprs: 54
; NumAgprs: 0
; TotalNumVgprs: 54
; ScratchSize: 0
; MemoryBound: 0
; FloatMode: 240
; IeeeMode: 1
; LDSByteSize: 4096 bytes/workgroup (compile time only)
; SGPRBlocks: 4
; VGPRBlocks: 6
; NumSGPRsForWavesPerEU: 36
; NumVGPRsForWavesPerEU: 54
; AccumOffset: 56
; Occupancy: 8
; WaveLimiterHint : 0
; COMPUTE_PGM_RSRC2:SCRATCH_EN: 0
; COMPUTE_PGM_RSRC2:USER_SGPR: 2
; COMPUTE_PGM_RSRC2:TRAP_HANDLER: 0
; COMPUTE_PGM_RSRC2:TGID_X_EN: 1
; COMPUTE_PGM_RSRC2:TGID_Y_EN: 1
; COMPUTE_PGM_RSRC2:TGID_Z_EN: 1
; COMPUTE_PGM_RSRC2:TIDIG_COMP_CNT: 1
; COMPUTE_PGM_RSRC3_GFX90A:ACCUM_OFFSET: 13
; COMPUTE_PGM_RSRC3_GFX90A:TG_SPLIT: 0
	.section	.text._ZL29rocblas_internal_gemmt_kernelIiLi16ELi32ELi8ELc67ELc78ELc85ELb1ELb0E19rocblas_complex_numIfEPKS1_S3_PS1_EviT_T9_T10_S5_lS7_S5_lS6_T11_S5_li,"axG",@progbits,_ZL29rocblas_internal_gemmt_kernelIiLi16ELi32ELi8ELc67ELc78ELc85ELb1ELb0E19rocblas_complex_numIfEPKS1_S3_PS1_EviT_T9_T10_S5_lS7_S5_lS6_T11_S5_li,comdat
	.globl	_ZL29rocblas_internal_gemmt_kernelIiLi16ELi32ELi8ELc67ELc78ELc85ELb1ELb0E19rocblas_complex_numIfEPKS1_S3_PS1_EviT_T9_T10_S5_lS7_S5_lS6_T11_S5_li ; -- Begin function _ZL29rocblas_internal_gemmt_kernelIiLi16ELi32ELi8ELc67ELc78ELc85ELb1ELb0E19rocblas_complex_numIfEPKS1_S3_PS1_EviT_T9_T10_S5_lS7_S5_lS6_T11_S5_li
	.p2align	8
	.type	_ZL29rocblas_internal_gemmt_kernelIiLi16ELi32ELi8ELc67ELc78ELc85ELb1ELb0E19rocblas_complex_numIfEPKS1_S3_PS1_EviT_T9_T10_S5_lS7_S5_lS6_T11_S5_li,@function
_ZL29rocblas_internal_gemmt_kernelIiLi16ELi32ELi8ELc67ELc78ELc85ELb1ELb0E19rocblas_complex_numIfEPKS1_S3_PS1_EviT_T9_T10_S5_lS7_S5_lS6_T11_S5_li: ; @_ZL29rocblas_internal_gemmt_kernelIiLi16ELi32ELi8ELc67ELc78ELc85ELb1ELb0E19rocblas_complex_numIfEPKS1_S3_PS1_EviT_T9_T10_S5_lS7_S5_lS6_T11_S5_li
; %bb.0:
	s_load_dwordx4 s[8:11], s[0:1], 0x38
	s_load_dwordx4 s[12:15], s[0:1], 0x8
	s_waitcnt lgkmcnt(0)
	s_load_dwordx2 s[6:7], s[10:11], 0x0
	s_load_dwordx2 s[22:23], s[0:1], 0x0
	;; [unrolled: 1-line block ×3, first 2 shown]
	s_waitcnt lgkmcnt(0)
	s_and_b32 s5, s7, 0x7fffffff
	s_cmp_eq_u32 s5, 0
	v_cmp_eq_f32_e64 s[12:13], s6, 1.0
	s_cselect_b64 s[10:11], -1, 0
	s_and_b64 s[12:13], s[12:13], s[10:11]
	s_and_b64 vcc, exec, s[12:13]
	s_cbranch_vccnz .LBB78_2
; %bb.1:
	s_mov_b64 s[12:13], -1
	s_cbranch_execz .LBB78_3
	s_branch .LBB78_4
.LBB78_2:
	s_mov_b64 s[12:13], 0
.LBB78_3:
	s_cmp_lg_u32 s23, 0
	v_cmp_neq_f32_e64 s[16:17], s20, 0
	v_cmp_neq_f32_e64 s[18:19], s21, 0
	s_cselect_b64 s[12:13], -1, 0
	s_or_b64 s[16:17], s[16:17], s[18:19]
	s_and_b64 s[12:13], s[12:13], s[16:17]
.LBB78_4:
	s_andn2_b64 vcc, exec, s[12:13]
	s_cbranch_vccnz .LBB78_30
; %bb.5:
	s_lshl_b32 s5, s2, 5
	s_lshl_b32 s24, s3, 5
	v_cmp_eq_f32_e64 s[2:3], s20, 0
	v_cmp_eq_f32_e64 s[16:17], s21, 0
	s_load_dwordx2 s[12:13], s[0:1], 0x48
	s_and_b64 s[2:3], s[2:3], s[16:17]
	s_cmp_lt_i32 s23, 1
	s_cselect_b64 s[16:17], -1, 0
	s_or_b64 s[2:3], s[2:3], s[16:17]
	v_and_b32_e32 v17, 0x3ff, v0
	v_bfe_u32 v15, v0, 10, 10
	s_mov_b32 s25, 0
	v_mov_b32_e32 v24, 0
	s_and_b64 vcc, exec, s[2:3]
	v_mov_b32_e32 v26, 0
	v_mov_b32_e32 v20, 0
	;; [unrolled: 1-line block ×7, first 2 shown]
	s_cbranch_vccnz .LBB78_14
; %bb.6:
	v_lshl_add_u32 v0, v15, 4, v17
	v_and_b32_e32 v2, 31, v0
	v_lshrrev_b32_e32 v21, 5, v0
	v_lshrrev_b32_e32 v1, 3, v0
	v_or_b32_e32 v0, s5, v2
	v_and_b32_e32 v19, 7, v17
	v_cmp_gt_i32_e64 s[2:3], s22, v0
	v_lshlrev_b32_e32 v0, 3, v2
	v_lshl_or_b32 v23, v21, 8, v0
	v_lshlrev_b32_e32 v0, 3, v19
	s_load_dword s26, s[0:1], 0x18
	s_load_dwordx4 s[16:19], s[0:1], 0x20
	s_load_dword s28, s[0:1], 0x30
	v_add_u32_e32 v4, s24, v1
	v_lshl_or_b32 v1, v1, 6, v0
	v_add_u32_e32 v25, 0x800, v1
	v_mov_b32_e32 v1, 0x800
	v_lshl_add_u32 v28, v15, 6, v1
	v_add_u32_e32 v1, s5, v2
	s_waitcnt lgkmcnt(0)
	v_mad_i64_i32 v[2:3], s[26:27], s26, v1, 0
	s_mul_i32 s17, s17, s4
	s_mul_hi_u32 s26, s16, s4
	s_add_i32 s17, s26, s17
	s_mul_i32 s16, s16, s4
	s_lshl_b64 s[16:17], s[16:17], 3
	v_lshl_add_u64 v[2:3], v[2:3], 3, s[16:17]
	v_lshlrev_b32_e32 v8, 3, v21
	v_mov_b32_e32 v9, 0
	v_lshl_add_u64 v[2:3], v[2:3], 0, v[8:9]
	v_lshl_add_u64 v[2:3], s[14:15], 0, v[2:3]
	;; [unrolled: 1-line block ×3, first 2 shown]
	v_mad_i64_i32 v[2:3], s[14:15], s28, v4, 0
	s_mul_i32 s9, s9, s4
	s_mul_hi_u32 s14, s8, s4
	s_add_i32 s9, s14, s9
	s_mul_i32 s8, s8, s4
	s_lshl_b64 s[8:9], s[8:9], 3
	v_lshl_add_u64 v[2:3], v[2:3], 3, s[8:9]
	v_mov_b32_e32 v1, v9
	v_lshl_add_u64 v[0:1], v[2:3], 0, v[0:1]
	v_cmp_gt_i32_e32 vcc, s22, v4
	v_lshlrev_b32_e32 v27, 3, v17
	v_lshl_add_u64 v[12:13], s[18:19], 0, v[0:1]
	s_xor_b64 s[8:9], s[2:3], -1
	v_mov_b32_e32 v14, 0
	v_mov_b32_e32 v8, 0
	;; [unrolled: 1-line block ×8, first 2 shown]
	s_branch .LBB78_8
.LBB78_7:                               ;   in Loop: Header=BB78_8 Depth=1
	s_or_b64 exec, exec, s[2:3]
	s_waitcnt vmcnt(0)
	ds_write_b64 v25, v[2:3]
	s_waitcnt lgkmcnt(0)
	s_barrier
	ds_read2_b64 v[30:33], v27 offset1:16
	ds_read_b128 v[34:37], v28
	ds_read_b128 v[38:41], v28 offset:16
	ds_read_b128 v[4:7], v28 offset:32
	;; [unrolled: 1-line block ×3, first 2 shown]
	ds_read2_b64 v[50:53], v27 offset0:32 offset1:48
	s_waitcnt lgkmcnt(4)
	v_mul_f32_e32 v42, v34, v31
	v_fmac_f32_e32 v42, v35, v30
	v_add_f32_e32 v26, v26, v42
	ds_read_b128 v[42:45], v28 offset:1024
	ds_read_b128 v[46:49], v28 offset:1040
	v_mul_f32_e32 v29, v35, v31
	v_fma_f32 v29, v34, v30, -v29
	v_add_f32_e32 v24, v24, v29
	v_mul_f32_e32 v29, v35, v33
	v_fma_f32 v29, v34, v32, -v29
	v_add_f32_e32 v20, v20, v29
	s_waitcnt lgkmcnt(1)
	v_mul_f32_e32 v29, v43, v31
	v_mul_f32_e32 v31, v42, v31
	v_fma_f32 v29, v42, v30, -v29
	v_fmac_f32_e32 v31, v43, v30
	v_mul_f32_e32 v30, v42, v33
	v_fmac_f32_e32 v30, v43, v32
	v_add_f32_e32 v14, v14, v30
	v_mul_f32_e32 v30, v36, v51
	v_mul_f32_e32 v34, v34, v33
	v_fmac_f32_e32 v30, v37, v50
	v_fmac_f32_e32 v34, v35, v32
	v_add_f32_e32 v26, v26, v30
	v_mul_f32_e32 v30, v36, v53
	v_add_f32_e32 v22, v22, v34
	v_add_f32_e32 v16, v16, v29
	v_mul_f32_e32 v29, v43, v33
	v_fmac_f32_e32 v30, v37, v52
	v_fma_f32 v29, v42, v32, -v29
	v_add_f32_e32 v22, v22, v30
	v_mul_f32_e32 v30, v44, v51
	v_add_f32_e32 v18, v18, v31
	v_add_f32_e32 v8, v8, v29
	v_mul_f32_e32 v29, v37, v51
	v_fmac_f32_e32 v30, v45, v50
	v_fma_f32 v29, v36, v50, -v29
	v_add_f32_e32 v18, v18, v30
	ds_read2_b64 v[30:33], v27 offset0:64 offset1:80
	v_add_f32_e32 v24, v24, v29
	v_mul_f32_e32 v29, v37, v53
	v_fma_f32 v29, v36, v52, -v29
	v_add_f32_e32 v20, v20, v29
	v_mul_f32_e32 v29, v45, v51
	v_mul_f32_e32 v34, v44, v53
	v_fma_f32 v29, v44, v50, -v29
	v_fmac_f32_e32 v34, v45, v52
	v_add_f32_e32 v16, v16, v29
	v_mul_f32_e32 v29, v45, v53
	v_add_f32_e32 v14, v14, v34
	s_waitcnt lgkmcnt(0)
	v_mul_f32_e32 v34, v38, v31
	v_fma_f32 v29, v44, v52, -v29
	v_fmac_f32_e32 v34, v39, v30
	v_add_f32_e32 v8, v8, v29
	v_mul_f32_e32 v29, v39, v31
	v_add_f32_e32 v26, v26, v34
	v_mul_f32_e32 v34, v38, v33
	v_fma_f32 v29, v38, v30, -v29
	v_fmac_f32_e32 v34, v39, v32
	v_add_f32_e32 v24, v24, v29
	v_mul_f32_e32 v29, v39, v33
	v_add_f32_e32 v22, v22, v34
	ds_read2_b64 v[34:37], v27 offset0:96 offset1:112
	v_fma_f32 v29, v38, v32, -v29
	v_add_f32_e32 v20, v20, v29
	v_mul_f32_e32 v29, v47, v31
	v_mul_f32_e32 v31, v46, v31
	v_fma_f32 v29, v46, v30, -v29
	v_fmac_f32_e32 v31, v47, v30
	v_mul_f32_e32 v30, v46, v33
	v_fmac_f32_e32 v30, v47, v32
	v_add_f32_e32 v14, v14, v30
	s_waitcnt lgkmcnt(0)
	v_mul_f32_e32 v30, v40, v35
	v_fmac_f32_e32 v30, v41, v34
	v_add_f32_e32 v16, v16, v29
	v_mul_f32_e32 v29, v47, v33
	v_add_f32_e32 v26, v26, v30
	v_mul_f32_e32 v30, v40, v37
	v_fma_f32 v29, v46, v32, -v29
	v_fmac_f32_e32 v30, v41, v36
	v_add_f32_e32 v8, v8, v29
	v_mul_f32_e32 v29, v41, v35
	v_add_f32_e32 v22, v22, v30
	v_mul_f32_e32 v30, v48, v35
	v_add_f32_e32 v18, v18, v31
	v_fma_f32 v29, v40, v34, -v29
	v_fmac_f32_e32 v30, v49, v34
	v_add_f32_e32 v24, v24, v29
	v_mul_f32_e32 v29, v41, v37
	v_add_f32_e32 v18, v18, v30
	ds_read2_b64 v[30:33], v27 offset0:128 offset1:144
	v_fma_f32 v29, v40, v36, -v29
	v_add_f32_e32 v20, v20, v29
	v_mul_f32_e32 v29, v49, v35
	v_fma_f32 v29, v48, v34, -v29
	v_mul_f32_e32 v34, v48, v37
	v_fmac_f32_e32 v34, v49, v36
	v_add_f32_e32 v14, v14, v34
	s_waitcnt lgkmcnt(0)
	v_mul_f32_e32 v34, v4, v31
	v_add_f32_e32 v16, v16, v29
	v_mul_f32_e32 v29, v49, v37
	v_fmac_f32_e32 v34, v5, v30
	v_fma_f32 v29, v48, v36, -v29
	v_add_f32_e32 v26, v26, v34
	ds_read_b128 v[34:37], v28 offset:1056
	ds_read_b128 v[38:41], v28 offset:1072
	v_add_f32_e32 v8, v8, v29
	v_mul_f32_e32 v29, v5, v31
	v_fma_f32 v29, v4, v30, -v29
	v_add_f32_e32 v24, v24, v29
	v_mul_f32_e32 v29, v5, v33
	v_fma_f32 v29, v4, v32, -v29
	v_mul_f32_e32 v4, v4, v33
	ds_read2_b64 v[42:45], v27 offset0:160 offset1:176
	v_fmac_f32_e32 v4, v5, v32
	v_add_f32_e32 v5, v20, v29
	s_waitcnt lgkmcnt(2)
	v_mul_f32_e32 v20, v35, v31
	v_fma_f32 v20, v34, v30, -v20
	v_add_f32_e32 v16, v16, v20
	v_mul_f32_e32 v20, v35, v33
	v_add_f32_e32 v4, v22, v4
	v_mul_f32_e32 v22, v34, v31
	v_fma_f32 v20, v34, v32, -v20
	v_fmac_f32_e32 v22, v35, v30
	v_add_f32_e32 v8, v8, v20
	s_waitcnt lgkmcnt(0)
	v_mul_f32_e32 v20, v7, v43
	v_add_f32_e32 v18, v18, v22
	v_mul_f32_e32 v22, v34, v33
	v_fma_f32 v20, v6, v42, -v20
	v_fmac_f32_e32 v22, v35, v32
	v_add_f32_e32 v20, v24, v20
	v_mul_f32_e32 v24, v7, v45
	v_add_f32_e32 v14, v14, v22
	v_mul_f32_e32 v22, v6, v43
	v_fma_f32 v24, v6, v44, -v24
	v_mul_f32_e32 v6, v6, v45
	v_fmac_f32_e32 v22, v7, v42
	v_fmac_f32_e32 v6, v7, v44
	v_add_f32_e32 v22, v26, v22
	v_add_f32_e32 v26, v4, v6
	v_mul_f32_e32 v4, v37, v43
	v_add_f32_e32 v24, v5, v24
	v_fma_f32 v4, v36, v42, -v4
	v_mul_f32_e32 v5, v36, v43
	v_fmac_f32_e32 v5, v37, v42
	v_add_f32_e32 v16, v16, v4
	v_mul_f32_e32 v4, v37, v45
	v_add_f32_e32 v18, v18, v5
	v_fma_f32 v29, v36, v44, -v4
	ds_read2_b64 v[4:7], v27 offset0:192 offset1:208
	v_mul_f32_e32 v30, v36, v45
	v_fmac_f32_e32 v30, v37, v44
	v_add_f32_e32 v8, v8, v29
	v_add_f32_e32 v14, v14, v30
	s_waitcnt lgkmcnt(0)
	v_mul_f32_e32 v29, v1, v5
	v_fma_f32 v29, v0, v4, -v29
	v_mul_f32_e32 v30, v0, v5
	v_fmac_f32_e32 v30, v1, v4
	v_add_f32_e32 v20, v20, v29
	v_mul_f32_e32 v29, v1, v7
	v_add_f32_e32 v22, v22, v30
	v_fma_f32 v29, v0, v6, -v29
	v_mul_f32_e32 v0, v0, v7
	ds_read2_b64 v[30:33], v27 offset0:224 offset1:240
	v_fmac_f32_e32 v0, v1, v6
	v_add_f32_e32 v1, v24, v29
	v_mul_f32_e32 v24, v39, v5
	v_fma_f32 v24, v38, v4, -v24
	v_mul_f32_e32 v5, v38, v5
	v_fmac_f32_e32 v5, v39, v4
	v_add_f32_e32 v4, v16, v24
	v_mul_f32_e32 v16, v39, v7
	v_fma_f32 v16, v38, v6, -v16
	v_mul_f32_e32 v7, v38, v7
	v_fmac_f32_e32 v7, v39, v6
	v_add_f32_e32 v6, v8, v16
	s_waitcnt lgkmcnt(0)
	v_mul_f32_e32 v8, v3, v31
	v_fma_f32 v8, v2, v30, -v8
	v_add_f32_e32 v24, v20, v8
	v_mul_f32_e32 v8, v3, v33
	v_add_f32_e32 v7, v14, v7
	v_mul_f32_e32 v14, v2, v31
	v_fma_f32 v8, v2, v32, -v8
	v_mul_f32_e32 v2, v2, v33
	v_add_f32_e32 v0, v26, v0
	v_fmac_f32_e32 v14, v3, v30
	v_fmac_f32_e32 v2, v3, v32
	v_add_f32_e32 v26, v22, v14
	v_add_f32_e32 v20, v1, v8
	;; [unrolled: 1-line block ×3, first 2 shown]
	v_mul_f32_e32 v0, v41, v31
	v_mul_f32_e32 v1, v40, v31
	v_add_f32_e32 v5, v18, v5
	v_fma_f32 v0, v40, v30, -v0
	v_fmac_f32_e32 v1, v41, v30
	v_add_f32_e32 v16, v4, v0
	v_add_f32_e32 v18, v5, v1
	v_mul_f32_e32 v0, v41, v33
	v_mul_f32_e32 v1, v40, v33
	v_fma_f32 v0, v40, v32, -v0
	v_fmac_f32_e32 v1, v41, v32
	s_add_i32 s25, s25, 8
	v_add_f32_e32 v8, v6, v0
	v_add_f32_e32 v14, v7, v1
	v_lshl_add_u64 v[10:11], v[10:11], 0, 64
	s_cmp_lt_i32 s25, s23
	v_lshl_add_u64 v[12:13], v[12:13], 0, 64
	s_barrier
	s_cbranch_scc0 .LBB78_14
.LBB78_8:                               ; =>This Inner Loop Header: Depth=1
	v_add_u32_e32 v0, s25, v21
	v_cmp_le_i32_e64 s[2:3], s23, v0
	s_or_b64 s[2:3], s[8:9], s[2:3]
	s_and_saveexec_b64 s[14:15], s[2:3]
	s_xor_b64 s[2:3], exec, s[14:15]
; %bb.9:                                ;   in Loop: Header=BB78_8 Depth=1
	ds_write_b32 v23, v9
; %bb.10:                               ;   in Loop: Header=BB78_8 Depth=1
	s_or_saveexec_b64 s[2:3], s[2:3]
	v_mov_b32_e32 v2, 0
	v_mov_b32_e32 v0, 0
	s_xor_b64 exec, exec, s[2:3]
	s_cbranch_execz .LBB78_12
; %bb.11:                               ;   in Loop: Header=BB78_8 Depth=1
	global_load_dwordx2 v[4:5], v[10:11], off offset:-4
	s_waitcnt vmcnt(0)
	v_xor_b32_e32 v0, 0x80000000, v5
	ds_write_b32 v23, v4
.LBB78_12:                              ;   in Loop: Header=BB78_8 Depth=1
	s_or_b64 exec, exec, s[2:3]
	ds_write_b32 v23, v0 offset:4
	v_add_u32_e32 v0, s25, v19
	v_cmp_gt_i32_e64 s[2:3], s23, v0
	s_and_b64 s[14:15], s[2:3], vcc
	v_mov_b32_e32 v3, 0
	s_and_saveexec_b64 s[2:3], s[14:15]
	s_cbranch_execz .LBB78_7
; %bb.13:                               ;   in Loop: Header=BB78_8 Depth=1
	global_load_dwordx2 v[2:3], v[12:13], off
	s_branch .LBB78_7
.LBB78_14:
	s_load_dwordx2 s[2:3], s[0:1], 0x58
	s_load_dword s14, s[0:1], 0x50
	v_add_u32_e32 v0, s5, v17
	v_add_u32_e32 v9, s24, v15
	v_cmp_le_i32_e32 vcc, v0, v9
	s_waitcnt lgkmcnt(0)
	s_mul_i32 s1, s3, s4
	s_mul_hi_u32 s3, s2, s4
	s_mul_i32 s0, s2, s4
	s_add_i32 s1, s3, s1
	s_lshl_b64 s[0:1], s[0:1], 3
	s_add_u32 s4, s12, s0
	s_addc_u32 s5, s13, s1
	v_cmp_neq_f32_e64 s[0:1], s6, 0
	s_xor_b64 s[8:9], s[10:11], -1
	v_mad_i64_i32 v[2:3], s[10:11], v9, s14, 0
	s_or_b64 s[0:1], s[0:1], s[8:9]
	v_cmp_gt_i32_e64 s[2:3], s22, v9
	v_lshl_add_u64 v[4:5], v[2:3], 3, s[4:5]
	v_cndmask_b32_e64 v2, 0, 1, s[0:1]
	s_and_b64 s[10:11], s[2:3], vcc
	v_ashrrev_i32_e32 v1, 31, v0
	v_cmp_ne_u32_e64 s[0:1], 1, v2
	s_and_saveexec_b64 s[8:9], s[10:11]
	s_cbranch_execz .LBB78_18
; %bb.15:
	v_pk_mul_f32 v[6:7], v[26:27], s[20:21] op_sel:[0,1] op_sel_hi:[0,0]
	v_pk_fma_f32 v[2:3], v[24:25], s[20:21], v[6:7] op_sel_hi:[0,1,1] neg_lo:[0,0,1] neg_hi:[0,0,1]
	v_pk_fma_f32 v[10:11], v[24:25], s[20:21], v[6:7] op_sel_hi:[0,1,1]
	s_and_b64 vcc, exec, s[0:1]
	v_lshl_add_u64 v[6:7], v[0:1], 3, v[4:5]
	s_cbranch_vccnz .LBB78_17
; %bb.16:
	global_load_dwordx2 v[12:13], v[6:7], off
	s_mov_b32 s10, s7
	v_mov_b32_e32 v3, v11
	s_waitcnt vmcnt(0)
	v_pk_mul_f32 v[10:11], v[12:13], s[10:11] op_sel:[1,0] op_sel_hi:[0,0]
	v_pk_fma_f32 v[24:25], v[12:13], s[6:7], v[10:11] neg_lo:[0,0,1] neg_hi:[0,0,1]
	v_pk_fma_f32 v[10:11], v[12:13], s[6:7], v[10:11] op_sel_hi:[1,0,1]
	s_nop 0
	v_mov_b32_e32 v25, v11
	v_pk_add_f32 v[2:3], v[2:3], v[24:25]
	s_nop 0
	v_mov_b32_e32 v11, v3
.LBB78_17:
	v_mov_b32_e32 v3, v11
	global_store_dwordx2 v[6:7], v[2:3], off
.LBB78_18:
	s_or_b64 exec, exec, s[8:9]
	v_add_u32_e32 v2, 16, v0
	v_cmp_le_i32_e32 vcc, v2, v9
	s_and_b64 s[8:9], s[2:3], vcc
	v_ashrrev_i32_e32 v3, 31, v2
	s_and_saveexec_b64 s[2:3], s[8:9]
	s_cbranch_execz .LBB78_22
; %bb.19:
	v_pk_mul_f32 v[10:11], v[22:23], s[20:21] op_sel:[0,1] op_sel_hi:[0,0]
	v_pk_fma_f32 v[6:7], v[20:21], s[20:21], v[10:11] op_sel_hi:[0,1,1] neg_lo:[0,0,1] neg_hi:[0,0,1]
	v_pk_fma_f32 v[10:11], v[20:21], s[20:21], v[10:11] op_sel_hi:[0,1,1]
	s_and_b64 vcc, exec, s[0:1]
	v_lshl_add_u64 v[4:5], v[2:3], 3, v[4:5]
	s_cbranch_vccnz .LBB78_21
; %bb.20:
	global_load_dwordx2 v[12:13], v[4:5], off
	s_mov_b32 s8, s7
	v_mov_b32_e32 v7, v11
	s_waitcnt vmcnt(0)
	v_pk_mul_f32 v[10:11], v[12:13], s[8:9] op_sel:[1,0] op_sel_hi:[0,0]
	v_pk_fma_f32 v[20:21], v[12:13], s[6:7], v[10:11] neg_lo:[0,0,1] neg_hi:[0,0,1]
	v_pk_fma_f32 v[10:11], v[12:13], s[6:7], v[10:11] op_sel_hi:[1,0,1]
	s_nop 0
	v_mov_b32_e32 v21, v11
	v_pk_add_f32 v[6:7], v[6:7], v[20:21]
	s_nop 0
	v_mov_b32_e32 v11, v7
.LBB78_21:
	v_mov_b32_e32 v7, v11
	global_store_dwordx2 v[4:5], v[6:7], off
.LBB78_22:
	s_or_b64 exec, exec, s[2:3]
	v_add_u32_e32 v9, 16, v9
	v_cmp_gt_i32_e64 s[2:3], s22, v9
	v_mad_i64_i32 v[4:5], s[8:9], v9, s14, 0
	v_cmp_le_i32_e32 vcc, v0, v9
	v_lshl_add_u64 v[4:5], v[4:5], 3, s[4:5]
	s_and_b64 s[8:9], s[2:3], vcc
	s_and_saveexec_b64 s[4:5], s[8:9]
	s_cbranch_execz .LBB78_26
; %bb.23:
	v_pk_mul_f32 v[10:11], v[18:19], s[20:21] op_sel:[0,1] op_sel_hi:[0,0]
	v_pk_fma_f32 v[6:7], v[16:17], s[20:21], v[10:11] op_sel_hi:[0,1,1] neg_lo:[0,0,1] neg_hi:[0,0,1]
	v_pk_fma_f32 v[10:11], v[16:17], s[20:21], v[10:11] op_sel_hi:[0,1,1]
	s_and_b64 vcc, exec, s[0:1]
	v_lshl_add_u64 v[0:1], v[0:1], 3, v[4:5]
	s_cbranch_vccnz .LBB78_25
; %bb.24:
	global_load_dwordx2 v[12:13], v[0:1], off
	s_mov_b32 s8, s7
	v_mov_b32_e32 v7, v11
	s_waitcnt vmcnt(0)
	v_pk_mul_f32 v[10:11], v[12:13], s[8:9] op_sel:[1,0] op_sel_hi:[0,0]
	v_pk_fma_f32 v[16:17], v[12:13], s[6:7], v[10:11] neg_lo:[0,0,1] neg_hi:[0,0,1]
	v_pk_fma_f32 v[10:11], v[12:13], s[6:7], v[10:11] op_sel_hi:[1,0,1]
	s_nop 0
	v_mov_b32_e32 v17, v11
	v_pk_add_f32 v[6:7], v[6:7], v[16:17]
	s_nop 0
	v_mov_b32_e32 v11, v7
.LBB78_25:
	v_mov_b32_e32 v7, v11
	global_store_dwordx2 v[0:1], v[6:7], off
.LBB78_26:
	s_or_b64 exec, exec, s[4:5]
	v_cmp_le_i32_e32 vcc, v2, v9
	s_and_b64 s[2:3], s[2:3], vcc
	s_and_saveexec_b64 s[4:5], s[2:3]
	s_cbranch_execz .LBB78_30
; %bb.27:
	v_pk_mul_f32 v[6:7], v[14:15], s[20:21] op_sel:[0,1] op_sel_hi:[0,0]
	v_pk_fma_f32 v[0:1], v[8:9], s[20:21], v[6:7] op_sel_hi:[0,1,1] neg_lo:[0,0,1] neg_hi:[0,0,1]
	v_pk_fma_f32 v[6:7], v[8:9], s[20:21], v[6:7] op_sel_hi:[0,1,1]
	s_and_b64 vcc, exec, s[0:1]
	v_lshl_add_u64 v[2:3], v[2:3], 3, v[4:5]
	s_cbranch_vccnz .LBB78_29
; %bb.28:
	global_load_dwordx2 v[4:5], v[2:3], off
	s_mov_b32 s0, s7
	v_mov_b32_e32 v1, v7
	s_waitcnt vmcnt(0)
	v_pk_mul_f32 v[6:7], v[4:5], s[0:1] op_sel:[1,0] op_sel_hi:[0,0]
	v_pk_fma_f32 v[8:9], v[4:5], s[6:7], v[6:7] neg_lo:[0,0,1] neg_hi:[0,0,1]
	v_pk_fma_f32 v[4:5], v[4:5], s[6:7], v[6:7] op_sel_hi:[1,0,1]
	s_nop 0
	v_mov_b32_e32 v9, v5
	v_pk_add_f32 v[0:1], v[0:1], v[8:9]
	s_nop 0
	v_mov_b32_e32 v7, v1
.LBB78_29:
	v_mov_b32_e32 v1, v7
	global_store_dwordx2 v[2:3], v[0:1], off
.LBB78_30:
	s_endpgm
	.section	.rodata,"a",@progbits
	.p2align	6, 0x0
	.amdhsa_kernel _ZL29rocblas_internal_gemmt_kernelIiLi16ELi32ELi8ELc67ELc78ELc85ELb1ELb0E19rocblas_complex_numIfEPKS1_S3_PS1_EviT_T9_T10_S5_lS7_S5_lS6_T11_S5_li
		.amdhsa_group_segment_fixed_size 4096
		.amdhsa_private_segment_fixed_size 0
		.amdhsa_kernarg_size 100
		.amdhsa_user_sgpr_count 2
		.amdhsa_user_sgpr_dispatch_ptr 0
		.amdhsa_user_sgpr_queue_ptr 0
		.amdhsa_user_sgpr_kernarg_segment_ptr 1
		.amdhsa_user_sgpr_dispatch_id 0
		.amdhsa_user_sgpr_kernarg_preload_length 0
		.amdhsa_user_sgpr_kernarg_preload_offset 0
		.amdhsa_user_sgpr_private_segment_size 0
		.amdhsa_uses_dynamic_stack 0
		.amdhsa_enable_private_segment 0
		.amdhsa_system_sgpr_workgroup_id_x 1
		.amdhsa_system_sgpr_workgroup_id_y 1
		.amdhsa_system_sgpr_workgroup_id_z 1
		.amdhsa_system_sgpr_workgroup_info 0
		.amdhsa_system_vgpr_workitem_id 1
		.amdhsa_next_free_vgpr 54
		.amdhsa_next_free_sgpr 29
		.amdhsa_accum_offset 56
		.amdhsa_reserve_vcc 1
		.amdhsa_float_round_mode_32 0
		.amdhsa_float_round_mode_16_64 0
		.amdhsa_float_denorm_mode_32 3
		.amdhsa_float_denorm_mode_16_64 3
		.amdhsa_dx10_clamp 1
		.amdhsa_ieee_mode 1
		.amdhsa_fp16_overflow 0
		.amdhsa_tg_split 0
		.amdhsa_exception_fp_ieee_invalid_op 0
		.amdhsa_exception_fp_denorm_src 0
		.amdhsa_exception_fp_ieee_div_zero 0
		.amdhsa_exception_fp_ieee_overflow 0
		.amdhsa_exception_fp_ieee_underflow 0
		.amdhsa_exception_fp_ieee_inexact 0
		.amdhsa_exception_int_div_zero 0
	.end_amdhsa_kernel
	.section	.text._ZL29rocblas_internal_gemmt_kernelIiLi16ELi32ELi8ELc67ELc78ELc85ELb1ELb0E19rocblas_complex_numIfEPKS1_S3_PS1_EviT_T9_T10_S5_lS7_S5_lS6_T11_S5_li,"axG",@progbits,_ZL29rocblas_internal_gemmt_kernelIiLi16ELi32ELi8ELc67ELc78ELc85ELb1ELb0E19rocblas_complex_numIfEPKS1_S3_PS1_EviT_T9_T10_S5_lS7_S5_lS6_T11_S5_li,comdat
.Lfunc_end78:
	.size	_ZL29rocblas_internal_gemmt_kernelIiLi16ELi32ELi8ELc67ELc78ELc85ELb1ELb0E19rocblas_complex_numIfEPKS1_S3_PS1_EviT_T9_T10_S5_lS7_S5_lS6_T11_S5_li, .Lfunc_end78-_ZL29rocblas_internal_gemmt_kernelIiLi16ELi32ELi8ELc67ELc78ELc85ELb1ELb0E19rocblas_complex_numIfEPKS1_S3_PS1_EviT_T9_T10_S5_lS7_S5_lS6_T11_S5_li
                                        ; -- End function
	.set _ZL29rocblas_internal_gemmt_kernelIiLi16ELi32ELi8ELc67ELc78ELc85ELb1ELb0E19rocblas_complex_numIfEPKS1_S3_PS1_EviT_T9_T10_S5_lS7_S5_lS6_T11_S5_li.num_vgpr, 54
	.set _ZL29rocblas_internal_gemmt_kernelIiLi16ELi32ELi8ELc67ELc78ELc85ELb1ELb0E19rocblas_complex_numIfEPKS1_S3_PS1_EviT_T9_T10_S5_lS7_S5_lS6_T11_S5_li.num_agpr, 0
	.set _ZL29rocblas_internal_gemmt_kernelIiLi16ELi32ELi8ELc67ELc78ELc85ELb1ELb0E19rocblas_complex_numIfEPKS1_S3_PS1_EviT_T9_T10_S5_lS7_S5_lS6_T11_S5_li.numbered_sgpr, 29
	.set _ZL29rocblas_internal_gemmt_kernelIiLi16ELi32ELi8ELc67ELc78ELc85ELb1ELb0E19rocblas_complex_numIfEPKS1_S3_PS1_EviT_T9_T10_S5_lS7_S5_lS6_T11_S5_li.num_named_barrier, 0
	.set _ZL29rocblas_internal_gemmt_kernelIiLi16ELi32ELi8ELc67ELc78ELc85ELb1ELb0E19rocblas_complex_numIfEPKS1_S3_PS1_EviT_T9_T10_S5_lS7_S5_lS6_T11_S5_li.private_seg_size, 0
	.set _ZL29rocblas_internal_gemmt_kernelIiLi16ELi32ELi8ELc67ELc78ELc85ELb1ELb0E19rocblas_complex_numIfEPKS1_S3_PS1_EviT_T9_T10_S5_lS7_S5_lS6_T11_S5_li.uses_vcc, 1
	.set _ZL29rocblas_internal_gemmt_kernelIiLi16ELi32ELi8ELc67ELc78ELc85ELb1ELb0E19rocblas_complex_numIfEPKS1_S3_PS1_EviT_T9_T10_S5_lS7_S5_lS6_T11_S5_li.uses_flat_scratch, 0
	.set _ZL29rocblas_internal_gemmt_kernelIiLi16ELi32ELi8ELc67ELc78ELc85ELb1ELb0E19rocblas_complex_numIfEPKS1_S3_PS1_EviT_T9_T10_S5_lS7_S5_lS6_T11_S5_li.has_dyn_sized_stack, 0
	.set _ZL29rocblas_internal_gemmt_kernelIiLi16ELi32ELi8ELc67ELc78ELc85ELb1ELb0E19rocblas_complex_numIfEPKS1_S3_PS1_EviT_T9_T10_S5_lS7_S5_lS6_T11_S5_li.has_recursion, 0
	.set _ZL29rocblas_internal_gemmt_kernelIiLi16ELi32ELi8ELc67ELc78ELc85ELb1ELb0E19rocblas_complex_numIfEPKS1_S3_PS1_EviT_T9_T10_S5_lS7_S5_lS6_T11_S5_li.has_indirect_call, 0
	.section	.AMDGPU.csdata,"",@progbits
; Kernel info:
; codeLenInByte = 2500
; TotalNumSgprs: 35
; NumVgprs: 54
; NumAgprs: 0
; TotalNumVgprs: 54
; ScratchSize: 0
; MemoryBound: 0
; FloatMode: 240
; IeeeMode: 1
; LDSByteSize: 4096 bytes/workgroup (compile time only)
; SGPRBlocks: 4
; VGPRBlocks: 6
; NumSGPRsForWavesPerEU: 35
; NumVGPRsForWavesPerEU: 54
; AccumOffset: 56
; Occupancy: 8
; WaveLimiterHint : 0
; COMPUTE_PGM_RSRC2:SCRATCH_EN: 0
; COMPUTE_PGM_RSRC2:USER_SGPR: 2
; COMPUTE_PGM_RSRC2:TRAP_HANDLER: 0
; COMPUTE_PGM_RSRC2:TGID_X_EN: 1
; COMPUTE_PGM_RSRC2:TGID_Y_EN: 1
; COMPUTE_PGM_RSRC2:TGID_Z_EN: 1
; COMPUTE_PGM_RSRC2:TIDIG_COMP_CNT: 1
; COMPUTE_PGM_RSRC3_GFX90A:ACCUM_OFFSET: 13
; COMPUTE_PGM_RSRC3_GFX90A:TG_SPLIT: 0
	.section	.text._ZL29rocblas_internal_gemmt_kernelIiLi16ELi32ELi8ELc67ELc84ELc85ELb1ELb0E19rocblas_complex_numIfEPKS1_S3_PS1_EviT_T9_T10_S5_lS7_S5_lS6_T11_S5_li,"axG",@progbits,_ZL29rocblas_internal_gemmt_kernelIiLi16ELi32ELi8ELc67ELc84ELc85ELb1ELb0E19rocblas_complex_numIfEPKS1_S3_PS1_EviT_T9_T10_S5_lS7_S5_lS6_T11_S5_li,comdat
	.globl	_ZL29rocblas_internal_gemmt_kernelIiLi16ELi32ELi8ELc67ELc84ELc85ELb1ELb0E19rocblas_complex_numIfEPKS1_S3_PS1_EviT_T9_T10_S5_lS7_S5_lS6_T11_S5_li ; -- Begin function _ZL29rocblas_internal_gemmt_kernelIiLi16ELi32ELi8ELc67ELc84ELc85ELb1ELb0E19rocblas_complex_numIfEPKS1_S3_PS1_EviT_T9_T10_S5_lS7_S5_lS6_T11_S5_li
	.p2align	8
	.type	_ZL29rocblas_internal_gemmt_kernelIiLi16ELi32ELi8ELc67ELc84ELc85ELb1ELb0E19rocblas_complex_numIfEPKS1_S3_PS1_EviT_T9_T10_S5_lS7_S5_lS6_T11_S5_li,@function
_ZL29rocblas_internal_gemmt_kernelIiLi16ELi32ELi8ELc67ELc84ELc85ELb1ELb0E19rocblas_complex_numIfEPKS1_S3_PS1_EviT_T9_T10_S5_lS7_S5_lS6_T11_S5_li: ; @_ZL29rocblas_internal_gemmt_kernelIiLi16ELi32ELi8ELc67ELc84ELc85ELb1ELb0E19rocblas_complex_numIfEPKS1_S3_PS1_EviT_T9_T10_S5_lS7_S5_lS6_T11_S5_li
; %bb.0:
	s_load_dwordx4 s[8:11], s[0:1], 0x38
	s_load_dwordx4 s[12:15], s[0:1], 0x8
	s_waitcnt lgkmcnt(0)
	s_load_dwordx2 s[6:7], s[10:11], 0x0
	s_load_dwordx2 s[22:23], s[0:1], 0x0
	;; [unrolled: 1-line block ×3, first 2 shown]
	s_waitcnt lgkmcnt(0)
	s_and_b32 s5, s7, 0x7fffffff
	s_cmp_eq_u32 s5, 0
	v_cmp_eq_f32_e64 s[12:13], s6, 1.0
	s_cselect_b64 s[10:11], -1, 0
	s_and_b64 s[12:13], s[12:13], s[10:11]
	s_and_b64 vcc, exec, s[12:13]
	s_cbranch_vccnz .LBB79_2
; %bb.1:
	s_mov_b64 s[12:13], -1
	s_cbranch_execz .LBB79_3
	s_branch .LBB79_4
.LBB79_2:
	s_mov_b64 s[12:13], 0
.LBB79_3:
	s_cmp_lg_u32 s23, 0
	v_cmp_neq_f32_e64 s[16:17], s20, 0
	v_cmp_neq_f32_e64 s[18:19], s21, 0
	s_cselect_b64 s[12:13], -1, 0
	s_or_b64 s[16:17], s[16:17], s[18:19]
	s_and_b64 s[12:13], s[12:13], s[16:17]
.LBB79_4:
	s_andn2_b64 vcc, exec, s[12:13]
	s_cbranch_vccnz .LBB79_30
; %bb.5:
	s_lshl_b32 s5, s2, 5
	s_lshl_b32 s24, s3, 5
	v_cmp_eq_f32_e64 s[2:3], s20, 0
	v_cmp_eq_f32_e64 s[16:17], s21, 0
	s_load_dwordx2 s[12:13], s[0:1], 0x48
	s_and_b64 s[2:3], s[2:3], s[16:17]
	s_cmp_lt_i32 s23, 1
	s_cselect_b64 s[16:17], -1, 0
	s_or_b64 s[2:3], s[2:3], s[16:17]
	v_and_b32_e32 v17, 0x3ff, v0
	v_bfe_u32 v15, v0, 10, 10
	s_mov_b32 s25, 0
	v_mov_b32_e32 v24, 0
	s_and_b64 vcc, exec, s[2:3]
	v_mov_b32_e32 v26, 0
	v_mov_b32_e32 v20, 0
	;; [unrolled: 1-line block ×7, first 2 shown]
	s_cbranch_vccnz .LBB79_14
; %bb.6:
	v_lshl_add_u32 v1, v15, 4, v17
	v_and_b32_e32 v3, 31, v1
	v_lshrrev_b32_e32 v21, 5, v1
	v_lshrrev_b32_e32 v2, 3, v1
	v_or_b32_e32 v1, s5, v3
	s_load_dword s28, s[0:1], 0x18
	s_load_dword s26, s[0:1], 0x30
	s_load_dwordx4 s[16:19], s[0:1], 0x20
	v_and_b32_e32 v19, 7, v17
	v_cmp_gt_i32_e64 s[2:3], s22, v1
	v_lshlrev_b32_e32 v1, 3, v3
	v_lshl_or_b32 v23, v21, 8, v1
	v_lshlrev_b32_e32 v1, 3, v19
	v_add_u32_e32 v0, s24, v2
	v_lshl_or_b32 v1, v2, 6, v1
	v_mov_b32_e32 v2, 0x800
	v_lshl_add_u32 v28, v15, 6, v2
	v_add_u32_e32 v2, s5, v3
	s_waitcnt lgkmcnt(0)
	v_mad_i64_i32 v[2:3], s[28:29], s28, v2, 0
	s_mul_i32 s17, s17, s4
	s_mul_hi_u32 s28, s16, s4
	s_add_i32 s17, s28, s17
	s_mul_i32 s16, s16, s4
	s_lshl_b64 s[16:17], s[16:17], 3
	v_lshl_add_u64 v[2:3], v[2:3], 3, s[16:17]
	v_lshlrev_b32_e32 v8, 3, v21
	v_mov_b32_e32 v9, 0
	v_lshl_add_u64 v[2:3], v[2:3], 0, v[8:9]
	v_lshl_add_u64 v[2:3], s[14:15], 0, v[2:3]
	s_mul_i32 s9, s9, s4
	s_mul_hi_u32 s14, s8, s4
	v_lshl_add_u64 v[10:11], v[2:3], 0, 4
	s_add_i32 s9, s14, s9
	v_mad_i64_i32 v[2:3], s[14:15], s26, v19, 0
	s_mul_i32 s8, s8, s4
	v_lshlrev_b64 v[2:3], 3, v[2:3]
	v_add_u32_e32 v25, 0x800, v1
	v_ashrrev_i32_e32 v1, 31, v0
	v_lshl_add_u64 v[2:3], s[8:9], 3, v[2:3]
	s_ashr_i32 s27, s26, 31
	v_cmp_gt_i32_e32 vcc, s22, v0
	v_lshl_add_u64 v[0:1], v[0:1], 3, v[2:3]
	v_lshlrev_b32_e32 v27, 3, v17
	v_lshl_add_u64 v[12:13], s[18:19], 0, v[0:1]
	s_lshl_b64 s[8:9], s[26:27], 6
	s_xor_b64 s[14:15], s[2:3], -1
	v_mov_b32_e32 v14, 0
	v_mov_b32_e32 v8, 0
	;; [unrolled: 1-line block ×8, first 2 shown]
	s_branch .LBB79_8
.LBB79_7:                               ;   in Loop: Header=BB79_8 Depth=1
	s_or_b64 exec, exec, s[2:3]
	s_waitcnt vmcnt(0)
	ds_write_b64 v25, v[2:3]
	s_waitcnt lgkmcnt(0)
	s_barrier
	ds_read2_b64 v[30:33], v27 offset1:16
	ds_read_b128 v[34:37], v28
	ds_read_b128 v[38:41], v28 offset:16
	ds_read_b128 v[4:7], v28 offset:32
	;; [unrolled: 1-line block ×3, first 2 shown]
	ds_read2_b64 v[50:53], v27 offset0:32 offset1:48
	s_waitcnt lgkmcnt(4)
	v_mul_f32_e32 v42, v34, v31
	v_fmac_f32_e32 v42, v35, v30
	v_add_f32_e32 v26, v26, v42
	ds_read_b128 v[42:45], v28 offset:1024
	ds_read_b128 v[46:49], v28 offset:1040
	v_mul_f32_e32 v29, v35, v31
	v_fma_f32 v29, v34, v30, -v29
	v_add_f32_e32 v24, v24, v29
	v_mul_f32_e32 v29, v35, v33
	v_fma_f32 v29, v34, v32, -v29
	v_add_f32_e32 v20, v20, v29
	s_waitcnt lgkmcnt(1)
	v_mul_f32_e32 v29, v43, v31
	v_mul_f32_e32 v31, v42, v31
	v_fma_f32 v29, v42, v30, -v29
	v_fmac_f32_e32 v31, v43, v30
	v_mul_f32_e32 v30, v42, v33
	v_fmac_f32_e32 v30, v43, v32
	v_add_f32_e32 v14, v14, v30
	v_mul_f32_e32 v30, v36, v51
	v_mul_f32_e32 v34, v34, v33
	v_fmac_f32_e32 v30, v37, v50
	v_fmac_f32_e32 v34, v35, v32
	v_add_f32_e32 v26, v26, v30
	v_mul_f32_e32 v30, v36, v53
	v_add_f32_e32 v22, v22, v34
	v_add_f32_e32 v16, v16, v29
	v_mul_f32_e32 v29, v43, v33
	v_fmac_f32_e32 v30, v37, v52
	v_fma_f32 v29, v42, v32, -v29
	v_add_f32_e32 v22, v22, v30
	v_mul_f32_e32 v30, v44, v51
	v_add_f32_e32 v18, v18, v31
	v_add_f32_e32 v8, v8, v29
	v_mul_f32_e32 v29, v37, v51
	v_fmac_f32_e32 v30, v45, v50
	v_fma_f32 v29, v36, v50, -v29
	v_add_f32_e32 v18, v18, v30
	ds_read2_b64 v[30:33], v27 offset0:64 offset1:80
	v_add_f32_e32 v24, v24, v29
	v_mul_f32_e32 v29, v37, v53
	v_fma_f32 v29, v36, v52, -v29
	v_add_f32_e32 v20, v20, v29
	v_mul_f32_e32 v29, v45, v51
	v_mul_f32_e32 v34, v44, v53
	v_fma_f32 v29, v44, v50, -v29
	v_fmac_f32_e32 v34, v45, v52
	v_add_f32_e32 v16, v16, v29
	v_mul_f32_e32 v29, v45, v53
	v_add_f32_e32 v14, v14, v34
	s_waitcnt lgkmcnt(0)
	v_mul_f32_e32 v34, v38, v31
	v_fma_f32 v29, v44, v52, -v29
	v_fmac_f32_e32 v34, v39, v30
	v_add_f32_e32 v8, v8, v29
	v_mul_f32_e32 v29, v39, v31
	v_add_f32_e32 v26, v26, v34
	v_mul_f32_e32 v34, v38, v33
	v_fma_f32 v29, v38, v30, -v29
	v_fmac_f32_e32 v34, v39, v32
	v_add_f32_e32 v24, v24, v29
	v_mul_f32_e32 v29, v39, v33
	v_add_f32_e32 v22, v22, v34
	ds_read2_b64 v[34:37], v27 offset0:96 offset1:112
	v_fma_f32 v29, v38, v32, -v29
	v_add_f32_e32 v20, v20, v29
	v_mul_f32_e32 v29, v47, v31
	v_mul_f32_e32 v31, v46, v31
	v_fma_f32 v29, v46, v30, -v29
	v_fmac_f32_e32 v31, v47, v30
	v_mul_f32_e32 v30, v46, v33
	v_fmac_f32_e32 v30, v47, v32
	v_add_f32_e32 v14, v14, v30
	s_waitcnt lgkmcnt(0)
	v_mul_f32_e32 v30, v40, v35
	v_fmac_f32_e32 v30, v41, v34
	v_add_f32_e32 v16, v16, v29
	v_mul_f32_e32 v29, v47, v33
	v_add_f32_e32 v26, v26, v30
	v_mul_f32_e32 v30, v40, v37
	v_fma_f32 v29, v46, v32, -v29
	v_fmac_f32_e32 v30, v41, v36
	v_add_f32_e32 v8, v8, v29
	v_mul_f32_e32 v29, v41, v35
	v_add_f32_e32 v22, v22, v30
	v_mul_f32_e32 v30, v48, v35
	v_add_f32_e32 v18, v18, v31
	v_fma_f32 v29, v40, v34, -v29
	v_fmac_f32_e32 v30, v49, v34
	v_add_f32_e32 v24, v24, v29
	v_mul_f32_e32 v29, v41, v37
	v_add_f32_e32 v18, v18, v30
	ds_read2_b64 v[30:33], v27 offset0:128 offset1:144
	v_fma_f32 v29, v40, v36, -v29
	v_add_f32_e32 v20, v20, v29
	v_mul_f32_e32 v29, v49, v35
	v_fma_f32 v29, v48, v34, -v29
	v_mul_f32_e32 v34, v48, v37
	v_fmac_f32_e32 v34, v49, v36
	v_add_f32_e32 v14, v14, v34
	s_waitcnt lgkmcnt(0)
	v_mul_f32_e32 v34, v4, v31
	v_add_f32_e32 v16, v16, v29
	v_mul_f32_e32 v29, v49, v37
	v_fmac_f32_e32 v34, v5, v30
	v_fma_f32 v29, v48, v36, -v29
	v_add_f32_e32 v26, v26, v34
	ds_read_b128 v[34:37], v28 offset:1056
	ds_read_b128 v[38:41], v28 offset:1072
	v_add_f32_e32 v8, v8, v29
	v_mul_f32_e32 v29, v5, v31
	v_fma_f32 v29, v4, v30, -v29
	v_add_f32_e32 v24, v24, v29
	v_mul_f32_e32 v29, v5, v33
	v_fma_f32 v29, v4, v32, -v29
	v_mul_f32_e32 v4, v4, v33
	ds_read2_b64 v[42:45], v27 offset0:160 offset1:176
	v_fmac_f32_e32 v4, v5, v32
	v_add_f32_e32 v5, v20, v29
	s_waitcnt lgkmcnt(2)
	v_mul_f32_e32 v20, v35, v31
	v_fma_f32 v20, v34, v30, -v20
	v_add_f32_e32 v16, v16, v20
	v_mul_f32_e32 v20, v35, v33
	v_add_f32_e32 v4, v22, v4
	v_mul_f32_e32 v22, v34, v31
	v_fma_f32 v20, v34, v32, -v20
	v_fmac_f32_e32 v22, v35, v30
	v_add_f32_e32 v8, v8, v20
	s_waitcnt lgkmcnt(0)
	v_mul_f32_e32 v20, v7, v43
	v_add_f32_e32 v18, v18, v22
	v_mul_f32_e32 v22, v34, v33
	v_fma_f32 v20, v6, v42, -v20
	v_fmac_f32_e32 v22, v35, v32
	v_add_f32_e32 v20, v24, v20
	v_mul_f32_e32 v24, v7, v45
	v_add_f32_e32 v14, v14, v22
	v_mul_f32_e32 v22, v6, v43
	v_fma_f32 v24, v6, v44, -v24
	v_mul_f32_e32 v6, v6, v45
	v_fmac_f32_e32 v22, v7, v42
	v_fmac_f32_e32 v6, v7, v44
	v_add_f32_e32 v22, v26, v22
	v_add_f32_e32 v26, v4, v6
	v_mul_f32_e32 v4, v37, v43
	v_add_f32_e32 v24, v5, v24
	v_fma_f32 v4, v36, v42, -v4
	v_mul_f32_e32 v5, v36, v43
	v_fmac_f32_e32 v5, v37, v42
	v_add_f32_e32 v16, v16, v4
	v_mul_f32_e32 v4, v37, v45
	v_add_f32_e32 v18, v18, v5
	v_fma_f32 v29, v36, v44, -v4
	ds_read2_b64 v[4:7], v27 offset0:192 offset1:208
	v_mul_f32_e32 v30, v36, v45
	v_fmac_f32_e32 v30, v37, v44
	v_add_f32_e32 v8, v8, v29
	v_add_f32_e32 v14, v14, v30
	s_waitcnt lgkmcnt(0)
	v_mul_f32_e32 v29, v1, v5
	v_fma_f32 v29, v0, v4, -v29
	v_mul_f32_e32 v30, v0, v5
	v_fmac_f32_e32 v30, v1, v4
	v_add_f32_e32 v20, v20, v29
	v_mul_f32_e32 v29, v1, v7
	v_add_f32_e32 v22, v22, v30
	v_fma_f32 v29, v0, v6, -v29
	v_mul_f32_e32 v0, v0, v7
	ds_read2_b64 v[30:33], v27 offset0:224 offset1:240
	v_fmac_f32_e32 v0, v1, v6
	v_add_f32_e32 v1, v24, v29
	v_mul_f32_e32 v24, v39, v5
	v_fma_f32 v24, v38, v4, -v24
	v_mul_f32_e32 v5, v38, v5
	v_fmac_f32_e32 v5, v39, v4
	v_add_f32_e32 v4, v16, v24
	v_mul_f32_e32 v16, v39, v7
	v_fma_f32 v16, v38, v6, -v16
	v_mul_f32_e32 v7, v38, v7
	v_fmac_f32_e32 v7, v39, v6
	v_add_f32_e32 v6, v8, v16
	s_waitcnt lgkmcnt(0)
	v_mul_f32_e32 v8, v3, v31
	v_fma_f32 v8, v2, v30, -v8
	v_add_f32_e32 v24, v20, v8
	v_mul_f32_e32 v8, v3, v33
	v_add_f32_e32 v7, v14, v7
	v_mul_f32_e32 v14, v2, v31
	v_fma_f32 v8, v2, v32, -v8
	v_mul_f32_e32 v2, v2, v33
	v_add_f32_e32 v0, v26, v0
	v_fmac_f32_e32 v14, v3, v30
	v_fmac_f32_e32 v2, v3, v32
	v_add_f32_e32 v26, v22, v14
	v_add_f32_e32 v20, v1, v8
	;; [unrolled: 1-line block ×3, first 2 shown]
	v_mul_f32_e32 v0, v41, v31
	v_mul_f32_e32 v1, v40, v31
	v_add_f32_e32 v5, v18, v5
	v_fma_f32 v0, v40, v30, -v0
	v_fmac_f32_e32 v1, v41, v30
	v_add_f32_e32 v16, v4, v0
	v_add_f32_e32 v18, v5, v1
	v_mul_f32_e32 v0, v41, v33
	v_mul_f32_e32 v1, v40, v33
	v_fma_f32 v0, v40, v32, -v0
	v_fmac_f32_e32 v1, v41, v32
	s_add_i32 s25, s25, 8
	v_add_f32_e32 v8, v6, v0
	v_add_f32_e32 v14, v7, v1
	v_lshl_add_u64 v[10:11], v[10:11], 0, 64
	s_cmp_lt_i32 s25, s23
	v_lshl_add_u64 v[12:13], v[12:13], 0, s[8:9]
	s_barrier
	s_cbranch_scc0 .LBB79_14
.LBB79_8:                               ; =>This Inner Loop Header: Depth=1
	v_add_u32_e32 v0, s25, v21
	v_cmp_le_i32_e64 s[2:3], s23, v0
	s_or_b64 s[2:3], s[14:15], s[2:3]
	s_and_saveexec_b64 s[16:17], s[2:3]
	s_xor_b64 s[2:3], exec, s[16:17]
; %bb.9:                                ;   in Loop: Header=BB79_8 Depth=1
	ds_write_b32 v23, v9
; %bb.10:                               ;   in Loop: Header=BB79_8 Depth=1
	s_or_saveexec_b64 s[2:3], s[2:3]
	v_mov_b32_e32 v2, 0
	v_mov_b32_e32 v0, 0
	s_xor_b64 exec, exec, s[2:3]
	s_cbranch_execz .LBB79_12
; %bb.11:                               ;   in Loop: Header=BB79_8 Depth=1
	global_load_dwordx2 v[4:5], v[10:11], off offset:-4
	s_waitcnt vmcnt(0)
	v_xor_b32_e32 v0, 0x80000000, v5
	ds_write_b32 v23, v4
.LBB79_12:                              ;   in Loop: Header=BB79_8 Depth=1
	s_or_b64 exec, exec, s[2:3]
	ds_write_b32 v23, v0 offset:4
	v_add_u32_e32 v0, s25, v19
	v_cmp_gt_i32_e64 s[2:3], s23, v0
	s_and_b64 s[16:17], s[2:3], vcc
	v_mov_b32_e32 v3, 0
	s_and_saveexec_b64 s[2:3], s[16:17]
	s_cbranch_execz .LBB79_7
; %bb.13:                               ;   in Loop: Header=BB79_8 Depth=1
	global_load_dwordx2 v[2:3], v[12:13], off
	s_branch .LBB79_7
.LBB79_14:
	s_load_dwordx2 s[2:3], s[0:1], 0x58
	s_load_dword s14, s[0:1], 0x50
	v_add_u32_e32 v0, s5, v17
	v_add_u32_e32 v9, s24, v15
	v_cmp_le_i32_e32 vcc, v0, v9
	s_waitcnt lgkmcnt(0)
	s_mul_i32 s1, s3, s4
	s_mul_hi_u32 s3, s2, s4
	s_mul_i32 s0, s2, s4
	s_add_i32 s1, s3, s1
	s_lshl_b64 s[0:1], s[0:1], 3
	s_add_u32 s4, s12, s0
	s_addc_u32 s5, s13, s1
	v_cmp_neq_f32_e64 s[0:1], s6, 0
	s_xor_b64 s[8:9], s[10:11], -1
	v_mad_i64_i32 v[2:3], s[10:11], v9, s14, 0
	s_or_b64 s[0:1], s[0:1], s[8:9]
	v_cmp_gt_i32_e64 s[2:3], s22, v9
	v_lshl_add_u64 v[4:5], v[2:3], 3, s[4:5]
	v_cndmask_b32_e64 v2, 0, 1, s[0:1]
	s_and_b64 s[10:11], s[2:3], vcc
	v_ashrrev_i32_e32 v1, 31, v0
	v_cmp_ne_u32_e64 s[0:1], 1, v2
	s_and_saveexec_b64 s[8:9], s[10:11]
	s_cbranch_execz .LBB79_18
; %bb.15:
	v_pk_mul_f32 v[6:7], v[26:27], s[20:21] op_sel:[0,1] op_sel_hi:[0,0]
	v_pk_fma_f32 v[2:3], v[24:25], s[20:21], v[6:7] op_sel_hi:[0,1,1] neg_lo:[0,0,1] neg_hi:[0,0,1]
	v_pk_fma_f32 v[10:11], v[24:25], s[20:21], v[6:7] op_sel_hi:[0,1,1]
	s_and_b64 vcc, exec, s[0:1]
	v_lshl_add_u64 v[6:7], v[0:1], 3, v[4:5]
	s_cbranch_vccnz .LBB79_17
; %bb.16:
	global_load_dwordx2 v[12:13], v[6:7], off
	s_mov_b32 s10, s7
	v_mov_b32_e32 v3, v11
	s_waitcnt vmcnt(0)
	v_pk_mul_f32 v[10:11], v[12:13], s[10:11] op_sel:[1,0] op_sel_hi:[0,0]
	v_pk_fma_f32 v[24:25], v[12:13], s[6:7], v[10:11] neg_lo:[0,0,1] neg_hi:[0,0,1]
	v_pk_fma_f32 v[10:11], v[12:13], s[6:7], v[10:11] op_sel_hi:[1,0,1]
	s_nop 0
	v_mov_b32_e32 v25, v11
	v_pk_add_f32 v[2:3], v[2:3], v[24:25]
	s_nop 0
	v_mov_b32_e32 v11, v3
.LBB79_17:
	v_mov_b32_e32 v3, v11
	global_store_dwordx2 v[6:7], v[2:3], off
.LBB79_18:
	s_or_b64 exec, exec, s[8:9]
	v_add_u32_e32 v2, 16, v0
	v_cmp_le_i32_e32 vcc, v2, v9
	s_and_b64 s[8:9], s[2:3], vcc
	v_ashrrev_i32_e32 v3, 31, v2
	s_and_saveexec_b64 s[2:3], s[8:9]
	s_cbranch_execz .LBB79_22
; %bb.19:
	v_pk_mul_f32 v[10:11], v[22:23], s[20:21] op_sel:[0,1] op_sel_hi:[0,0]
	v_pk_fma_f32 v[6:7], v[20:21], s[20:21], v[10:11] op_sel_hi:[0,1,1] neg_lo:[0,0,1] neg_hi:[0,0,1]
	v_pk_fma_f32 v[10:11], v[20:21], s[20:21], v[10:11] op_sel_hi:[0,1,1]
	s_and_b64 vcc, exec, s[0:1]
	v_lshl_add_u64 v[4:5], v[2:3], 3, v[4:5]
	s_cbranch_vccnz .LBB79_21
; %bb.20:
	global_load_dwordx2 v[12:13], v[4:5], off
	s_mov_b32 s8, s7
	v_mov_b32_e32 v7, v11
	s_waitcnt vmcnt(0)
	v_pk_mul_f32 v[10:11], v[12:13], s[8:9] op_sel:[1,0] op_sel_hi:[0,0]
	v_pk_fma_f32 v[20:21], v[12:13], s[6:7], v[10:11] neg_lo:[0,0,1] neg_hi:[0,0,1]
	v_pk_fma_f32 v[10:11], v[12:13], s[6:7], v[10:11] op_sel_hi:[1,0,1]
	s_nop 0
	v_mov_b32_e32 v21, v11
	v_pk_add_f32 v[6:7], v[6:7], v[20:21]
	s_nop 0
	v_mov_b32_e32 v11, v7
.LBB79_21:
	v_mov_b32_e32 v7, v11
	global_store_dwordx2 v[4:5], v[6:7], off
.LBB79_22:
	s_or_b64 exec, exec, s[2:3]
	v_add_u32_e32 v9, 16, v9
	v_cmp_gt_i32_e64 s[2:3], s22, v9
	v_mad_i64_i32 v[4:5], s[8:9], v9, s14, 0
	v_cmp_le_i32_e32 vcc, v0, v9
	v_lshl_add_u64 v[4:5], v[4:5], 3, s[4:5]
	s_and_b64 s[8:9], s[2:3], vcc
	s_and_saveexec_b64 s[4:5], s[8:9]
	s_cbranch_execz .LBB79_26
; %bb.23:
	v_pk_mul_f32 v[10:11], v[18:19], s[20:21] op_sel:[0,1] op_sel_hi:[0,0]
	v_pk_fma_f32 v[6:7], v[16:17], s[20:21], v[10:11] op_sel_hi:[0,1,1] neg_lo:[0,0,1] neg_hi:[0,0,1]
	v_pk_fma_f32 v[10:11], v[16:17], s[20:21], v[10:11] op_sel_hi:[0,1,1]
	s_and_b64 vcc, exec, s[0:1]
	v_lshl_add_u64 v[0:1], v[0:1], 3, v[4:5]
	s_cbranch_vccnz .LBB79_25
; %bb.24:
	global_load_dwordx2 v[12:13], v[0:1], off
	s_mov_b32 s8, s7
	v_mov_b32_e32 v7, v11
	s_waitcnt vmcnt(0)
	v_pk_mul_f32 v[10:11], v[12:13], s[8:9] op_sel:[1,0] op_sel_hi:[0,0]
	v_pk_fma_f32 v[16:17], v[12:13], s[6:7], v[10:11] neg_lo:[0,0,1] neg_hi:[0,0,1]
	v_pk_fma_f32 v[10:11], v[12:13], s[6:7], v[10:11] op_sel_hi:[1,0,1]
	s_nop 0
	v_mov_b32_e32 v17, v11
	v_pk_add_f32 v[6:7], v[6:7], v[16:17]
	s_nop 0
	v_mov_b32_e32 v11, v7
.LBB79_25:
	v_mov_b32_e32 v7, v11
	global_store_dwordx2 v[0:1], v[6:7], off
.LBB79_26:
	s_or_b64 exec, exec, s[4:5]
	v_cmp_le_i32_e32 vcc, v2, v9
	s_and_b64 s[2:3], s[2:3], vcc
	s_and_saveexec_b64 s[4:5], s[2:3]
	s_cbranch_execz .LBB79_30
; %bb.27:
	v_pk_mul_f32 v[6:7], v[14:15], s[20:21] op_sel:[0,1] op_sel_hi:[0,0]
	v_pk_fma_f32 v[0:1], v[8:9], s[20:21], v[6:7] op_sel_hi:[0,1,1] neg_lo:[0,0,1] neg_hi:[0,0,1]
	v_pk_fma_f32 v[6:7], v[8:9], s[20:21], v[6:7] op_sel_hi:[0,1,1]
	s_and_b64 vcc, exec, s[0:1]
	v_lshl_add_u64 v[2:3], v[2:3], 3, v[4:5]
	s_cbranch_vccnz .LBB79_29
; %bb.28:
	global_load_dwordx2 v[4:5], v[2:3], off
	s_mov_b32 s0, s7
	v_mov_b32_e32 v1, v7
	s_waitcnt vmcnt(0)
	v_pk_mul_f32 v[6:7], v[4:5], s[0:1] op_sel:[1,0] op_sel_hi:[0,0]
	v_pk_fma_f32 v[8:9], v[4:5], s[6:7], v[6:7] neg_lo:[0,0,1] neg_hi:[0,0,1]
	v_pk_fma_f32 v[4:5], v[4:5], s[6:7], v[6:7] op_sel_hi:[1,0,1]
	s_nop 0
	v_mov_b32_e32 v9, v5
	v_pk_add_f32 v[0:1], v[0:1], v[8:9]
	s_nop 0
	v_mov_b32_e32 v7, v1
.LBB79_29:
	v_mov_b32_e32 v1, v7
	global_store_dwordx2 v[2:3], v[0:1], off
.LBB79_30:
	s_endpgm
	.section	.rodata,"a",@progbits
	.p2align	6, 0x0
	.amdhsa_kernel _ZL29rocblas_internal_gemmt_kernelIiLi16ELi32ELi8ELc67ELc84ELc85ELb1ELb0E19rocblas_complex_numIfEPKS1_S3_PS1_EviT_T9_T10_S5_lS7_S5_lS6_T11_S5_li
		.amdhsa_group_segment_fixed_size 4096
		.amdhsa_private_segment_fixed_size 0
		.amdhsa_kernarg_size 100
		.amdhsa_user_sgpr_count 2
		.amdhsa_user_sgpr_dispatch_ptr 0
		.amdhsa_user_sgpr_queue_ptr 0
		.amdhsa_user_sgpr_kernarg_segment_ptr 1
		.amdhsa_user_sgpr_dispatch_id 0
		.amdhsa_user_sgpr_kernarg_preload_length 0
		.amdhsa_user_sgpr_kernarg_preload_offset 0
		.amdhsa_user_sgpr_private_segment_size 0
		.amdhsa_uses_dynamic_stack 0
		.amdhsa_enable_private_segment 0
		.amdhsa_system_sgpr_workgroup_id_x 1
		.amdhsa_system_sgpr_workgroup_id_y 1
		.amdhsa_system_sgpr_workgroup_id_z 1
		.amdhsa_system_sgpr_workgroup_info 0
		.amdhsa_system_vgpr_workitem_id 1
		.amdhsa_next_free_vgpr 54
		.amdhsa_next_free_sgpr 30
		.amdhsa_accum_offset 56
		.amdhsa_reserve_vcc 1
		.amdhsa_float_round_mode_32 0
		.amdhsa_float_round_mode_16_64 0
		.amdhsa_float_denorm_mode_32 3
		.amdhsa_float_denorm_mode_16_64 3
		.amdhsa_dx10_clamp 1
		.amdhsa_ieee_mode 1
		.amdhsa_fp16_overflow 0
		.amdhsa_tg_split 0
		.amdhsa_exception_fp_ieee_invalid_op 0
		.amdhsa_exception_fp_denorm_src 0
		.amdhsa_exception_fp_ieee_div_zero 0
		.amdhsa_exception_fp_ieee_overflow 0
		.amdhsa_exception_fp_ieee_underflow 0
		.amdhsa_exception_fp_ieee_inexact 0
		.amdhsa_exception_int_div_zero 0
	.end_amdhsa_kernel
	.section	.text._ZL29rocblas_internal_gemmt_kernelIiLi16ELi32ELi8ELc67ELc84ELc85ELb1ELb0E19rocblas_complex_numIfEPKS1_S3_PS1_EviT_T9_T10_S5_lS7_S5_lS6_T11_S5_li,"axG",@progbits,_ZL29rocblas_internal_gemmt_kernelIiLi16ELi32ELi8ELc67ELc84ELc85ELb1ELb0E19rocblas_complex_numIfEPKS1_S3_PS1_EviT_T9_T10_S5_lS7_S5_lS6_T11_S5_li,comdat
.Lfunc_end79:
	.size	_ZL29rocblas_internal_gemmt_kernelIiLi16ELi32ELi8ELc67ELc84ELc85ELb1ELb0E19rocblas_complex_numIfEPKS1_S3_PS1_EviT_T9_T10_S5_lS7_S5_lS6_T11_S5_li, .Lfunc_end79-_ZL29rocblas_internal_gemmt_kernelIiLi16ELi32ELi8ELc67ELc84ELc85ELb1ELb0E19rocblas_complex_numIfEPKS1_S3_PS1_EviT_T9_T10_S5_lS7_S5_lS6_T11_S5_li
                                        ; -- End function
	.set _ZL29rocblas_internal_gemmt_kernelIiLi16ELi32ELi8ELc67ELc84ELc85ELb1ELb0E19rocblas_complex_numIfEPKS1_S3_PS1_EviT_T9_T10_S5_lS7_S5_lS6_T11_S5_li.num_vgpr, 54
	.set _ZL29rocblas_internal_gemmt_kernelIiLi16ELi32ELi8ELc67ELc84ELc85ELb1ELb0E19rocblas_complex_numIfEPKS1_S3_PS1_EviT_T9_T10_S5_lS7_S5_lS6_T11_S5_li.num_agpr, 0
	.set _ZL29rocblas_internal_gemmt_kernelIiLi16ELi32ELi8ELc67ELc84ELc85ELb1ELb0E19rocblas_complex_numIfEPKS1_S3_PS1_EviT_T9_T10_S5_lS7_S5_lS6_T11_S5_li.numbered_sgpr, 30
	.set _ZL29rocblas_internal_gemmt_kernelIiLi16ELi32ELi8ELc67ELc84ELc85ELb1ELb0E19rocblas_complex_numIfEPKS1_S3_PS1_EviT_T9_T10_S5_lS7_S5_lS6_T11_S5_li.num_named_barrier, 0
	.set _ZL29rocblas_internal_gemmt_kernelIiLi16ELi32ELi8ELc67ELc84ELc85ELb1ELb0E19rocblas_complex_numIfEPKS1_S3_PS1_EviT_T9_T10_S5_lS7_S5_lS6_T11_S5_li.private_seg_size, 0
	.set _ZL29rocblas_internal_gemmt_kernelIiLi16ELi32ELi8ELc67ELc84ELc85ELb1ELb0E19rocblas_complex_numIfEPKS1_S3_PS1_EviT_T9_T10_S5_lS7_S5_lS6_T11_S5_li.uses_vcc, 1
	.set _ZL29rocblas_internal_gemmt_kernelIiLi16ELi32ELi8ELc67ELc84ELc85ELb1ELb0E19rocblas_complex_numIfEPKS1_S3_PS1_EviT_T9_T10_S5_lS7_S5_lS6_T11_S5_li.uses_flat_scratch, 0
	.set _ZL29rocblas_internal_gemmt_kernelIiLi16ELi32ELi8ELc67ELc84ELc85ELb1ELb0E19rocblas_complex_numIfEPKS1_S3_PS1_EviT_T9_T10_S5_lS7_S5_lS6_T11_S5_li.has_dyn_sized_stack, 0
	.set _ZL29rocblas_internal_gemmt_kernelIiLi16ELi32ELi8ELc67ELc84ELc85ELb1ELb0E19rocblas_complex_numIfEPKS1_S3_PS1_EviT_T9_T10_S5_lS7_S5_lS6_T11_S5_li.has_recursion, 0
	.set _ZL29rocblas_internal_gemmt_kernelIiLi16ELi32ELi8ELc67ELc84ELc85ELb1ELb0E19rocblas_complex_numIfEPKS1_S3_PS1_EviT_T9_T10_S5_lS7_S5_lS6_T11_S5_li.has_indirect_call, 0
	.section	.AMDGPU.csdata,"",@progbits
; Kernel info:
; codeLenInByte = 2512
; TotalNumSgprs: 36
; NumVgprs: 54
; NumAgprs: 0
; TotalNumVgprs: 54
; ScratchSize: 0
; MemoryBound: 0
; FloatMode: 240
; IeeeMode: 1
; LDSByteSize: 4096 bytes/workgroup (compile time only)
; SGPRBlocks: 4
; VGPRBlocks: 6
; NumSGPRsForWavesPerEU: 36
; NumVGPRsForWavesPerEU: 54
; AccumOffset: 56
; Occupancy: 8
; WaveLimiterHint : 0
; COMPUTE_PGM_RSRC2:SCRATCH_EN: 0
; COMPUTE_PGM_RSRC2:USER_SGPR: 2
; COMPUTE_PGM_RSRC2:TRAP_HANDLER: 0
; COMPUTE_PGM_RSRC2:TGID_X_EN: 1
; COMPUTE_PGM_RSRC2:TGID_Y_EN: 1
; COMPUTE_PGM_RSRC2:TGID_Z_EN: 1
; COMPUTE_PGM_RSRC2:TIDIG_COMP_CNT: 1
; COMPUTE_PGM_RSRC3_GFX90A:ACCUM_OFFSET: 13
; COMPUTE_PGM_RSRC3_GFX90A:TG_SPLIT: 0
	.section	.text._ZL29rocblas_internal_gemmt_kernelIiLi16ELi32ELi8ELc67ELc67ELc85ELb1ELb1E19rocblas_complex_numIfEPKS1_S3_PS1_EviT_T9_T10_S5_lS7_S5_lS6_T11_S5_li,"axG",@progbits,_ZL29rocblas_internal_gemmt_kernelIiLi16ELi32ELi8ELc67ELc67ELc85ELb1ELb1E19rocblas_complex_numIfEPKS1_S3_PS1_EviT_T9_T10_S5_lS7_S5_lS6_T11_S5_li,comdat
	.globl	_ZL29rocblas_internal_gemmt_kernelIiLi16ELi32ELi8ELc67ELc67ELc85ELb1ELb1E19rocblas_complex_numIfEPKS1_S3_PS1_EviT_T9_T10_S5_lS7_S5_lS6_T11_S5_li ; -- Begin function _ZL29rocblas_internal_gemmt_kernelIiLi16ELi32ELi8ELc67ELc67ELc85ELb1ELb1E19rocblas_complex_numIfEPKS1_S3_PS1_EviT_T9_T10_S5_lS7_S5_lS6_T11_S5_li
	.p2align	8
	.type	_ZL29rocblas_internal_gemmt_kernelIiLi16ELi32ELi8ELc67ELc67ELc85ELb1ELb1E19rocblas_complex_numIfEPKS1_S3_PS1_EviT_T9_T10_S5_lS7_S5_lS6_T11_S5_li,@function
_ZL29rocblas_internal_gemmt_kernelIiLi16ELi32ELi8ELc67ELc67ELc85ELb1ELb1E19rocblas_complex_numIfEPKS1_S3_PS1_EviT_T9_T10_S5_lS7_S5_lS6_T11_S5_li: ; @_ZL29rocblas_internal_gemmt_kernelIiLi16ELi32ELi8ELc67ELc67ELc85ELb1ELb1E19rocblas_complex_numIfEPKS1_S3_PS1_EviT_T9_T10_S5_lS7_S5_lS6_T11_S5_li
; %bb.0:
	s_load_dwordx4 s[8:11], s[0:1], 0x38
	s_load_dwordx4 s[12:15], s[0:1], 0x8
	s_waitcnt lgkmcnt(0)
	s_load_dwordx2 s[6:7], s[10:11], 0x0
	s_load_dwordx2 s[22:23], s[0:1], 0x0
	;; [unrolled: 1-line block ×3, first 2 shown]
	s_waitcnt lgkmcnt(0)
	s_and_b32 s5, s7, 0x7fffffff
	s_cmp_eq_u32 s5, 0
	v_cmp_eq_f32_e64 s[12:13], s6, 1.0
	s_cselect_b64 s[10:11], -1, 0
	s_and_b64 s[12:13], s[12:13], s[10:11]
	s_and_b64 vcc, exec, s[12:13]
	s_cbranch_vccnz .LBB80_2
; %bb.1:
	s_mov_b64 s[12:13], -1
	s_cbranch_execz .LBB80_3
	s_branch .LBB80_4
.LBB80_2:
	s_mov_b64 s[12:13], 0
.LBB80_3:
	s_cmp_lg_u32 s23, 0
	v_cmp_neq_f32_e64 s[16:17], s20, 0
	v_cmp_neq_f32_e64 s[18:19], s21, 0
	s_cselect_b64 s[12:13], -1, 0
	s_or_b64 s[16:17], s[16:17], s[18:19]
	s_and_b64 s[12:13], s[12:13], s[16:17]
.LBB80_4:
	s_andn2_b64 vcc, exec, s[12:13]
	s_cbranch_vccnz .LBB80_32
; %bb.5:
	s_lshl_b32 s5, s2, 5
	s_lshl_b32 s24, s3, 5
	v_cmp_eq_f32_e64 s[2:3], s20, 0
	v_cmp_eq_f32_e64 s[16:17], s21, 0
	s_load_dwordx2 s[12:13], s[0:1], 0x48
	s_and_b64 s[2:3], s[2:3], s[16:17]
	s_cmp_lt_i32 s23, 1
	s_cselect_b64 s[16:17], -1, 0
	s_or_b64 s[2:3], s[2:3], s[16:17]
	v_and_b32_e32 v17, 0x3ff, v0
	v_bfe_u32 v15, v0, 10, 10
	s_mov_b32 s25, 0
	v_mov_b32_e32 v24, 0
	s_and_b64 vcc, exec, s[2:3]
	v_mov_b32_e32 v26, 0
	v_mov_b32_e32 v20, 0
	;; [unrolled: 1-line block ×7, first 2 shown]
	s_cbranch_vccnz .LBB80_16
; %bb.6:
	v_lshl_add_u32 v1, v15, 4, v17
	v_and_b32_e32 v3, 31, v1
	v_lshrrev_b32_e32 v21, 5, v1
	v_lshrrev_b32_e32 v2, 3, v1
	v_or_b32_e32 v1, s5, v3
	s_load_dword s28, s[0:1], 0x18
	s_load_dword s26, s[0:1], 0x30
	s_load_dwordx4 s[16:19], s[0:1], 0x20
	v_and_b32_e32 v19, 7, v17
	v_cmp_gt_i32_e32 vcc, s22, v1
	v_lshlrev_b32_e32 v1, 3, v3
	v_lshl_or_b32 v23, v21, 8, v1
	v_lshlrev_b32_e32 v1, 3, v19
	v_add_u32_e32 v0, s24, v2
	v_lshl_or_b32 v1, v2, 6, v1
	v_mov_b32_e32 v2, 0x800
	v_lshl_add_u32 v28, v15, 6, v2
	v_add_u32_e32 v2, s5, v3
	s_waitcnt lgkmcnt(0)
	v_mad_i64_i32 v[2:3], s[28:29], s28, v2, 0
	s_mul_i32 s17, s17, s4
	s_mul_hi_u32 s28, s16, s4
	s_add_i32 s17, s28, s17
	s_mul_i32 s16, s16, s4
	s_lshl_b64 s[16:17], s[16:17], 3
	v_lshl_add_u64 v[2:3], v[2:3], 3, s[16:17]
	v_lshlrev_b32_e32 v8, 3, v21
	v_mov_b32_e32 v9, 0
	v_lshl_add_u64 v[2:3], v[2:3], 0, v[8:9]
	v_lshl_add_u64 v[10:11], s[14:15], 0, v[2:3]
	s_mul_i32 s9, s9, s4
	s_mul_hi_u32 s14, s8, s4
	s_add_i32 s9, s14, s9
	v_mad_i64_i32 v[2:3], s[14:15], s26, v19, 0
	s_mul_i32 s8, s8, s4
	v_lshlrev_b64 v[2:3], 3, v[2:3]
	v_add_u32_e32 v25, 0x800, v1
	v_ashrrev_i32_e32 v1, 31, v0
	v_lshl_add_u64 v[2:3], s[8:9], 3, v[2:3]
	v_cmp_gt_i32_e64 s[2:3], s22, v0
	v_lshl_add_u64 v[0:1], v[0:1], 3, v[2:3]
	s_ashr_i32 s27, s26, 31
	v_lshl_add_u64 v[0:1], s[18:19], 0, v[0:1]
	v_lshlrev_b32_e32 v27, 3, v17
	v_lshl_add_u64 v[12:13], v[0:1], 0, 4
	s_lshl_b64 s[8:9], s[26:27], 6
	s_xor_b64 s[14:15], vcc, -1
	s_xor_b64 s[2:3], s[2:3], -1
	v_mov_b32_e32 v14, 0
	v_mov_b32_e32 v8, 0
	;; [unrolled: 1-line block ×8, first 2 shown]
	s_branch .LBB80_8
.LBB80_7:                               ;   in Loop: Header=BB80_8 Depth=1
	s_or_b64 exec, exec, s[16:17]
	ds_write_b32 v25, v0 offset:4
	s_waitcnt lgkmcnt(0)
	s_barrier
	ds_read2_b64 v[30:33], v27 offset1:16
	ds_read_b128 v[34:37], v28
	ds_read_b128 v[38:41], v28 offset:16
	ds_read_b128 v[4:7], v28 offset:32
	;; [unrolled: 1-line block ×3, first 2 shown]
	ds_read2_b64 v[50:53], v27 offset0:32 offset1:48
	s_waitcnt lgkmcnt(4)
	v_mul_f32_e32 v42, v34, v31
	v_fmac_f32_e32 v42, v35, v30
	v_add_f32_e32 v26, v26, v42
	ds_read_b128 v[42:45], v28 offset:1024
	ds_read_b128 v[46:49], v28 offset:1040
	v_mul_f32_e32 v29, v35, v31
	v_fma_f32 v29, v34, v30, -v29
	v_add_f32_e32 v24, v24, v29
	v_mul_f32_e32 v29, v35, v33
	v_fma_f32 v29, v34, v32, -v29
	v_add_f32_e32 v20, v20, v29
	s_waitcnt lgkmcnt(1)
	v_mul_f32_e32 v29, v43, v31
	v_mul_f32_e32 v31, v42, v31
	v_fma_f32 v29, v42, v30, -v29
	v_fmac_f32_e32 v31, v43, v30
	v_mul_f32_e32 v30, v42, v33
	v_fmac_f32_e32 v30, v43, v32
	v_add_f32_e32 v14, v14, v30
	v_mul_f32_e32 v30, v36, v51
	v_mul_f32_e32 v34, v34, v33
	v_fmac_f32_e32 v30, v37, v50
	v_fmac_f32_e32 v34, v35, v32
	v_add_f32_e32 v26, v26, v30
	v_mul_f32_e32 v30, v36, v53
	v_add_f32_e32 v22, v22, v34
	v_add_f32_e32 v16, v16, v29
	v_mul_f32_e32 v29, v43, v33
	v_fmac_f32_e32 v30, v37, v52
	v_fma_f32 v29, v42, v32, -v29
	v_add_f32_e32 v22, v22, v30
	v_mul_f32_e32 v30, v44, v51
	v_add_f32_e32 v18, v18, v31
	v_add_f32_e32 v8, v8, v29
	v_mul_f32_e32 v29, v37, v51
	v_fmac_f32_e32 v30, v45, v50
	v_fma_f32 v29, v36, v50, -v29
	v_add_f32_e32 v18, v18, v30
	ds_read2_b64 v[30:33], v27 offset0:64 offset1:80
	v_add_f32_e32 v24, v24, v29
	v_mul_f32_e32 v29, v37, v53
	v_fma_f32 v29, v36, v52, -v29
	v_add_f32_e32 v20, v20, v29
	v_mul_f32_e32 v29, v45, v51
	v_mul_f32_e32 v34, v44, v53
	v_fma_f32 v29, v44, v50, -v29
	v_fmac_f32_e32 v34, v45, v52
	v_add_f32_e32 v16, v16, v29
	v_mul_f32_e32 v29, v45, v53
	v_add_f32_e32 v14, v14, v34
	s_waitcnt lgkmcnt(0)
	v_mul_f32_e32 v34, v38, v31
	v_fma_f32 v29, v44, v52, -v29
	v_fmac_f32_e32 v34, v39, v30
	v_add_f32_e32 v8, v8, v29
	v_mul_f32_e32 v29, v39, v31
	v_add_f32_e32 v26, v26, v34
	v_mul_f32_e32 v34, v38, v33
	v_fma_f32 v29, v38, v30, -v29
	v_fmac_f32_e32 v34, v39, v32
	v_add_f32_e32 v24, v24, v29
	v_mul_f32_e32 v29, v39, v33
	v_add_f32_e32 v22, v22, v34
	ds_read2_b64 v[34:37], v27 offset0:96 offset1:112
	v_fma_f32 v29, v38, v32, -v29
	v_add_f32_e32 v20, v20, v29
	v_mul_f32_e32 v29, v47, v31
	v_mul_f32_e32 v31, v46, v31
	v_fma_f32 v29, v46, v30, -v29
	v_fmac_f32_e32 v31, v47, v30
	v_mul_f32_e32 v30, v46, v33
	v_fmac_f32_e32 v30, v47, v32
	v_add_f32_e32 v14, v14, v30
	s_waitcnt lgkmcnt(0)
	v_mul_f32_e32 v30, v40, v35
	v_fmac_f32_e32 v30, v41, v34
	v_add_f32_e32 v16, v16, v29
	v_mul_f32_e32 v29, v47, v33
	v_add_f32_e32 v26, v26, v30
	v_mul_f32_e32 v30, v40, v37
	v_fma_f32 v29, v46, v32, -v29
	v_fmac_f32_e32 v30, v41, v36
	v_add_f32_e32 v8, v8, v29
	v_mul_f32_e32 v29, v41, v35
	v_add_f32_e32 v22, v22, v30
	v_mul_f32_e32 v30, v48, v35
	v_add_f32_e32 v18, v18, v31
	v_fma_f32 v29, v40, v34, -v29
	v_fmac_f32_e32 v30, v49, v34
	v_add_f32_e32 v24, v24, v29
	v_mul_f32_e32 v29, v41, v37
	v_add_f32_e32 v18, v18, v30
	ds_read2_b64 v[30:33], v27 offset0:128 offset1:144
	v_fma_f32 v29, v40, v36, -v29
	v_add_f32_e32 v20, v20, v29
	v_mul_f32_e32 v29, v49, v35
	v_fma_f32 v29, v48, v34, -v29
	v_mul_f32_e32 v34, v48, v37
	v_fmac_f32_e32 v34, v49, v36
	v_add_f32_e32 v14, v14, v34
	s_waitcnt lgkmcnt(0)
	v_mul_f32_e32 v34, v4, v31
	v_add_f32_e32 v16, v16, v29
	v_mul_f32_e32 v29, v49, v37
	v_fmac_f32_e32 v34, v5, v30
	v_fma_f32 v29, v48, v36, -v29
	v_add_f32_e32 v26, v26, v34
	ds_read_b128 v[34:37], v28 offset:1056
	ds_read_b128 v[38:41], v28 offset:1072
	v_add_f32_e32 v8, v8, v29
	v_mul_f32_e32 v29, v5, v31
	v_fma_f32 v29, v4, v30, -v29
	v_add_f32_e32 v24, v24, v29
	v_mul_f32_e32 v29, v5, v33
	v_fma_f32 v29, v4, v32, -v29
	v_mul_f32_e32 v4, v4, v33
	ds_read2_b64 v[42:45], v27 offset0:160 offset1:176
	v_fmac_f32_e32 v4, v5, v32
	v_add_f32_e32 v5, v20, v29
	s_waitcnt lgkmcnt(2)
	v_mul_f32_e32 v20, v35, v31
	v_fma_f32 v20, v34, v30, -v20
	v_add_f32_e32 v16, v16, v20
	v_mul_f32_e32 v20, v35, v33
	v_add_f32_e32 v4, v22, v4
	v_mul_f32_e32 v22, v34, v31
	v_fma_f32 v20, v34, v32, -v20
	v_fmac_f32_e32 v22, v35, v30
	v_add_f32_e32 v8, v8, v20
	s_waitcnt lgkmcnt(0)
	v_mul_f32_e32 v20, v7, v43
	v_add_f32_e32 v18, v18, v22
	v_mul_f32_e32 v22, v34, v33
	v_fma_f32 v20, v6, v42, -v20
	v_fmac_f32_e32 v22, v35, v32
	v_add_f32_e32 v20, v24, v20
	v_mul_f32_e32 v24, v7, v45
	v_add_f32_e32 v14, v14, v22
	v_mul_f32_e32 v22, v6, v43
	v_fma_f32 v24, v6, v44, -v24
	v_mul_f32_e32 v6, v6, v45
	v_fmac_f32_e32 v22, v7, v42
	v_fmac_f32_e32 v6, v7, v44
	v_add_f32_e32 v22, v26, v22
	v_add_f32_e32 v26, v4, v6
	v_mul_f32_e32 v4, v37, v43
	v_add_f32_e32 v24, v5, v24
	v_fma_f32 v4, v36, v42, -v4
	v_mul_f32_e32 v5, v36, v43
	v_fmac_f32_e32 v5, v37, v42
	v_add_f32_e32 v16, v16, v4
	v_mul_f32_e32 v4, v37, v45
	v_add_f32_e32 v18, v18, v5
	v_fma_f32 v29, v36, v44, -v4
	ds_read2_b64 v[4:7], v27 offset0:192 offset1:208
	v_mul_f32_e32 v30, v36, v45
	v_fmac_f32_e32 v30, v37, v44
	v_add_f32_e32 v8, v8, v29
	v_add_f32_e32 v14, v14, v30
	s_waitcnt lgkmcnt(0)
	v_mul_f32_e32 v29, v1, v5
	v_fma_f32 v29, v0, v4, -v29
	v_mul_f32_e32 v30, v0, v5
	v_fmac_f32_e32 v30, v1, v4
	v_add_f32_e32 v20, v20, v29
	v_mul_f32_e32 v29, v1, v7
	v_add_f32_e32 v22, v22, v30
	v_fma_f32 v29, v0, v6, -v29
	v_mul_f32_e32 v0, v0, v7
	ds_read2_b64 v[30:33], v27 offset0:224 offset1:240
	v_fmac_f32_e32 v0, v1, v6
	v_add_f32_e32 v1, v24, v29
	v_mul_f32_e32 v24, v39, v5
	v_fma_f32 v24, v38, v4, -v24
	v_mul_f32_e32 v5, v38, v5
	v_fmac_f32_e32 v5, v39, v4
	v_add_f32_e32 v4, v16, v24
	v_mul_f32_e32 v16, v39, v7
	v_fma_f32 v16, v38, v6, -v16
	v_mul_f32_e32 v7, v38, v7
	v_fmac_f32_e32 v7, v39, v6
	v_add_f32_e32 v6, v8, v16
	s_waitcnt lgkmcnt(0)
	v_mul_f32_e32 v8, v3, v31
	v_fma_f32 v8, v2, v30, -v8
	v_add_f32_e32 v24, v20, v8
	v_mul_f32_e32 v8, v3, v33
	v_add_f32_e32 v7, v14, v7
	v_mul_f32_e32 v14, v2, v31
	v_fma_f32 v8, v2, v32, -v8
	v_mul_f32_e32 v2, v2, v33
	v_add_f32_e32 v0, v26, v0
	v_fmac_f32_e32 v14, v3, v30
	v_fmac_f32_e32 v2, v3, v32
	v_add_f32_e32 v26, v22, v14
	v_add_f32_e32 v20, v1, v8
	;; [unrolled: 1-line block ×3, first 2 shown]
	v_mul_f32_e32 v0, v41, v31
	v_mul_f32_e32 v1, v40, v31
	v_add_f32_e32 v5, v18, v5
	v_fma_f32 v0, v40, v30, -v0
	v_fmac_f32_e32 v1, v41, v30
	v_add_f32_e32 v16, v4, v0
	v_add_f32_e32 v18, v5, v1
	v_mul_f32_e32 v0, v41, v33
	v_mul_f32_e32 v1, v40, v33
	v_fma_f32 v0, v40, v32, -v0
	v_fmac_f32_e32 v1, v41, v32
	s_add_i32 s25, s25, 8
	v_add_f32_e32 v8, v6, v0
	v_add_f32_e32 v14, v7, v1
	v_lshl_add_u64 v[10:11], v[10:11], 0, 64
	s_cmp_lt_i32 s25, s23
	v_lshl_add_u64 v[12:13], v[12:13], 0, s[8:9]
	s_barrier
	s_cbranch_scc0 .LBB80_16
.LBB80_8:                               ; =>This Inner Loop Header: Depth=1
	v_add_u32_e32 v0, s25, v21
	v_cmp_le_i32_e32 vcc, s23, v0
	s_or_b64 s[16:17], s[14:15], vcc
	s_and_saveexec_b64 s[18:19], s[16:17]
	s_xor_b64 s[16:17], exec, s[18:19]
; %bb.9:                                ;   in Loop: Header=BB80_8 Depth=1
	ds_write_b32 v23, v9
; %bb.10:                               ;   in Loop: Header=BB80_8 Depth=1
	s_or_saveexec_b64 s[16:17], s[16:17]
	v_mov_b32_e32 v0, 0
	s_xor_b64 exec, exec, s[16:17]
	s_cbranch_execz .LBB80_12
; %bb.11:                               ;   in Loop: Header=BB80_8 Depth=1
	global_load_dwordx2 v[2:3], v[10:11], off
	s_waitcnt vmcnt(0)
	v_xor_b32_e32 v0, 0x80000000, v3
	ds_write_b32 v23, v2
.LBB80_12:                              ;   in Loop: Header=BB80_8 Depth=1
	s_or_b64 exec, exec, s[16:17]
	ds_write_b32 v23, v0 offset:4
	v_add_u32_e32 v0, s25, v19
	v_cmp_le_i32_e32 vcc, s23, v0
	s_or_b64 s[16:17], vcc, s[2:3]
	s_and_saveexec_b64 s[18:19], s[16:17]
	s_xor_b64 s[16:17], exec, s[18:19]
; %bb.13:                               ;   in Loop: Header=BB80_8 Depth=1
	ds_write_b32 v25, v9
; %bb.14:                               ;   in Loop: Header=BB80_8 Depth=1
	s_or_saveexec_b64 s[16:17], s[16:17]
	v_mov_b32_e32 v0, 0
	s_xor_b64 exec, exec, s[16:17]
	s_cbranch_execz .LBB80_7
; %bb.15:                               ;   in Loop: Header=BB80_8 Depth=1
	global_load_dwordx2 v[2:3], v[12:13], off offset:-4
	s_waitcnt vmcnt(0)
	v_xor_b32_e32 v0, 0x80000000, v3
	ds_write_b32 v25, v2
	s_branch .LBB80_7
.LBB80_16:
	s_load_dwordx2 s[2:3], s[0:1], 0x58
	s_load_dword s14, s[0:1], 0x50
	v_add_u32_e32 v0, s5, v17
	v_add_u32_e32 v9, s24, v15
	v_cmp_le_i32_e32 vcc, v0, v9
	s_waitcnt lgkmcnt(0)
	s_mul_i32 s1, s3, s4
	s_mul_hi_u32 s3, s2, s4
	s_mul_i32 s0, s2, s4
	s_add_i32 s1, s3, s1
	s_lshl_b64 s[0:1], s[0:1], 3
	s_add_u32 s4, s12, s0
	s_addc_u32 s5, s13, s1
	v_cmp_neq_f32_e64 s[0:1], s6, 0
	s_xor_b64 s[8:9], s[10:11], -1
	v_mad_i64_i32 v[2:3], s[10:11], v9, s14, 0
	s_or_b64 s[0:1], s[0:1], s[8:9]
	v_cmp_gt_i32_e64 s[2:3], s22, v9
	v_lshl_add_u64 v[4:5], v[2:3], 3, s[4:5]
	v_cndmask_b32_e64 v2, 0, 1, s[0:1]
	s_and_b64 s[10:11], s[2:3], vcc
	v_ashrrev_i32_e32 v1, 31, v0
	v_cmp_ne_u32_e64 s[0:1], 1, v2
	s_and_saveexec_b64 s[8:9], s[10:11]
	s_cbranch_execz .LBB80_20
; %bb.17:
	v_pk_mul_f32 v[6:7], v[26:27], s[20:21] op_sel:[0,1] op_sel_hi:[0,0]
	v_pk_fma_f32 v[2:3], v[24:25], s[20:21], v[6:7] op_sel_hi:[0,1,1] neg_lo:[0,0,1] neg_hi:[0,0,1]
	v_pk_fma_f32 v[10:11], v[24:25], s[20:21], v[6:7] op_sel_hi:[0,1,1]
	s_and_b64 vcc, exec, s[0:1]
	v_lshl_add_u64 v[6:7], v[0:1], 3, v[4:5]
	s_cbranch_vccnz .LBB80_19
; %bb.18:
	global_load_dwordx2 v[12:13], v[6:7], off
	s_mov_b32 s10, s7
	v_mov_b32_e32 v3, v11
	s_waitcnt vmcnt(0)
	v_pk_mul_f32 v[10:11], v[12:13], s[10:11] op_sel:[1,0] op_sel_hi:[0,0]
	v_pk_fma_f32 v[24:25], v[12:13], s[6:7], v[10:11] neg_lo:[0,0,1] neg_hi:[0,0,1]
	v_pk_fma_f32 v[10:11], v[12:13], s[6:7], v[10:11] op_sel_hi:[1,0,1]
	s_nop 0
	v_mov_b32_e32 v25, v11
	v_pk_add_f32 v[2:3], v[2:3], v[24:25]
	s_nop 0
	v_mov_b32_e32 v11, v3
.LBB80_19:
	v_mov_b32_e32 v3, v11
	global_store_dwordx2 v[6:7], v[2:3], off
.LBB80_20:
	s_or_b64 exec, exec, s[8:9]
	v_add_u32_e32 v2, 16, v0
	v_cmp_le_i32_e32 vcc, v2, v9
	s_and_b64 s[8:9], s[2:3], vcc
	v_ashrrev_i32_e32 v3, 31, v2
	s_and_saveexec_b64 s[2:3], s[8:9]
	s_cbranch_execz .LBB80_24
; %bb.21:
	v_pk_mul_f32 v[10:11], v[22:23], s[20:21] op_sel:[0,1] op_sel_hi:[0,0]
	v_pk_fma_f32 v[6:7], v[20:21], s[20:21], v[10:11] op_sel_hi:[0,1,1] neg_lo:[0,0,1] neg_hi:[0,0,1]
	v_pk_fma_f32 v[10:11], v[20:21], s[20:21], v[10:11] op_sel_hi:[0,1,1]
	s_and_b64 vcc, exec, s[0:1]
	v_lshl_add_u64 v[4:5], v[2:3], 3, v[4:5]
	s_cbranch_vccnz .LBB80_23
; %bb.22:
	global_load_dwordx2 v[12:13], v[4:5], off
	s_mov_b32 s8, s7
	v_mov_b32_e32 v7, v11
	s_waitcnt vmcnt(0)
	v_pk_mul_f32 v[10:11], v[12:13], s[8:9] op_sel:[1,0] op_sel_hi:[0,0]
	v_pk_fma_f32 v[20:21], v[12:13], s[6:7], v[10:11] neg_lo:[0,0,1] neg_hi:[0,0,1]
	v_pk_fma_f32 v[10:11], v[12:13], s[6:7], v[10:11] op_sel_hi:[1,0,1]
	s_nop 0
	v_mov_b32_e32 v21, v11
	v_pk_add_f32 v[6:7], v[6:7], v[20:21]
	s_nop 0
	v_mov_b32_e32 v11, v7
.LBB80_23:
	v_mov_b32_e32 v7, v11
	global_store_dwordx2 v[4:5], v[6:7], off
.LBB80_24:
	s_or_b64 exec, exec, s[2:3]
	v_add_u32_e32 v9, 16, v9
	v_cmp_gt_i32_e64 s[2:3], s22, v9
	v_mad_i64_i32 v[4:5], s[8:9], v9, s14, 0
	v_cmp_le_i32_e32 vcc, v0, v9
	v_lshl_add_u64 v[4:5], v[4:5], 3, s[4:5]
	s_and_b64 s[8:9], s[2:3], vcc
	s_and_saveexec_b64 s[4:5], s[8:9]
	s_cbranch_execz .LBB80_28
; %bb.25:
	v_pk_mul_f32 v[10:11], v[18:19], s[20:21] op_sel:[0,1] op_sel_hi:[0,0]
	v_pk_fma_f32 v[6:7], v[16:17], s[20:21], v[10:11] op_sel_hi:[0,1,1] neg_lo:[0,0,1] neg_hi:[0,0,1]
	v_pk_fma_f32 v[10:11], v[16:17], s[20:21], v[10:11] op_sel_hi:[0,1,1]
	s_and_b64 vcc, exec, s[0:1]
	v_lshl_add_u64 v[0:1], v[0:1], 3, v[4:5]
	s_cbranch_vccnz .LBB80_27
; %bb.26:
	global_load_dwordx2 v[12:13], v[0:1], off
	s_mov_b32 s8, s7
	v_mov_b32_e32 v7, v11
	s_waitcnt vmcnt(0)
	v_pk_mul_f32 v[10:11], v[12:13], s[8:9] op_sel:[1,0] op_sel_hi:[0,0]
	v_pk_fma_f32 v[16:17], v[12:13], s[6:7], v[10:11] neg_lo:[0,0,1] neg_hi:[0,0,1]
	v_pk_fma_f32 v[10:11], v[12:13], s[6:7], v[10:11] op_sel_hi:[1,0,1]
	s_nop 0
	v_mov_b32_e32 v17, v11
	v_pk_add_f32 v[6:7], v[6:7], v[16:17]
	s_nop 0
	v_mov_b32_e32 v11, v7
.LBB80_27:
	v_mov_b32_e32 v7, v11
	global_store_dwordx2 v[0:1], v[6:7], off
.LBB80_28:
	s_or_b64 exec, exec, s[4:5]
	v_cmp_le_i32_e32 vcc, v2, v9
	s_and_b64 s[2:3], s[2:3], vcc
	s_and_saveexec_b64 s[4:5], s[2:3]
	s_cbranch_execz .LBB80_32
; %bb.29:
	v_pk_mul_f32 v[6:7], v[14:15], s[20:21] op_sel:[0,1] op_sel_hi:[0,0]
	v_pk_fma_f32 v[0:1], v[8:9], s[20:21], v[6:7] op_sel_hi:[0,1,1] neg_lo:[0,0,1] neg_hi:[0,0,1]
	v_pk_fma_f32 v[6:7], v[8:9], s[20:21], v[6:7] op_sel_hi:[0,1,1]
	s_and_b64 vcc, exec, s[0:1]
	v_lshl_add_u64 v[2:3], v[2:3], 3, v[4:5]
	s_cbranch_vccnz .LBB80_31
; %bb.30:
	global_load_dwordx2 v[4:5], v[2:3], off
	s_mov_b32 s0, s7
	v_mov_b32_e32 v1, v7
	s_waitcnt vmcnt(0)
	v_pk_mul_f32 v[6:7], v[4:5], s[0:1] op_sel:[1,0] op_sel_hi:[0,0]
	v_pk_fma_f32 v[8:9], v[4:5], s[6:7], v[6:7] neg_lo:[0,0,1] neg_hi:[0,0,1]
	v_pk_fma_f32 v[4:5], v[4:5], s[6:7], v[6:7] op_sel_hi:[1,0,1]
	s_nop 0
	v_mov_b32_e32 v9, v5
	v_pk_add_f32 v[0:1], v[0:1], v[8:9]
	s_nop 0
	v_mov_b32_e32 v7, v1
.LBB80_31:
	v_mov_b32_e32 v1, v7
	global_store_dwordx2 v[2:3], v[0:1], off
.LBB80_32:
	s_endpgm
	.section	.rodata,"a",@progbits
	.p2align	6, 0x0
	.amdhsa_kernel _ZL29rocblas_internal_gemmt_kernelIiLi16ELi32ELi8ELc67ELc67ELc85ELb1ELb1E19rocblas_complex_numIfEPKS1_S3_PS1_EviT_T9_T10_S5_lS7_S5_lS6_T11_S5_li
		.amdhsa_group_segment_fixed_size 4096
		.amdhsa_private_segment_fixed_size 0
		.amdhsa_kernarg_size 100
		.amdhsa_user_sgpr_count 2
		.amdhsa_user_sgpr_dispatch_ptr 0
		.amdhsa_user_sgpr_queue_ptr 0
		.amdhsa_user_sgpr_kernarg_segment_ptr 1
		.amdhsa_user_sgpr_dispatch_id 0
		.amdhsa_user_sgpr_kernarg_preload_length 0
		.amdhsa_user_sgpr_kernarg_preload_offset 0
		.amdhsa_user_sgpr_private_segment_size 0
		.amdhsa_uses_dynamic_stack 0
		.amdhsa_enable_private_segment 0
		.amdhsa_system_sgpr_workgroup_id_x 1
		.amdhsa_system_sgpr_workgroup_id_y 1
		.amdhsa_system_sgpr_workgroup_id_z 1
		.amdhsa_system_sgpr_workgroup_info 0
		.amdhsa_system_vgpr_workitem_id 1
		.amdhsa_next_free_vgpr 54
		.amdhsa_next_free_sgpr 30
		.amdhsa_accum_offset 56
		.amdhsa_reserve_vcc 1
		.amdhsa_float_round_mode_32 0
		.amdhsa_float_round_mode_16_64 0
		.amdhsa_float_denorm_mode_32 3
		.amdhsa_float_denorm_mode_16_64 3
		.amdhsa_dx10_clamp 1
		.amdhsa_ieee_mode 1
		.amdhsa_fp16_overflow 0
		.amdhsa_tg_split 0
		.amdhsa_exception_fp_ieee_invalid_op 0
		.amdhsa_exception_fp_denorm_src 0
		.amdhsa_exception_fp_ieee_div_zero 0
		.amdhsa_exception_fp_ieee_overflow 0
		.amdhsa_exception_fp_ieee_underflow 0
		.amdhsa_exception_fp_ieee_inexact 0
		.amdhsa_exception_int_div_zero 0
	.end_amdhsa_kernel
	.section	.text._ZL29rocblas_internal_gemmt_kernelIiLi16ELi32ELi8ELc67ELc67ELc85ELb1ELb1E19rocblas_complex_numIfEPKS1_S3_PS1_EviT_T9_T10_S5_lS7_S5_lS6_T11_S5_li,"axG",@progbits,_ZL29rocblas_internal_gemmt_kernelIiLi16ELi32ELi8ELc67ELc67ELc85ELb1ELb1E19rocblas_complex_numIfEPKS1_S3_PS1_EviT_T9_T10_S5_lS7_S5_lS6_T11_S5_li,comdat
.Lfunc_end80:
	.size	_ZL29rocblas_internal_gemmt_kernelIiLi16ELi32ELi8ELc67ELc67ELc85ELb1ELb1E19rocblas_complex_numIfEPKS1_S3_PS1_EviT_T9_T10_S5_lS7_S5_lS6_T11_S5_li, .Lfunc_end80-_ZL29rocblas_internal_gemmt_kernelIiLi16ELi32ELi8ELc67ELc67ELc85ELb1ELb1E19rocblas_complex_numIfEPKS1_S3_PS1_EviT_T9_T10_S5_lS7_S5_lS6_T11_S5_li
                                        ; -- End function
	.set _ZL29rocblas_internal_gemmt_kernelIiLi16ELi32ELi8ELc67ELc67ELc85ELb1ELb1E19rocblas_complex_numIfEPKS1_S3_PS1_EviT_T9_T10_S5_lS7_S5_lS6_T11_S5_li.num_vgpr, 54
	.set _ZL29rocblas_internal_gemmt_kernelIiLi16ELi32ELi8ELc67ELc67ELc85ELb1ELb1E19rocblas_complex_numIfEPKS1_S3_PS1_EviT_T9_T10_S5_lS7_S5_lS6_T11_S5_li.num_agpr, 0
	.set _ZL29rocblas_internal_gemmt_kernelIiLi16ELi32ELi8ELc67ELc67ELc85ELb1ELb1E19rocblas_complex_numIfEPKS1_S3_PS1_EviT_T9_T10_S5_lS7_S5_lS6_T11_S5_li.numbered_sgpr, 30
	.set _ZL29rocblas_internal_gemmt_kernelIiLi16ELi32ELi8ELc67ELc67ELc85ELb1ELb1E19rocblas_complex_numIfEPKS1_S3_PS1_EviT_T9_T10_S5_lS7_S5_lS6_T11_S5_li.num_named_barrier, 0
	.set _ZL29rocblas_internal_gemmt_kernelIiLi16ELi32ELi8ELc67ELc67ELc85ELb1ELb1E19rocblas_complex_numIfEPKS1_S3_PS1_EviT_T9_T10_S5_lS7_S5_lS6_T11_S5_li.private_seg_size, 0
	.set _ZL29rocblas_internal_gemmt_kernelIiLi16ELi32ELi8ELc67ELc67ELc85ELb1ELb1E19rocblas_complex_numIfEPKS1_S3_PS1_EviT_T9_T10_S5_lS7_S5_lS6_T11_S5_li.uses_vcc, 1
	.set _ZL29rocblas_internal_gemmt_kernelIiLi16ELi32ELi8ELc67ELc67ELc85ELb1ELb1E19rocblas_complex_numIfEPKS1_S3_PS1_EviT_T9_T10_S5_lS7_S5_lS6_T11_S5_li.uses_flat_scratch, 0
	.set _ZL29rocblas_internal_gemmt_kernelIiLi16ELi32ELi8ELc67ELc67ELc85ELb1ELb1E19rocblas_complex_numIfEPKS1_S3_PS1_EviT_T9_T10_S5_lS7_S5_lS6_T11_S5_li.has_dyn_sized_stack, 0
	.set _ZL29rocblas_internal_gemmt_kernelIiLi16ELi32ELi8ELc67ELc67ELc85ELb1ELb1E19rocblas_complex_numIfEPKS1_S3_PS1_EviT_T9_T10_S5_lS7_S5_lS6_T11_S5_li.has_recursion, 0
	.set _ZL29rocblas_internal_gemmt_kernelIiLi16ELi32ELi8ELc67ELc67ELc85ELb1ELb1E19rocblas_complex_numIfEPKS1_S3_PS1_EviT_T9_T10_S5_lS7_S5_lS6_T11_S5_li.has_indirect_call, 0
	.section	.AMDGPU.csdata,"",@progbits
; Kernel info:
; codeLenInByte = 2540
; TotalNumSgprs: 36
; NumVgprs: 54
; NumAgprs: 0
; TotalNumVgprs: 54
; ScratchSize: 0
; MemoryBound: 0
; FloatMode: 240
; IeeeMode: 1
; LDSByteSize: 4096 bytes/workgroup (compile time only)
; SGPRBlocks: 4
; VGPRBlocks: 6
; NumSGPRsForWavesPerEU: 36
; NumVGPRsForWavesPerEU: 54
; AccumOffset: 56
; Occupancy: 8
; WaveLimiterHint : 0
; COMPUTE_PGM_RSRC2:SCRATCH_EN: 0
; COMPUTE_PGM_RSRC2:USER_SGPR: 2
; COMPUTE_PGM_RSRC2:TRAP_HANDLER: 0
; COMPUTE_PGM_RSRC2:TGID_X_EN: 1
; COMPUTE_PGM_RSRC2:TGID_Y_EN: 1
; COMPUTE_PGM_RSRC2:TGID_Z_EN: 1
; COMPUTE_PGM_RSRC2:TIDIG_COMP_CNT: 1
; COMPUTE_PGM_RSRC3_GFX90A:ACCUM_OFFSET: 13
; COMPUTE_PGM_RSRC3_GFX90A:TG_SPLIT: 0
	.section	.text._ZL29rocblas_internal_gemmt_kernelIiLi16ELi32ELi8ELc78ELc78ELc76ELb0ELb0E19rocblas_complex_numIfEPKS1_S3_PS1_EviT_T9_T10_S5_lS7_S5_lS6_T11_S5_li,"axG",@progbits,_ZL29rocblas_internal_gemmt_kernelIiLi16ELi32ELi8ELc78ELc78ELc76ELb0ELb0E19rocblas_complex_numIfEPKS1_S3_PS1_EviT_T9_T10_S5_lS7_S5_lS6_T11_S5_li,comdat
	.globl	_ZL29rocblas_internal_gemmt_kernelIiLi16ELi32ELi8ELc78ELc78ELc76ELb0ELb0E19rocblas_complex_numIfEPKS1_S3_PS1_EviT_T9_T10_S5_lS7_S5_lS6_T11_S5_li ; -- Begin function _ZL29rocblas_internal_gemmt_kernelIiLi16ELi32ELi8ELc78ELc78ELc76ELb0ELb0E19rocblas_complex_numIfEPKS1_S3_PS1_EviT_T9_T10_S5_lS7_S5_lS6_T11_S5_li
	.p2align	8
	.type	_ZL29rocblas_internal_gemmt_kernelIiLi16ELi32ELi8ELc78ELc78ELc76ELb0ELb0E19rocblas_complex_numIfEPKS1_S3_PS1_EviT_T9_T10_S5_lS7_S5_lS6_T11_S5_li,@function
_ZL29rocblas_internal_gemmt_kernelIiLi16ELi32ELi8ELc78ELc78ELc76ELb0ELb0E19rocblas_complex_numIfEPKS1_S3_PS1_EviT_T9_T10_S5_lS7_S5_lS6_T11_S5_li: ; @_ZL29rocblas_internal_gemmt_kernelIiLi16ELi32ELi8ELc78ELc78ELc76ELb0ELb0E19rocblas_complex_numIfEPKS1_S3_PS1_EviT_T9_T10_S5_lS7_S5_lS6_T11_S5_li
; %bb.0:
	s_load_dwordx4 s[8:11], s[0:1], 0x38
	s_load_dwordx4 s[12:15], s[0:1], 0x8
	s_waitcnt lgkmcnt(0)
	s_load_dwordx2 s[20:21], s[10:11], 0x0
	s_load_dwordx2 s[24:25], s[0:1], 0x0
	;; [unrolled: 1-line block ×3, first 2 shown]
	s_waitcnt lgkmcnt(0)
	s_and_b32 s5, s21, 0x7fffffff
	s_cmp_eq_u32 s5, 0
	v_cmp_eq_f32_e64 s[6:7], s20, 1.0
	s_cselect_b64 s[10:11], -1, 0
	s_and_b64 s[6:7], s[6:7], s[10:11]
	s_and_b64 vcc, exec, s[6:7]
	s_cbranch_vccnz .LBB81_2
; %bb.1:
	s_mov_b64 s[6:7], -1
	s_cbranch_execz .LBB81_3
	s_branch .LBB81_4
.LBB81_2:
	s_mov_b64 s[6:7], 0
.LBB81_3:
	s_cmp_lg_u32 s25, 0
	v_cmp_neq_f32_e64 s[12:13], s22, 0
	v_cmp_neq_f32_e64 s[16:17], s23, 0
	s_cselect_b64 s[6:7], -1, 0
	s_or_b64 s[12:13], s[12:13], s[16:17]
	s_and_b64 s[6:7], s[6:7], s[12:13]
.LBB81_4:
	s_andn2_b64 vcc, exec, s[6:7]
	s_cbranch_vccnz .LBB81_28
; %bb.5:
	s_lshl_b32 s26, s2, 5
	s_lshl_b32 s5, s3, 5
	v_cmp_eq_f32_e64 s[2:3], s22, 0
	v_cmp_eq_f32_e64 s[6:7], s23, 0
	s_load_dwordx2 s[12:13], s[0:1], 0x48
	s_and_b64 s[2:3], s[2:3], s[6:7]
	s_cmp_lt_i32 s25, 1
	s_cselect_b64 s[6:7], -1, 0
	s_or_b64 s[2:3], s[2:3], s[6:7]
	v_and_b32_e32 v15, 0x3ff, v0
	v_bfe_u32 v13, v0, 10, 10
	s_mov_b32 s27, 0
	v_mov_b32_e32 v24, 0
	s_and_b64 vcc, exec, s[2:3]
	v_mov_b32_e32 v26, 0
	v_mov_b32_e32 v20, 0
	;; [unrolled: 1-line block ×7, first 2 shown]
	s_cbranch_vccnz .LBB81_12
; %bb.6:
	s_load_dword s6, s[0:1], 0x18
	s_load_dwordx4 s[16:19], s[0:1], 0x20
	s_load_dword s30, s[0:1], 0x30
	v_lshl_add_u32 v0, v13, 4, v15
	v_lshrrev_b32_e32 v19, 5, v0
	v_and_b32_e32 v4, 31, v0
	s_waitcnt lgkmcnt(0)
	v_mad_i64_i32 v[2:3], s[28:29], v19, s6, 0
	s_mul_i32 s17, s17, s4
	s_mul_hi_u32 s28, s16, s4
	v_lshrrev_b32_e32 v1, 3, v0
	v_or_b32_e32 v0, s26, v4
	s_add_i32 s17, s28, s17
	s_mul_i32 s16, s16, s4
	v_cmp_gt_i32_e32 vcc, s24, v0
	v_lshlrev_b32_e32 v0, 3, v4
	s_lshl_b64 s[16:17], s[16:17], 3
	v_add_u32_e32 v4, s26, v4
	v_lshl_add_u64 v[2:3], v[2:3], 3, s[16:17]
	v_ashrrev_i32_e32 v5, 31, v4
	s_ashr_i32 s7, s6, 31
	v_add_u32_e32 v6, s5, v1
	v_lshl_add_u64 v[2:3], v[4:5], 3, v[2:3]
	v_and_b32_e32 v17, 7, v15
	v_lshl_add_u64 v[8:9], s[14:15], 0, v[2:3]
	s_lshl_b64 s[14:15], s[6:7], 6
	v_mad_i64_i32 v[2:3], s[6:7], s30, v6, 0
	v_lshl_or_b32 v21, v19, 8, v0
	v_lshlrev_b32_e32 v0, 3, v17
	s_mul_i32 s6, s9, s4
	s_mul_hi_u32 s7, s8, s4
	v_lshl_or_b32 v1, v1, 6, v0
	s_add_i32 s7, s7, s6
	s_mul_i32 s6, s8, s4
	v_add_u32_e32 v23, 0x800, v1
	v_mov_b32_e32 v1, 0x800
	s_lshl_b64 s[6:7], s[6:7], 3
	v_lshl_add_u32 v27, v13, 6, v1
	v_lshl_add_u64 v[2:3], v[2:3], 3, s[6:7]
	v_mov_b32_e32 v1, 0
	v_lshl_add_u64 v[2:3], v[2:3], 0, v[0:1]
	v_cmp_gt_i32_e64 s[2:3], s24, v6
	v_lshlrev_b32_e32 v25, 3, v15
	v_lshl_add_u64 v[10:11], s[18:19], 0, v[2:3]
	v_mov_b32_e32 v14, v1
	v_mov_b32_e32 v12, v1
	;; [unrolled: 1-line block ×8, first 2 shown]
	s_branch .LBB81_8
.LBB81_7:                               ;   in Loop: Header=BB81_8 Depth=1
	s_or_b64 exec, exec, s[6:7]
	s_waitcnt vmcnt(0)
	ds_write_b64 v23, v[0:1]
	s_waitcnt lgkmcnt(0)
	s_barrier
	ds_read2_b64 v[28:31], v25 offset1:16
	ds_read_b128 v[32:35], v27
	ds_read_b128 v[36:39], v27 offset:16
	ds_read_b128 v[4:7], v27 offset:32
	;; [unrolled: 1-line block ×3, first 2 shown]
	ds_read2_b64 v[48:51], v25 offset0:32 offset1:48
	s_waitcnt lgkmcnt(4)
	v_mul_f32_e32 v40, v33, v29
	v_fma_f32 v40, v32, v28, -v40
	v_mul_f32_e32 v41, v32, v29
	v_fmac_f32_e32 v41, v33, v28
	v_add_f32_e32 v24, v24, v40
	v_mul_f32_e32 v40, v33, v31
	v_add_f32_e32 v26, v26, v41
	v_fma_f32 v44, v32, v30, -v40
	ds_read_b128 v[40:43], v27 offset:1024
	v_mul_f32_e32 v32, v32, v31
	v_fmac_f32_e32 v32, v33, v30
	v_add_f32_e32 v20, v20, v44
	v_add_f32_e32 v22, v22, v32
	ds_read_b128 v[44:47], v27 offset:1040
	s_waitcnt lgkmcnt(1)
	v_mul_f32_e32 v32, v41, v29
	v_mul_f32_e32 v29, v40, v29
	v_fma_f32 v32, v40, v28, -v32
	v_fmac_f32_e32 v29, v41, v28
	v_mul_f32_e32 v28, v41, v31
	v_add_f32_e32 v18, v18, v29
	v_fma_f32 v28, v40, v30, -v28
	v_mul_f32_e32 v29, v40, v31
	v_fmac_f32_e32 v29, v41, v30
	v_add_f32_e32 v12, v12, v28
	v_mul_f32_e32 v28, v35, v49
	v_add_f32_e32 v14, v14, v29
	v_fma_f32 v28, v34, v48, -v28
	v_mul_f32_e32 v29, v34, v49
	v_fmac_f32_e32 v29, v35, v48
	v_add_f32_e32 v24, v24, v28
	;; [unrolled: 6-line block ×3, first 2 shown]
	v_mul_f32_e32 v28, v43, v49
	v_add_f32_e32 v16, v16, v32
	v_add_f32_e32 v22, v22, v29
	v_fma_f32 v28, v42, v48, -v28
	v_mul_f32_e32 v29, v42, v49
	v_fmac_f32_e32 v29, v43, v48
	v_add_f32_e32 v16, v16, v28
	v_mul_f32_e32 v28, v43, v51
	v_add_f32_e32 v18, v18, v29
	v_fma_f32 v32, v42, v50, -v28
	ds_read2_b64 v[28:31], v25 offset0:64 offset1:80
	v_mul_f32_e32 v33, v42, v51
	v_add_f32_e32 v12, v12, v32
	v_fmac_f32_e32 v33, v43, v50
	v_add_f32_e32 v14, v14, v33
	s_waitcnt lgkmcnt(0)
	v_mul_f32_e32 v32, v37, v29
	v_fma_f32 v32, v36, v28, -v32
	v_mul_f32_e32 v33, v36, v29
	v_add_f32_e32 v24, v24, v32
	v_mul_f32_e32 v32, v37, v31
	v_fmac_f32_e32 v33, v37, v28
	v_fma_f32 v32, v36, v30, -v32
	v_add_f32_e32 v26, v26, v33
	v_mul_f32_e32 v33, v36, v31
	v_add_f32_e32 v20, v20, v32
	v_mul_f32_e32 v32, v45, v29
	v_fmac_f32_e32 v33, v37, v30
	v_fma_f32 v32, v44, v28, -v32
	v_add_f32_e32 v22, v22, v33
	v_add_f32_e32 v16, v16, v32
	ds_read2_b64 v[32:35], v25 offset0:96 offset1:112
	v_mul_f32_e32 v29, v44, v29
	v_fmac_f32_e32 v29, v45, v28
	v_mul_f32_e32 v28, v45, v31
	v_add_f32_e32 v18, v18, v29
	v_fma_f32 v28, v44, v30, -v28
	v_mul_f32_e32 v29, v44, v31
	v_fmac_f32_e32 v29, v45, v30
	v_add_f32_e32 v12, v12, v28
	s_waitcnt lgkmcnt(0)
	v_mul_f32_e32 v28, v39, v33
	v_add_f32_e32 v14, v14, v29
	v_fma_f32 v28, v38, v32, -v28
	v_mul_f32_e32 v29, v38, v33
	v_fmac_f32_e32 v29, v39, v32
	v_add_f32_e32 v24, v24, v28
	v_mul_f32_e32 v28, v39, v35
	v_add_f32_e32 v26, v26, v29
	v_fma_f32 v28, v38, v34, -v28
	v_mul_f32_e32 v29, v38, v35
	v_fmac_f32_e32 v29, v39, v34
	v_add_f32_e32 v20, v20, v28
	;; [unrolled: 6-line block ×3, first 2 shown]
	v_mul_f32_e32 v28, v47, v35
	v_add_f32_e32 v18, v18, v29
	v_fma_f32 v32, v46, v34, -v28
	ds_read2_b64 v[28:31], v25 offset0:128 offset1:144
	v_mul_f32_e32 v33, v46, v35
	v_fmac_f32_e32 v33, v47, v34
	v_add_f32_e32 v12, v12, v32
	v_add_f32_e32 v14, v14, v33
	s_waitcnt lgkmcnt(0)
	v_mul_f32_e32 v32, v5, v29
	v_fma_f32 v32, v4, v28, -v32
	v_mul_f32_e32 v33, v4, v29
	v_fmac_f32_e32 v33, v5, v28
	v_add_f32_e32 v24, v24, v32
	v_mul_f32_e32 v32, v5, v31
	v_add_f32_e32 v26, v26, v33
	v_fma_f32 v36, v4, v30, -v32
	ds_read_b128 v[32:35], v27 offset:1056
	v_mul_f32_e32 v4, v4, v31
	ds_read2_b64 v[40:43], v25 offset0:160 offset1:176
	v_fmac_f32_e32 v4, v5, v30
	v_add_f32_e32 v5, v20, v36
	ds_read_b128 v[36:39], v27 offset:1072
	s_waitcnt lgkmcnt(2)
	v_mul_f32_e32 v20, v33, v29
	v_fma_f32 v20, v32, v28, -v20
	v_add_f32_e32 v16, v16, v20
	v_mul_f32_e32 v20, v33, v31
	v_add_f32_e32 v4, v22, v4
	v_mul_f32_e32 v22, v32, v29
	v_fma_f32 v20, v32, v30, -v20
	v_fmac_f32_e32 v22, v33, v28
	v_add_f32_e32 v12, v12, v20
	s_waitcnt lgkmcnt(1)
	v_mul_f32_e32 v20, v7, v41
	v_add_f32_e32 v18, v18, v22
	v_mul_f32_e32 v22, v32, v31
	v_fma_f32 v20, v6, v40, -v20
	v_fmac_f32_e32 v22, v33, v30
	v_add_f32_e32 v20, v24, v20
	v_mul_f32_e32 v24, v7, v43
	v_add_f32_e32 v14, v14, v22
	v_mul_f32_e32 v22, v6, v41
	v_fma_f32 v24, v6, v42, -v24
	v_mul_f32_e32 v6, v6, v43
	v_fmac_f32_e32 v22, v7, v40
	v_fmac_f32_e32 v6, v7, v42
	v_add_f32_e32 v22, v26, v22
	v_add_f32_e32 v26, v4, v6
	v_mul_f32_e32 v4, v35, v41
	v_add_f32_e32 v24, v5, v24
	v_fma_f32 v4, v34, v40, -v4
	v_mul_f32_e32 v5, v34, v41
	v_fmac_f32_e32 v5, v35, v40
	v_add_f32_e32 v16, v16, v4
	v_mul_f32_e32 v4, v35, v43
	v_add_f32_e32 v18, v18, v5
	v_fma_f32 v28, v34, v42, -v4
	ds_read2_b64 v[4:7], v25 offset0:192 offset1:208
	v_mul_f32_e32 v29, v34, v43
	v_add_f32_e32 v12, v12, v28
	v_fmac_f32_e32 v29, v35, v42
	v_add_f32_e32 v14, v14, v29
	s_waitcnt lgkmcnt(0)
	v_mul_f32_e32 v28, v1, v5
	v_fma_f32 v28, v0, v4, -v28
	v_mul_f32_e32 v29, v0, v5
	v_add_f32_e32 v20, v20, v28
	v_mul_f32_e32 v28, v1, v7
	v_fmac_f32_e32 v29, v1, v4
	v_fma_f32 v28, v0, v6, -v28
	v_mul_f32_e32 v0, v0, v7
	v_add_f32_e32 v22, v22, v29
	v_fmac_f32_e32 v0, v1, v6
	v_add_f32_e32 v1, v24, v28
	ds_read2_b64 v[28:31], v25 offset0:224 offset1:240
	v_mul_f32_e32 v24, v37, v5
	v_fma_f32 v24, v36, v4, -v24
	v_mul_f32_e32 v5, v36, v5
	v_fmac_f32_e32 v5, v37, v4
	v_add_f32_e32 v4, v16, v24
	v_mul_f32_e32 v16, v37, v7
	v_fma_f32 v16, v36, v6, -v16
	v_mul_f32_e32 v7, v36, v7
	v_fmac_f32_e32 v7, v37, v6
	v_add_f32_e32 v6, v12, v16
	s_waitcnt lgkmcnt(0)
	v_mul_f32_e32 v12, v3, v29
	v_fma_f32 v12, v2, v28, -v12
	v_add_f32_e32 v24, v20, v12
	v_mul_f32_e32 v12, v3, v31
	v_add_f32_e32 v7, v14, v7
	v_mul_f32_e32 v14, v2, v29
	v_fma_f32 v12, v2, v30, -v12
	v_mul_f32_e32 v2, v2, v31
	v_add_f32_e32 v0, v26, v0
	v_fmac_f32_e32 v14, v3, v28
	v_fmac_f32_e32 v2, v3, v30
	v_add_f32_e32 v26, v22, v14
	v_add_f32_e32 v20, v1, v12
	;; [unrolled: 1-line block ×3, first 2 shown]
	v_mul_f32_e32 v0, v39, v29
	v_mul_f32_e32 v1, v38, v29
	v_add_f32_e32 v5, v18, v5
	v_fma_f32 v0, v38, v28, -v0
	v_fmac_f32_e32 v1, v39, v28
	v_add_f32_e32 v16, v4, v0
	v_add_f32_e32 v18, v5, v1
	v_mul_f32_e32 v0, v39, v31
	v_mul_f32_e32 v1, v38, v31
	v_fma_f32 v0, v38, v30, -v0
	v_fmac_f32_e32 v1, v39, v30
	s_add_i32 s27, s27, 8
	v_add_f32_e32 v12, v6, v0
	v_add_f32_e32 v14, v7, v1
	v_lshl_add_u64 v[8:9], v[8:9], 0, s[14:15]
	s_cmp_lt_i32 s27, s25
	v_lshl_add_u64 v[10:11], v[10:11], 0, 64
	s_barrier
	s_cbranch_scc0 .LBB81_12
.LBB81_8:                               ; =>This Inner Loop Header: Depth=1
	v_add_u32_e32 v0, s27, v19
	v_cmp_gt_i32_e64 s[6:7], s25, v0
	s_and_b64 s[8:9], vcc, s[6:7]
	v_mov_b32_e32 v0, 0
	v_mov_b32_e32 v1, 0
	s_and_saveexec_b64 s[6:7], s[8:9]
	s_cbranch_execz .LBB81_10
; %bb.9:                                ;   in Loop: Header=BB81_8 Depth=1
	global_load_dwordx2 v[0:1], v[8:9], off
.LBB81_10:                              ;   in Loop: Header=BB81_8 Depth=1
	s_or_b64 exec, exec, s[6:7]
	s_waitcnt vmcnt(0)
	ds_write_b64 v21, v[0:1]
	v_add_u32_e32 v0, s27, v17
	v_cmp_gt_i32_e64 s[6:7], s25, v0
	s_and_b64 s[8:9], s[6:7], s[2:3]
	v_mov_b32_e32 v0, 0
	v_mov_b32_e32 v1, 0
	s_and_saveexec_b64 s[6:7], s[8:9]
	s_cbranch_execz .LBB81_7
; %bb.11:                               ;   in Loop: Header=BB81_8 Depth=1
	global_load_dwordx2 v[0:1], v[10:11], off
	s_branch .LBB81_7
.LBB81_12:
	s_load_dwordx2 s[2:3], s[0:1], 0x58
	s_load_dword s14, s[0:1], 0x50
	v_add_u32_e32 v10, s5, v13
	v_add_u32_e32 v0, s26, v15
	v_cmp_le_i32_e32 vcc, v10, v0
	s_waitcnt lgkmcnt(0)
	s_mul_i32 s1, s3, s4
	s_mul_hi_u32 s3, s2, s4
	s_mul_i32 s0, s2, s4
	s_add_i32 s1, s3, s1
	s_lshl_b64 s[0:1], s[0:1], 3
	s_add_u32 s6, s12, s0
	s_addc_u32 s7, s13, s1
	v_cmp_neq_f32_e64 s[0:1], s20, 0
	s_xor_b64 s[4:5], s[10:11], -1
	v_mad_i64_i32 v[2:3], s[2:3], v10, s14, 0
	s_or_b64 s[0:1], s[0:1], s[4:5]
	v_lshl_add_u64 v[4:5], v[2:3], 3, s[6:7]
	v_cmp_gt_i32_e64 s[2:3], s24, v0
	v_cndmask_b32_e64 v2, 0, 1, s[0:1]
	s_and_b64 s[8:9], vcc, s[2:3]
	v_ashrrev_i32_e32 v1, 31, v0
	v_cmp_ne_u32_e64 s[0:1], 1, v2
	s_and_saveexec_b64 s[4:5], s[8:9]
	s_cbranch_execz .LBB81_16
; %bb.13:
	v_pk_mul_f32 v[6:7], v[26:27], s[22:23] op_sel:[0,1] op_sel_hi:[0,0]
	v_pk_fma_f32 v[2:3], v[24:25], s[22:23], v[6:7] op_sel_hi:[0,1,1] neg_lo:[0,0,1] neg_hi:[0,0,1]
	v_pk_fma_f32 v[8:9], v[24:25], s[22:23], v[6:7] op_sel_hi:[0,1,1]
	s_and_b64 vcc, exec, s[0:1]
	v_lshl_add_u64 v[6:7], v[0:1], 3, v[4:5]
	s_cbranch_vccnz .LBB81_15
; %bb.14:
	global_load_dwordx2 v[24:25], v[6:7], off
	s_mov_b32 s8, s21
	v_mov_b32_e32 v3, v9
	s_waitcnt vmcnt(0)
	v_pk_mul_f32 v[8:9], v[24:25], s[8:9] op_sel:[1,0] op_sel_hi:[0,0]
	v_pk_fma_f32 v[26:27], v[24:25], s[20:21], v[8:9] neg_lo:[0,0,1] neg_hi:[0,0,1]
	v_pk_fma_f32 v[8:9], v[24:25], s[20:21], v[8:9] op_sel_hi:[1,0,1]
	s_nop 0
	v_mov_b32_e32 v27, v9
	v_pk_add_f32 v[2:3], v[2:3], v[26:27]
	s_nop 0
	v_mov_b32_e32 v9, v3
.LBB81_15:
	v_mov_b32_e32 v3, v9
	global_store_dwordx2 v[6:7], v[2:3], off
.LBB81_16:
	s_or_b64 exec, exec, s[4:5]
	v_add_u32_e32 v2, 16, v0
	v_cmp_le_i32_e32 vcc, v10, v2
	v_cmp_gt_i32_e64 s[4:5], s24, v2
	s_and_b64 s[10:11], vcc, s[4:5]
	v_ashrrev_i32_e32 v3, 31, v2
	s_and_saveexec_b64 s[8:9], s[10:11]
	s_cbranch_execz .LBB81_20
; %bb.17:
	v_pk_mul_f32 v[8:9], v[22:23], s[22:23] op_sel:[0,1] op_sel_hi:[0,0]
	v_pk_fma_f32 v[6:7], v[20:21], s[22:23], v[8:9] op_sel_hi:[0,1,1] neg_lo:[0,0,1] neg_hi:[0,0,1]
	v_pk_fma_f32 v[8:9], v[20:21], s[22:23], v[8:9] op_sel_hi:[0,1,1]
	s_and_b64 vcc, exec, s[0:1]
	v_lshl_add_u64 v[4:5], v[2:3], 3, v[4:5]
	s_cbranch_vccnz .LBB81_19
; %bb.18:
	global_load_dwordx2 v[20:21], v[4:5], off
	s_mov_b32 s10, s21
	v_mov_b32_e32 v7, v9
	s_waitcnt vmcnt(0)
	v_pk_mul_f32 v[8:9], v[20:21], s[10:11] op_sel:[1,0] op_sel_hi:[0,0]
	v_pk_fma_f32 v[22:23], v[20:21], s[20:21], v[8:9] neg_lo:[0,0,1] neg_hi:[0,0,1]
	v_pk_fma_f32 v[8:9], v[20:21], s[20:21], v[8:9] op_sel_hi:[1,0,1]
	s_nop 0
	v_mov_b32_e32 v23, v9
	v_pk_add_f32 v[6:7], v[6:7], v[22:23]
	s_nop 0
	v_mov_b32_e32 v9, v7
.LBB81_19:
	v_mov_b32_e32 v7, v9
	global_store_dwordx2 v[4:5], v[6:7], off
.LBB81_20:
	s_or_b64 exec, exec, s[8:9]
	v_add_u32_e32 v10, 16, v10
	v_mad_i64_i32 v[4:5], s[8:9], v10, s14, 0
	v_cmp_le_i32_e32 vcc, v10, v0
	v_lshl_add_u64 v[4:5], v[4:5], 3, s[6:7]
	s_and_b64 s[6:7], vcc, s[2:3]
	s_and_saveexec_b64 s[2:3], s[6:7]
	s_cbranch_execz .LBB81_24
; %bb.21:
	v_pk_mul_f32 v[8:9], v[18:19], s[22:23] op_sel:[0,1] op_sel_hi:[0,0]
	v_pk_fma_f32 v[6:7], v[16:17], s[22:23], v[8:9] op_sel_hi:[0,1,1] neg_lo:[0,0,1] neg_hi:[0,0,1]
	v_pk_fma_f32 v[8:9], v[16:17], s[22:23], v[8:9] op_sel_hi:[0,1,1]
	s_and_b64 vcc, exec, s[0:1]
	v_lshl_add_u64 v[0:1], v[0:1], 3, v[4:5]
	s_cbranch_vccnz .LBB81_23
; %bb.22:
	global_load_dwordx2 v[16:17], v[0:1], off
	s_mov_b32 s6, s21
	v_mov_b32_e32 v7, v9
	s_waitcnt vmcnt(0)
	v_pk_mul_f32 v[8:9], v[16:17], s[6:7] op_sel:[1,0] op_sel_hi:[0,0]
	v_pk_fma_f32 v[18:19], v[16:17], s[20:21], v[8:9] neg_lo:[0,0,1] neg_hi:[0,0,1]
	v_pk_fma_f32 v[8:9], v[16:17], s[20:21], v[8:9] op_sel_hi:[1,0,1]
	s_nop 0
	v_mov_b32_e32 v19, v9
	v_pk_add_f32 v[6:7], v[6:7], v[18:19]
	s_nop 0
	v_mov_b32_e32 v9, v7
.LBB81_23:
	v_mov_b32_e32 v7, v9
	global_store_dwordx2 v[0:1], v[6:7], off
.LBB81_24:
	s_or_b64 exec, exec, s[2:3]
	v_cmp_le_i32_e32 vcc, v10, v2
	s_and_b64 s[2:3], vcc, s[4:5]
	s_and_saveexec_b64 s[4:5], s[2:3]
	s_cbranch_execz .LBB81_28
; %bb.25:
	v_pk_mul_f32 v[6:7], v[14:15], s[22:23] op_sel:[0,1] op_sel_hi:[0,0]
	v_pk_fma_f32 v[0:1], v[12:13], s[22:23], v[6:7] op_sel_hi:[0,1,1] neg_lo:[0,0,1] neg_hi:[0,0,1]
	v_pk_fma_f32 v[6:7], v[12:13], s[22:23], v[6:7] op_sel_hi:[0,1,1]
	s_and_b64 vcc, exec, s[0:1]
	v_lshl_add_u64 v[2:3], v[2:3], 3, v[4:5]
	s_cbranch_vccnz .LBB81_27
; %bb.26:
	global_load_dwordx2 v[4:5], v[2:3], off
	s_mov_b32 s0, s21
	v_mov_b32_e32 v1, v7
	s_waitcnt vmcnt(0)
	v_pk_mul_f32 v[6:7], v[4:5], s[0:1] op_sel:[1,0] op_sel_hi:[0,0]
	v_pk_fma_f32 v[8:9], v[4:5], s[20:21], v[6:7] neg_lo:[0,0,1] neg_hi:[0,0,1]
	v_pk_fma_f32 v[4:5], v[4:5], s[20:21], v[6:7] op_sel_hi:[1,0,1]
	s_nop 0
	v_mov_b32_e32 v9, v5
	v_pk_add_f32 v[0:1], v[0:1], v[8:9]
	s_nop 0
	v_mov_b32_e32 v7, v1
.LBB81_27:
	v_mov_b32_e32 v1, v7
	global_store_dwordx2 v[2:3], v[0:1], off
.LBB81_28:
	s_endpgm
	.section	.rodata,"a",@progbits
	.p2align	6, 0x0
	.amdhsa_kernel _ZL29rocblas_internal_gemmt_kernelIiLi16ELi32ELi8ELc78ELc78ELc76ELb0ELb0E19rocblas_complex_numIfEPKS1_S3_PS1_EviT_T9_T10_S5_lS7_S5_lS6_T11_S5_li
		.amdhsa_group_segment_fixed_size 4096
		.amdhsa_private_segment_fixed_size 0
		.amdhsa_kernarg_size 100
		.amdhsa_user_sgpr_count 2
		.amdhsa_user_sgpr_dispatch_ptr 0
		.amdhsa_user_sgpr_queue_ptr 0
		.amdhsa_user_sgpr_kernarg_segment_ptr 1
		.amdhsa_user_sgpr_dispatch_id 0
		.amdhsa_user_sgpr_kernarg_preload_length 0
		.amdhsa_user_sgpr_kernarg_preload_offset 0
		.amdhsa_user_sgpr_private_segment_size 0
		.amdhsa_uses_dynamic_stack 0
		.amdhsa_enable_private_segment 0
		.amdhsa_system_sgpr_workgroup_id_x 1
		.amdhsa_system_sgpr_workgroup_id_y 1
		.amdhsa_system_sgpr_workgroup_id_z 1
		.amdhsa_system_sgpr_workgroup_info 0
		.amdhsa_system_vgpr_workitem_id 1
		.amdhsa_next_free_vgpr 52
		.amdhsa_next_free_sgpr 31
		.amdhsa_accum_offset 52
		.amdhsa_reserve_vcc 1
		.amdhsa_float_round_mode_32 0
		.amdhsa_float_round_mode_16_64 0
		.amdhsa_float_denorm_mode_32 3
		.amdhsa_float_denorm_mode_16_64 3
		.amdhsa_dx10_clamp 1
		.amdhsa_ieee_mode 1
		.amdhsa_fp16_overflow 0
		.amdhsa_tg_split 0
		.amdhsa_exception_fp_ieee_invalid_op 0
		.amdhsa_exception_fp_denorm_src 0
		.amdhsa_exception_fp_ieee_div_zero 0
		.amdhsa_exception_fp_ieee_overflow 0
		.amdhsa_exception_fp_ieee_underflow 0
		.amdhsa_exception_fp_ieee_inexact 0
		.amdhsa_exception_int_div_zero 0
	.end_amdhsa_kernel
	.section	.text._ZL29rocblas_internal_gemmt_kernelIiLi16ELi32ELi8ELc78ELc78ELc76ELb0ELb0E19rocblas_complex_numIfEPKS1_S3_PS1_EviT_T9_T10_S5_lS7_S5_lS6_T11_S5_li,"axG",@progbits,_ZL29rocblas_internal_gemmt_kernelIiLi16ELi32ELi8ELc78ELc78ELc76ELb0ELb0E19rocblas_complex_numIfEPKS1_S3_PS1_EviT_T9_T10_S5_lS7_S5_lS6_T11_S5_li,comdat
.Lfunc_end81:
	.size	_ZL29rocblas_internal_gemmt_kernelIiLi16ELi32ELi8ELc78ELc78ELc76ELb0ELb0E19rocblas_complex_numIfEPKS1_S3_PS1_EviT_T9_T10_S5_lS7_S5_lS6_T11_S5_li, .Lfunc_end81-_ZL29rocblas_internal_gemmt_kernelIiLi16ELi32ELi8ELc78ELc78ELc76ELb0ELb0E19rocblas_complex_numIfEPKS1_S3_PS1_EviT_T9_T10_S5_lS7_S5_lS6_T11_S5_li
                                        ; -- End function
	.set _ZL29rocblas_internal_gemmt_kernelIiLi16ELi32ELi8ELc78ELc78ELc76ELb0ELb0E19rocblas_complex_numIfEPKS1_S3_PS1_EviT_T9_T10_S5_lS7_S5_lS6_T11_S5_li.num_vgpr, 52
	.set _ZL29rocblas_internal_gemmt_kernelIiLi16ELi32ELi8ELc78ELc78ELc76ELb0ELb0E19rocblas_complex_numIfEPKS1_S3_PS1_EviT_T9_T10_S5_lS7_S5_lS6_T11_S5_li.num_agpr, 0
	.set _ZL29rocblas_internal_gemmt_kernelIiLi16ELi32ELi8ELc78ELc78ELc76ELb0ELb0E19rocblas_complex_numIfEPKS1_S3_PS1_EviT_T9_T10_S5_lS7_S5_lS6_T11_S5_li.numbered_sgpr, 31
	.set _ZL29rocblas_internal_gemmt_kernelIiLi16ELi32ELi8ELc78ELc78ELc76ELb0ELb0E19rocblas_complex_numIfEPKS1_S3_PS1_EviT_T9_T10_S5_lS7_S5_lS6_T11_S5_li.num_named_barrier, 0
	.set _ZL29rocblas_internal_gemmt_kernelIiLi16ELi32ELi8ELc78ELc78ELc76ELb0ELb0E19rocblas_complex_numIfEPKS1_S3_PS1_EviT_T9_T10_S5_lS7_S5_lS6_T11_S5_li.private_seg_size, 0
	.set _ZL29rocblas_internal_gemmt_kernelIiLi16ELi32ELi8ELc78ELc78ELc76ELb0ELb0E19rocblas_complex_numIfEPKS1_S3_PS1_EviT_T9_T10_S5_lS7_S5_lS6_T11_S5_li.uses_vcc, 1
	.set _ZL29rocblas_internal_gemmt_kernelIiLi16ELi32ELi8ELc78ELc78ELc76ELb0ELb0E19rocblas_complex_numIfEPKS1_S3_PS1_EviT_T9_T10_S5_lS7_S5_lS6_T11_S5_li.uses_flat_scratch, 0
	.set _ZL29rocblas_internal_gemmt_kernelIiLi16ELi32ELi8ELc78ELc78ELc76ELb0ELb0E19rocblas_complex_numIfEPKS1_S3_PS1_EviT_T9_T10_S5_lS7_S5_lS6_T11_S5_li.has_dyn_sized_stack, 0
	.set _ZL29rocblas_internal_gemmt_kernelIiLi16ELi32ELi8ELc78ELc78ELc76ELb0ELb0E19rocblas_complex_numIfEPKS1_S3_PS1_EviT_T9_T10_S5_lS7_S5_lS6_T11_S5_li.has_recursion, 0
	.set _ZL29rocblas_internal_gemmt_kernelIiLi16ELi32ELi8ELc78ELc78ELc76ELb0ELb0E19rocblas_complex_numIfEPKS1_S3_PS1_EviT_T9_T10_S5_lS7_S5_lS6_T11_S5_li.has_indirect_call, 0
	.section	.AMDGPU.csdata,"",@progbits
; Kernel info:
; codeLenInByte = 2460
; TotalNumSgprs: 37
; NumVgprs: 52
; NumAgprs: 0
; TotalNumVgprs: 52
; ScratchSize: 0
; MemoryBound: 0
; FloatMode: 240
; IeeeMode: 1
; LDSByteSize: 4096 bytes/workgroup (compile time only)
; SGPRBlocks: 4
; VGPRBlocks: 6
; NumSGPRsForWavesPerEU: 37
; NumVGPRsForWavesPerEU: 52
; AccumOffset: 52
; Occupancy: 8
; WaveLimiterHint : 0
; COMPUTE_PGM_RSRC2:SCRATCH_EN: 0
; COMPUTE_PGM_RSRC2:USER_SGPR: 2
; COMPUTE_PGM_RSRC2:TRAP_HANDLER: 0
; COMPUTE_PGM_RSRC2:TGID_X_EN: 1
; COMPUTE_PGM_RSRC2:TGID_Y_EN: 1
; COMPUTE_PGM_RSRC2:TGID_Z_EN: 1
; COMPUTE_PGM_RSRC2:TIDIG_COMP_CNT: 1
; COMPUTE_PGM_RSRC3_GFX90A:ACCUM_OFFSET: 12
; COMPUTE_PGM_RSRC3_GFX90A:TG_SPLIT: 0
	.section	.text._ZL29rocblas_internal_gemmt_kernelIiLi16ELi32ELi8ELc78ELc84ELc76ELb0ELb0E19rocblas_complex_numIfEPKS1_S3_PS1_EviT_T9_T10_S5_lS7_S5_lS6_T11_S5_li,"axG",@progbits,_ZL29rocblas_internal_gemmt_kernelIiLi16ELi32ELi8ELc78ELc84ELc76ELb0ELb0E19rocblas_complex_numIfEPKS1_S3_PS1_EviT_T9_T10_S5_lS7_S5_lS6_T11_S5_li,comdat
	.globl	_ZL29rocblas_internal_gemmt_kernelIiLi16ELi32ELi8ELc78ELc84ELc76ELb0ELb0E19rocblas_complex_numIfEPKS1_S3_PS1_EviT_T9_T10_S5_lS7_S5_lS6_T11_S5_li ; -- Begin function _ZL29rocblas_internal_gemmt_kernelIiLi16ELi32ELi8ELc78ELc84ELc76ELb0ELb0E19rocblas_complex_numIfEPKS1_S3_PS1_EviT_T9_T10_S5_lS7_S5_lS6_T11_S5_li
	.p2align	8
	.type	_ZL29rocblas_internal_gemmt_kernelIiLi16ELi32ELi8ELc78ELc84ELc76ELb0ELb0E19rocblas_complex_numIfEPKS1_S3_PS1_EviT_T9_T10_S5_lS7_S5_lS6_T11_S5_li,@function
_ZL29rocblas_internal_gemmt_kernelIiLi16ELi32ELi8ELc78ELc84ELc76ELb0ELb0E19rocblas_complex_numIfEPKS1_S3_PS1_EviT_T9_T10_S5_lS7_S5_lS6_T11_S5_li: ; @_ZL29rocblas_internal_gemmt_kernelIiLi16ELi32ELi8ELc78ELc84ELc76ELb0ELb0E19rocblas_complex_numIfEPKS1_S3_PS1_EviT_T9_T10_S5_lS7_S5_lS6_T11_S5_li
; %bb.0:
	s_load_dwordx4 s[8:11], s[0:1], 0x38
	s_load_dwordx4 s[12:15], s[0:1], 0x8
	s_waitcnt lgkmcnt(0)
	s_load_dwordx2 s[20:21], s[10:11], 0x0
	s_load_dwordx2 s[24:25], s[0:1], 0x0
	;; [unrolled: 1-line block ×3, first 2 shown]
	s_waitcnt lgkmcnt(0)
	s_and_b32 s5, s21, 0x7fffffff
	s_cmp_eq_u32 s5, 0
	v_cmp_eq_f32_e64 s[6:7], s20, 1.0
	s_cselect_b64 s[10:11], -1, 0
	s_and_b64 s[6:7], s[6:7], s[10:11]
	s_and_b64 vcc, exec, s[6:7]
	s_cbranch_vccnz .LBB82_2
; %bb.1:
	s_mov_b64 s[6:7], -1
	s_cbranch_execz .LBB82_3
	s_branch .LBB82_4
.LBB82_2:
	s_mov_b64 s[6:7], 0
.LBB82_3:
	s_cmp_lg_u32 s25, 0
	v_cmp_neq_f32_e64 s[12:13], s22, 0
	v_cmp_neq_f32_e64 s[16:17], s23, 0
	s_cselect_b64 s[6:7], -1, 0
	s_or_b64 s[12:13], s[12:13], s[16:17]
	s_and_b64 s[6:7], s[6:7], s[12:13]
.LBB82_4:
	s_andn2_b64 vcc, exec, s[6:7]
	s_cbranch_vccnz .LBB82_28
; %bb.5:
	s_lshl_b32 s26, s2, 5
	s_lshl_b32 s5, s3, 5
	v_cmp_eq_f32_e64 s[2:3], s22, 0
	v_cmp_eq_f32_e64 s[6:7], s23, 0
	s_load_dwordx2 s[12:13], s[0:1], 0x48
	s_and_b64 s[2:3], s[2:3], s[6:7]
	s_cmp_lt_i32 s25, 1
	s_cselect_b64 s[6:7], -1, 0
	s_or_b64 s[2:3], s[2:3], s[6:7]
	v_and_b32_e32 v15, 0x3ff, v0
	v_bfe_u32 v13, v0, 10, 10
	s_mov_b32 s27, 0
	v_mov_b32_e32 v24, 0
	s_and_b64 vcc, exec, s[2:3]
	v_mov_b32_e32 v26, 0
	v_mov_b32_e32 v20, 0
	;; [unrolled: 1-line block ×7, first 2 shown]
	s_cbranch_vccnz .LBB82_12
; %bb.6:
	v_lshl_add_u32 v1, v13, 4, v15
	v_and_b32_e32 v4, 31, v1
	v_lshrrev_b32_e32 v19, 5, v1
	v_lshrrev_b32_e32 v2, 3, v1
	v_or_b32_e32 v1, s26, v4
	s_load_dword s6, s[0:1], 0x18
	s_load_dwordx4 s[16:19], s[0:1], 0x20
	s_load_dword s28, s[0:1], 0x30
	v_and_b32_e32 v17, 7, v15
	v_cmp_gt_i32_e32 vcc, s24, v1
	v_lshlrev_b32_e32 v1, 3, v4
	v_lshl_or_b32 v21, v19, 8, v1
	v_lshlrev_b32_e32 v1, 3, v17
	v_add_u32_e32 v0, s5, v2
	v_lshl_or_b32 v1, v2, 6, v1
	v_mov_b32_e32 v2, 0x800
	v_lshl_add_u32 v27, v13, 6, v2
	s_waitcnt lgkmcnt(0)
	v_mad_i64_i32 v[2:3], s[30:31], v19, s6, 0
	s_mul_i32 s17, s17, s4
	s_mul_hi_u32 s30, s16, s4
	s_add_i32 s17, s30, s17
	s_mul_i32 s16, s16, s4
	s_lshl_b64 s[16:17], s[16:17], 3
	v_add_u32_e32 v4, s26, v4
	v_lshl_add_u64 v[2:3], v[2:3], 3, s[16:17]
	v_ashrrev_i32_e32 v5, 31, v4
	s_ashr_i32 s7, s6, 31
	v_lshl_add_u64 v[2:3], v[4:5], 3, v[2:3]
	v_lshl_add_u64 v[8:9], s[14:15], 0, v[2:3]
	s_lshl_b64 s[14:15], s[6:7], 6
	s_mul_i32 s6, s9, s4
	s_mul_hi_u32 s7, s8, s4
	s_add_i32 s7, s7, s6
	s_mul_i32 s6, s8, s4
	v_mad_i64_i32 v[2:3], s[8:9], s28, v17, 0
	v_lshlrev_b64 v[2:3], 3, v[2:3]
	v_add_u32_e32 v23, 0x800, v1
	v_ashrrev_i32_e32 v1, 31, v0
	v_lshl_add_u64 v[2:3], s[6:7], 3, v[2:3]
	s_ashr_i32 s29, s28, 31
	v_cmp_gt_i32_e64 s[2:3], s24, v0
	v_lshl_add_u64 v[0:1], v[0:1], 3, v[2:3]
	v_lshlrev_b32_e32 v25, 3, v15
	v_lshl_add_u64 v[10:11], s[18:19], 0, v[0:1]
	s_lshl_b64 s[8:9], s[28:29], 6
	v_mov_b32_e32 v12, 0
	v_mov_b32_e32 v14, 0
	;; [unrolled: 1-line block ×8, first 2 shown]
	s_branch .LBB82_8
.LBB82_7:                               ;   in Loop: Header=BB82_8 Depth=1
	s_or_b64 exec, exec, s[6:7]
	s_waitcnt vmcnt(0)
	ds_write_b64 v23, v[0:1]
	s_waitcnt lgkmcnt(0)
	s_barrier
	ds_read2_b64 v[28:31], v25 offset1:16
	ds_read_b128 v[32:35], v27
	ds_read_b128 v[36:39], v27 offset:16
	ds_read_b128 v[4:7], v27 offset:32
	;; [unrolled: 1-line block ×3, first 2 shown]
	ds_read2_b64 v[48:51], v25 offset0:32 offset1:48
	s_waitcnt lgkmcnt(4)
	v_mul_f32_e32 v40, v33, v29
	v_fma_f32 v40, v32, v28, -v40
	v_mul_f32_e32 v41, v32, v29
	v_fmac_f32_e32 v41, v33, v28
	v_add_f32_e32 v24, v24, v40
	v_mul_f32_e32 v40, v33, v31
	v_add_f32_e32 v26, v26, v41
	v_fma_f32 v44, v32, v30, -v40
	ds_read_b128 v[40:43], v27 offset:1024
	v_mul_f32_e32 v32, v32, v31
	v_fmac_f32_e32 v32, v33, v30
	v_add_f32_e32 v20, v20, v44
	v_add_f32_e32 v22, v22, v32
	ds_read_b128 v[44:47], v27 offset:1040
	s_waitcnt lgkmcnt(1)
	v_mul_f32_e32 v32, v41, v29
	v_mul_f32_e32 v29, v40, v29
	v_fma_f32 v32, v40, v28, -v32
	v_fmac_f32_e32 v29, v41, v28
	v_mul_f32_e32 v28, v41, v31
	v_add_f32_e32 v18, v18, v29
	v_fma_f32 v28, v40, v30, -v28
	v_mul_f32_e32 v29, v40, v31
	v_fmac_f32_e32 v29, v41, v30
	v_add_f32_e32 v14, v14, v28
	v_mul_f32_e32 v28, v35, v49
	v_add_f32_e32 v12, v12, v29
	v_fma_f32 v28, v34, v48, -v28
	v_mul_f32_e32 v29, v34, v49
	v_fmac_f32_e32 v29, v35, v48
	v_add_f32_e32 v24, v24, v28
	;; [unrolled: 6-line block ×3, first 2 shown]
	v_mul_f32_e32 v28, v43, v49
	v_add_f32_e32 v16, v16, v32
	v_add_f32_e32 v22, v22, v29
	v_fma_f32 v28, v42, v48, -v28
	v_mul_f32_e32 v29, v42, v49
	v_fmac_f32_e32 v29, v43, v48
	v_add_f32_e32 v16, v16, v28
	v_mul_f32_e32 v28, v43, v51
	v_add_f32_e32 v18, v18, v29
	v_fma_f32 v32, v42, v50, -v28
	ds_read2_b64 v[28:31], v25 offset0:64 offset1:80
	v_mul_f32_e32 v33, v42, v51
	v_add_f32_e32 v14, v14, v32
	v_fmac_f32_e32 v33, v43, v50
	v_add_f32_e32 v12, v12, v33
	s_waitcnt lgkmcnt(0)
	v_mul_f32_e32 v32, v37, v29
	v_fma_f32 v32, v36, v28, -v32
	v_mul_f32_e32 v33, v36, v29
	v_add_f32_e32 v24, v24, v32
	v_mul_f32_e32 v32, v37, v31
	v_fmac_f32_e32 v33, v37, v28
	v_fma_f32 v32, v36, v30, -v32
	v_add_f32_e32 v26, v26, v33
	v_mul_f32_e32 v33, v36, v31
	v_add_f32_e32 v20, v20, v32
	v_mul_f32_e32 v32, v45, v29
	v_fmac_f32_e32 v33, v37, v30
	v_fma_f32 v32, v44, v28, -v32
	v_add_f32_e32 v22, v22, v33
	v_add_f32_e32 v16, v16, v32
	ds_read2_b64 v[32:35], v25 offset0:96 offset1:112
	v_mul_f32_e32 v29, v44, v29
	v_fmac_f32_e32 v29, v45, v28
	v_mul_f32_e32 v28, v45, v31
	v_add_f32_e32 v18, v18, v29
	v_fma_f32 v28, v44, v30, -v28
	v_mul_f32_e32 v29, v44, v31
	v_fmac_f32_e32 v29, v45, v30
	v_add_f32_e32 v14, v14, v28
	s_waitcnt lgkmcnt(0)
	v_mul_f32_e32 v28, v39, v33
	v_add_f32_e32 v12, v12, v29
	v_fma_f32 v28, v38, v32, -v28
	v_mul_f32_e32 v29, v38, v33
	v_fmac_f32_e32 v29, v39, v32
	v_add_f32_e32 v24, v24, v28
	v_mul_f32_e32 v28, v39, v35
	v_add_f32_e32 v26, v26, v29
	v_fma_f32 v28, v38, v34, -v28
	v_mul_f32_e32 v29, v38, v35
	v_fmac_f32_e32 v29, v39, v34
	v_add_f32_e32 v20, v20, v28
	;; [unrolled: 6-line block ×3, first 2 shown]
	v_mul_f32_e32 v28, v47, v35
	v_add_f32_e32 v18, v18, v29
	v_fma_f32 v32, v46, v34, -v28
	ds_read2_b64 v[28:31], v25 offset0:128 offset1:144
	v_mul_f32_e32 v33, v46, v35
	v_fmac_f32_e32 v33, v47, v34
	v_add_f32_e32 v14, v14, v32
	v_add_f32_e32 v12, v12, v33
	s_waitcnt lgkmcnt(0)
	v_mul_f32_e32 v32, v5, v29
	v_fma_f32 v32, v4, v28, -v32
	v_mul_f32_e32 v33, v4, v29
	v_fmac_f32_e32 v33, v5, v28
	v_add_f32_e32 v24, v24, v32
	v_mul_f32_e32 v32, v5, v31
	v_add_f32_e32 v26, v26, v33
	v_fma_f32 v36, v4, v30, -v32
	ds_read_b128 v[32:35], v27 offset:1056
	v_mul_f32_e32 v4, v4, v31
	ds_read2_b64 v[40:43], v25 offset0:160 offset1:176
	v_fmac_f32_e32 v4, v5, v30
	v_add_f32_e32 v5, v20, v36
	ds_read_b128 v[36:39], v27 offset:1072
	s_waitcnt lgkmcnt(2)
	v_mul_f32_e32 v20, v33, v29
	v_fma_f32 v20, v32, v28, -v20
	v_add_f32_e32 v16, v16, v20
	v_mul_f32_e32 v20, v33, v31
	v_add_f32_e32 v4, v22, v4
	v_mul_f32_e32 v22, v32, v29
	v_fma_f32 v20, v32, v30, -v20
	v_fmac_f32_e32 v22, v33, v28
	v_add_f32_e32 v14, v14, v20
	s_waitcnt lgkmcnt(1)
	v_mul_f32_e32 v20, v7, v41
	v_add_f32_e32 v18, v18, v22
	v_mul_f32_e32 v22, v32, v31
	v_fma_f32 v20, v6, v40, -v20
	v_fmac_f32_e32 v22, v33, v30
	v_add_f32_e32 v20, v24, v20
	v_mul_f32_e32 v24, v7, v43
	v_add_f32_e32 v12, v12, v22
	v_mul_f32_e32 v22, v6, v41
	v_fma_f32 v24, v6, v42, -v24
	v_mul_f32_e32 v6, v6, v43
	v_fmac_f32_e32 v22, v7, v40
	v_fmac_f32_e32 v6, v7, v42
	v_add_f32_e32 v22, v26, v22
	v_add_f32_e32 v26, v4, v6
	v_mul_f32_e32 v4, v35, v41
	v_add_f32_e32 v24, v5, v24
	v_fma_f32 v4, v34, v40, -v4
	v_mul_f32_e32 v5, v34, v41
	v_fmac_f32_e32 v5, v35, v40
	v_add_f32_e32 v16, v16, v4
	v_mul_f32_e32 v4, v35, v43
	v_add_f32_e32 v18, v18, v5
	v_fma_f32 v28, v34, v42, -v4
	ds_read2_b64 v[4:7], v25 offset0:192 offset1:208
	v_mul_f32_e32 v29, v34, v43
	v_add_f32_e32 v14, v14, v28
	v_fmac_f32_e32 v29, v35, v42
	v_add_f32_e32 v12, v12, v29
	s_waitcnt lgkmcnt(0)
	v_mul_f32_e32 v28, v1, v5
	v_fma_f32 v28, v0, v4, -v28
	v_mul_f32_e32 v29, v0, v5
	v_add_f32_e32 v20, v20, v28
	v_mul_f32_e32 v28, v1, v7
	v_fmac_f32_e32 v29, v1, v4
	v_fma_f32 v28, v0, v6, -v28
	v_mul_f32_e32 v0, v0, v7
	v_add_f32_e32 v22, v22, v29
	v_fmac_f32_e32 v0, v1, v6
	v_add_f32_e32 v1, v24, v28
	ds_read2_b64 v[28:31], v25 offset0:224 offset1:240
	v_mul_f32_e32 v24, v37, v5
	v_fma_f32 v24, v36, v4, -v24
	v_mul_f32_e32 v5, v36, v5
	v_fmac_f32_e32 v5, v37, v4
	v_add_f32_e32 v4, v16, v24
	v_mul_f32_e32 v16, v37, v7
	v_mul_f32_e32 v7, v36, v7
	v_fmac_f32_e32 v7, v37, v6
	v_add_f32_e32 v7, v12, v7
	s_waitcnt lgkmcnt(0)
	v_mul_f32_e32 v12, v3, v29
	v_fma_f32 v12, v2, v28, -v12
	v_fma_f32 v16, v36, v6, -v16
	v_add_f32_e32 v24, v20, v12
	v_mul_f32_e32 v12, v3, v31
	v_add_f32_e32 v6, v14, v16
	v_mul_f32_e32 v14, v2, v29
	v_fma_f32 v12, v2, v30, -v12
	v_mul_f32_e32 v2, v2, v31
	v_add_f32_e32 v0, v26, v0
	v_fmac_f32_e32 v14, v3, v28
	v_fmac_f32_e32 v2, v3, v30
	v_add_f32_e32 v26, v22, v14
	v_add_f32_e32 v20, v1, v12
	;; [unrolled: 1-line block ×3, first 2 shown]
	v_mul_f32_e32 v0, v39, v29
	v_mul_f32_e32 v1, v38, v29
	v_add_f32_e32 v5, v18, v5
	v_fma_f32 v0, v38, v28, -v0
	v_fmac_f32_e32 v1, v39, v28
	v_add_f32_e32 v16, v4, v0
	v_add_f32_e32 v18, v5, v1
	v_mul_f32_e32 v0, v39, v31
	v_mul_f32_e32 v1, v38, v31
	v_fma_f32 v0, v38, v30, -v0
	v_fmac_f32_e32 v1, v39, v30
	s_add_i32 s27, s27, 8
	v_add_f32_e32 v14, v6, v0
	v_add_f32_e32 v12, v7, v1
	v_lshl_add_u64 v[8:9], v[8:9], 0, s[14:15]
	s_cmp_lt_i32 s27, s25
	v_lshl_add_u64 v[10:11], v[10:11], 0, s[8:9]
	s_barrier
	s_cbranch_scc0 .LBB82_12
.LBB82_8:                               ; =>This Inner Loop Header: Depth=1
	v_add_u32_e32 v0, s27, v19
	v_cmp_gt_i32_e64 s[6:7], s25, v0
	s_and_b64 s[16:17], vcc, s[6:7]
	v_mov_b32_e32 v0, 0
	v_mov_b32_e32 v1, 0
	s_and_saveexec_b64 s[6:7], s[16:17]
	s_cbranch_execz .LBB82_10
; %bb.9:                                ;   in Loop: Header=BB82_8 Depth=1
	global_load_dwordx2 v[0:1], v[8:9], off
.LBB82_10:                              ;   in Loop: Header=BB82_8 Depth=1
	s_or_b64 exec, exec, s[6:7]
	s_waitcnt vmcnt(0)
	ds_write_b64 v21, v[0:1]
	v_add_u32_e32 v0, s27, v17
	v_cmp_gt_i32_e64 s[6:7], s25, v0
	s_and_b64 s[16:17], s[6:7], s[2:3]
	v_mov_b32_e32 v0, 0
	v_mov_b32_e32 v1, 0
	s_and_saveexec_b64 s[6:7], s[16:17]
	s_cbranch_execz .LBB82_7
; %bb.11:                               ;   in Loop: Header=BB82_8 Depth=1
	global_load_dwordx2 v[0:1], v[10:11], off
	s_branch .LBB82_7
.LBB82_12:
	s_load_dwordx2 s[2:3], s[0:1], 0x58
	s_load_dword s14, s[0:1], 0x50
	v_add_u32_e32 v10, s5, v13
	v_add_u32_e32 v0, s26, v15
	v_cmp_le_i32_e32 vcc, v10, v0
	s_waitcnt lgkmcnt(0)
	s_mul_i32 s1, s3, s4
	s_mul_hi_u32 s3, s2, s4
	s_mul_i32 s0, s2, s4
	s_add_i32 s1, s3, s1
	s_lshl_b64 s[0:1], s[0:1], 3
	s_add_u32 s6, s12, s0
	s_addc_u32 s7, s13, s1
	v_cmp_neq_f32_e64 s[0:1], s20, 0
	s_xor_b64 s[4:5], s[10:11], -1
	v_mad_i64_i32 v[2:3], s[2:3], v10, s14, 0
	s_or_b64 s[0:1], s[0:1], s[4:5]
	v_lshl_add_u64 v[4:5], v[2:3], 3, s[6:7]
	v_cmp_gt_i32_e64 s[2:3], s24, v0
	v_cndmask_b32_e64 v2, 0, 1, s[0:1]
	s_and_b64 s[8:9], vcc, s[2:3]
	v_ashrrev_i32_e32 v1, 31, v0
	v_cmp_ne_u32_e64 s[0:1], 1, v2
	s_and_saveexec_b64 s[4:5], s[8:9]
	s_cbranch_execz .LBB82_16
; %bb.13:
	v_pk_mul_f32 v[6:7], v[26:27], s[22:23] op_sel:[0,1] op_sel_hi:[0,0]
	v_pk_fma_f32 v[2:3], v[24:25], s[22:23], v[6:7] op_sel_hi:[0,1,1] neg_lo:[0,0,1] neg_hi:[0,0,1]
	v_pk_fma_f32 v[8:9], v[24:25], s[22:23], v[6:7] op_sel_hi:[0,1,1]
	s_and_b64 vcc, exec, s[0:1]
	v_lshl_add_u64 v[6:7], v[0:1], 3, v[4:5]
	s_cbranch_vccnz .LBB82_15
; %bb.14:
	global_load_dwordx2 v[24:25], v[6:7], off
	s_mov_b32 s8, s21
	v_mov_b32_e32 v3, v9
	s_waitcnt vmcnt(0)
	v_pk_mul_f32 v[8:9], v[24:25], s[8:9] op_sel:[1,0] op_sel_hi:[0,0]
	v_pk_fma_f32 v[26:27], v[24:25], s[20:21], v[8:9] neg_lo:[0,0,1] neg_hi:[0,0,1]
	v_pk_fma_f32 v[8:9], v[24:25], s[20:21], v[8:9] op_sel_hi:[1,0,1]
	s_nop 0
	v_mov_b32_e32 v27, v9
	v_pk_add_f32 v[2:3], v[2:3], v[26:27]
	s_nop 0
	v_mov_b32_e32 v9, v3
.LBB82_15:
	v_mov_b32_e32 v3, v9
	global_store_dwordx2 v[6:7], v[2:3], off
.LBB82_16:
	s_or_b64 exec, exec, s[4:5]
	v_add_u32_e32 v2, 16, v0
	v_cmp_le_i32_e32 vcc, v10, v2
	v_cmp_gt_i32_e64 s[4:5], s24, v2
	s_and_b64 s[10:11], vcc, s[4:5]
	v_ashrrev_i32_e32 v3, 31, v2
	s_and_saveexec_b64 s[8:9], s[10:11]
	s_cbranch_execz .LBB82_20
; %bb.17:
	v_pk_mul_f32 v[8:9], v[22:23], s[22:23] op_sel:[0,1] op_sel_hi:[0,0]
	v_pk_fma_f32 v[6:7], v[20:21], s[22:23], v[8:9] op_sel_hi:[0,1,1] neg_lo:[0,0,1] neg_hi:[0,0,1]
	v_pk_fma_f32 v[8:9], v[20:21], s[22:23], v[8:9] op_sel_hi:[0,1,1]
	s_and_b64 vcc, exec, s[0:1]
	v_lshl_add_u64 v[4:5], v[2:3], 3, v[4:5]
	s_cbranch_vccnz .LBB82_19
; %bb.18:
	global_load_dwordx2 v[20:21], v[4:5], off
	s_mov_b32 s10, s21
	v_mov_b32_e32 v7, v9
	s_waitcnt vmcnt(0)
	v_pk_mul_f32 v[8:9], v[20:21], s[10:11] op_sel:[1,0] op_sel_hi:[0,0]
	v_pk_fma_f32 v[22:23], v[20:21], s[20:21], v[8:9] neg_lo:[0,0,1] neg_hi:[0,0,1]
	v_pk_fma_f32 v[8:9], v[20:21], s[20:21], v[8:9] op_sel_hi:[1,0,1]
	s_nop 0
	v_mov_b32_e32 v23, v9
	v_pk_add_f32 v[6:7], v[6:7], v[22:23]
	s_nop 0
	v_mov_b32_e32 v9, v7
.LBB82_19:
	v_mov_b32_e32 v7, v9
	global_store_dwordx2 v[4:5], v[6:7], off
.LBB82_20:
	s_or_b64 exec, exec, s[8:9]
	v_add_u32_e32 v10, 16, v10
	v_mad_i64_i32 v[4:5], s[8:9], v10, s14, 0
	v_cmp_le_i32_e32 vcc, v10, v0
	v_lshl_add_u64 v[4:5], v[4:5], 3, s[6:7]
	s_and_b64 s[6:7], vcc, s[2:3]
	s_and_saveexec_b64 s[2:3], s[6:7]
	s_cbranch_execz .LBB82_24
; %bb.21:
	v_pk_mul_f32 v[8:9], v[18:19], s[22:23] op_sel:[0,1] op_sel_hi:[0,0]
	v_pk_fma_f32 v[6:7], v[16:17], s[22:23], v[8:9] op_sel_hi:[0,1,1] neg_lo:[0,0,1] neg_hi:[0,0,1]
	v_pk_fma_f32 v[8:9], v[16:17], s[22:23], v[8:9] op_sel_hi:[0,1,1]
	s_and_b64 vcc, exec, s[0:1]
	v_lshl_add_u64 v[0:1], v[0:1], 3, v[4:5]
	s_cbranch_vccnz .LBB82_23
; %bb.22:
	global_load_dwordx2 v[16:17], v[0:1], off
	s_mov_b32 s6, s21
	v_mov_b32_e32 v7, v9
	s_waitcnt vmcnt(0)
	v_pk_mul_f32 v[8:9], v[16:17], s[6:7] op_sel:[1,0] op_sel_hi:[0,0]
	v_pk_fma_f32 v[18:19], v[16:17], s[20:21], v[8:9] neg_lo:[0,0,1] neg_hi:[0,0,1]
	v_pk_fma_f32 v[8:9], v[16:17], s[20:21], v[8:9] op_sel_hi:[1,0,1]
	s_nop 0
	v_mov_b32_e32 v19, v9
	v_pk_add_f32 v[6:7], v[6:7], v[18:19]
	s_nop 0
	v_mov_b32_e32 v9, v7
.LBB82_23:
	v_mov_b32_e32 v7, v9
	global_store_dwordx2 v[0:1], v[6:7], off
.LBB82_24:
	s_or_b64 exec, exec, s[2:3]
	v_cmp_le_i32_e32 vcc, v10, v2
	s_and_b64 s[2:3], vcc, s[4:5]
	s_and_saveexec_b64 s[4:5], s[2:3]
	s_cbranch_execz .LBB82_28
; %bb.25:
	v_pk_mul_f32 v[6:7], v[12:13], s[22:23] op_sel:[0,1] op_sel_hi:[0,0]
	v_pk_fma_f32 v[0:1], v[14:15], s[22:23], v[6:7] op_sel_hi:[0,1,1] neg_lo:[0,0,1] neg_hi:[0,0,1]
	v_pk_fma_f32 v[6:7], v[14:15], s[22:23], v[6:7] op_sel_hi:[0,1,1]
	s_and_b64 vcc, exec, s[0:1]
	v_lshl_add_u64 v[2:3], v[2:3], 3, v[4:5]
	s_cbranch_vccnz .LBB82_27
; %bb.26:
	global_load_dwordx2 v[4:5], v[2:3], off
	s_mov_b32 s0, s21
	v_mov_b32_e32 v1, v7
	s_waitcnt vmcnt(0)
	v_pk_mul_f32 v[6:7], v[4:5], s[0:1] op_sel:[1,0] op_sel_hi:[0,0]
	v_pk_fma_f32 v[8:9], v[4:5], s[20:21], v[6:7] neg_lo:[0,0,1] neg_hi:[0,0,1]
	v_pk_fma_f32 v[4:5], v[4:5], s[20:21], v[6:7] op_sel_hi:[1,0,1]
	s_nop 0
	v_mov_b32_e32 v9, v5
	v_pk_add_f32 v[0:1], v[0:1], v[8:9]
	s_nop 0
	v_mov_b32_e32 v7, v1
.LBB82_27:
	v_mov_b32_e32 v1, v7
	global_store_dwordx2 v[2:3], v[0:1], off
.LBB82_28:
	s_endpgm
	.section	.rodata,"a",@progbits
	.p2align	6, 0x0
	.amdhsa_kernel _ZL29rocblas_internal_gemmt_kernelIiLi16ELi32ELi8ELc78ELc84ELc76ELb0ELb0E19rocblas_complex_numIfEPKS1_S3_PS1_EviT_T9_T10_S5_lS7_S5_lS6_T11_S5_li
		.amdhsa_group_segment_fixed_size 4096
		.amdhsa_private_segment_fixed_size 0
		.amdhsa_kernarg_size 100
		.amdhsa_user_sgpr_count 2
		.amdhsa_user_sgpr_dispatch_ptr 0
		.amdhsa_user_sgpr_queue_ptr 0
		.amdhsa_user_sgpr_kernarg_segment_ptr 1
		.amdhsa_user_sgpr_dispatch_id 0
		.amdhsa_user_sgpr_kernarg_preload_length 0
		.amdhsa_user_sgpr_kernarg_preload_offset 0
		.amdhsa_user_sgpr_private_segment_size 0
		.amdhsa_uses_dynamic_stack 0
		.amdhsa_enable_private_segment 0
		.amdhsa_system_sgpr_workgroup_id_x 1
		.amdhsa_system_sgpr_workgroup_id_y 1
		.amdhsa_system_sgpr_workgroup_id_z 1
		.amdhsa_system_sgpr_workgroup_info 0
		.amdhsa_system_vgpr_workitem_id 1
		.amdhsa_next_free_vgpr 52
		.amdhsa_next_free_sgpr 32
		.amdhsa_accum_offset 52
		.amdhsa_reserve_vcc 1
		.amdhsa_float_round_mode_32 0
		.amdhsa_float_round_mode_16_64 0
		.amdhsa_float_denorm_mode_32 3
		.amdhsa_float_denorm_mode_16_64 3
		.amdhsa_dx10_clamp 1
		.amdhsa_ieee_mode 1
		.amdhsa_fp16_overflow 0
		.amdhsa_tg_split 0
		.amdhsa_exception_fp_ieee_invalid_op 0
		.amdhsa_exception_fp_denorm_src 0
		.amdhsa_exception_fp_ieee_div_zero 0
		.amdhsa_exception_fp_ieee_overflow 0
		.amdhsa_exception_fp_ieee_underflow 0
		.amdhsa_exception_fp_ieee_inexact 0
		.amdhsa_exception_int_div_zero 0
	.end_amdhsa_kernel
	.section	.text._ZL29rocblas_internal_gemmt_kernelIiLi16ELi32ELi8ELc78ELc84ELc76ELb0ELb0E19rocblas_complex_numIfEPKS1_S3_PS1_EviT_T9_T10_S5_lS7_S5_lS6_T11_S5_li,"axG",@progbits,_ZL29rocblas_internal_gemmt_kernelIiLi16ELi32ELi8ELc78ELc84ELc76ELb0ELb0E19rocblas_complex_numIfEPKS1_S3_PS1_EviT_T9_T10_S5_lS7_S5_lS6_T11_S5_li,comdat
.Lfunc_end82:
	.size	_ZL29rocblas_internal_gemmt_kernelIiLi16ELi32ELi8ELc78ELc84ELc76ELb0ELb0E19rocblas_complex_numIfEPKS1_S3_PS1_EviT_T9_T10_S5_lS7_S5_lS6_T11_S5_li, .Lfunc_end82-_ZL29rocblas_internal_gemmt_kernelIiLi16ELi32ELi8ELc78ELc84ELc76ELb0ELb0E19rocblas_complex_numIfEPKS1_S3_PS1_EviT_T9_T10_S5_lS7_S5_lS6_T11_S5_li
                                        ; -- End function
	.set _ZL29rocblas_internal_gemmt_kernelIiLi16ELi32ELi8ELc78ELc84ELc76ELb0ELb0E19rocblas_complex_numIfEPKS1_S3_PS1_EviT_T9_T10_S5_lS7_S5_lS6_T11_S5_li.num_vgpr, 52
	.set _ZL29rocblas_internal_gemmt_kernelIiLi16ELi32ELi8ELc78ELc84ELc76ELb0ELb0E19rocblas_complex_numIfEPKS1_S3_PS1_EviT_T9_T10_S5_lS7_S5_lS6_T11_S5_li.num_agpr, 0
	.set _ZL29rocblas_internal_gemmt_kernelIiLi16ELi32ELi8ELc78ELc84ELc76ELb0ELb0E19rocblas_complex_numIfEPKS1_S3_PS1_EviT_T9_T10_S5_lS7_S5_lS6_T11_S5_li.numbered_sgpr, 32
	.set _ZL29rocblas_internal_gemmt_kernelIiLi16ELi32ELi8ELc78ELc84ELc76ELb0ELb0E19rocblas_complex_numIfEPKS1_S3_PS1_EviT_T9_T10_S5_lS7_S5_lS6_T11_S5_li.num_named_barrier, 0
	.set _ZL29rocblas_internal_gemmt_kernelIiLi16ELi32ELi8ELc78ELc84ELc76ELb0ELb0E19rocblas_complex_numIfEPKS1_S3_PS1_EviT_T9_T10_S5_lS7_S5_lS6_T11_S5_li.private_seg_size, 0
	.set _ZL29rocblas_internal_gemmt_kernelIiLi16ELi32ELi8ELc78ELc84ELc76ELb0ELb0E19rocblas_complex_numIfEPKS1_S3_PS1_EviT_T9_T10_S5_lS7_S5_lS6_T11_S5_li.uses_vcc, 1
	.set _ZL29rocblas_internal_gemmt_kernelIiLi16ELi32ELi8ELc78ELc84ELc76ELb0ELb0E19rocblas_complex_numIfEPKS1_S3_PS1_EviT_T9_T10_S5_lS7_S5_lS6_T11_S5_li.uses_flat_scratch, 0
	.set _ZL29rocblas_internal_gemmt_kernelIiLi16ELi32ELi8ELc78ELc84ELc76ELb0ELb0E19rocblas_complex_numIfEPKS1_S3_PS1_EviT_T9_T10_S5_lS7_S5_lS6_T11_S5_li.has_dyn_sized_stack, 0
	.set _ZL29rocblas_internal_gemmt_kernelIiLi16ELi32ELi8ELc78ELc84ELc76ELb0ELb0E19rocblas_complex_numIfEPKS1_S3_PS1_EviT_T9_T10_S5_lS7_S5_lS6_T11_S5_li.has_recursion, 0
	.set _ZL29rocblas_internal_gemmt_kernelIiLi16ELi32ELi8ELc78ELc84ELc76ELb0ELb0E19rocblas_complex_numIfEPKS1_S3_PS1_EviT_T9_T10_S5_lS7_S5_lS6_T11_S5_li.has_indirect_call, 0
	.section	.AMDGPU.csdata,"",@progbits
; Kernel info:
; codeLenInByte = 2472
; TotalNumSgprs: 38
; NumVgprs: 52
; NumAgprs: 0
; TotalNumVgprs: 52
; ScratchSize: 0
; MemoryBound: 0
; FloatMode: 240
; IeeeMode: 1
; LDSByteSize: 4096 bytes/workgroup (compile time only)
; SGPRBlocks: 4
; VGPRBlocks: 6
; NumSGPRsForWavesPerEU: 38
; NumVGPRsForWavesPerEU: 52
; AccumOffset: 52
; Occupancy: 8
; WaveLimiterHint : 0
; COMPUTE_PGM_RSRC2:SCRATCH_EN: 0
; COMPUTE_PGM_RSRC2:USER_SGPR: 2
; COMPUTE_PGM_RSRC2:TRAP_HANDLER: 0
; COMPUTE_PGM_RSRC2:TGID_X_EN: 1
; COMPUTE_PGM_RSRC2:TGID_Y_EN: 1
; COMPUTE_PGM_RSRC2:TGID_Z_EN: 1
; COMPUTE_PGM_RSRC2:TIDIG_COMP_CNT: 1
; COMPUTE_PGM_RSRC3_GFX90A:ACCUM_OFFSET: 12
; COMPUTE_PGM_RSRC3_GFX90A:TG_SPLIT: 0
	.section	.text._ZL29rocblas_internal_gemmt_kernelIiLi16ELi32ELi8ELc78ELc67ELc76ELb0ELb1E19rocblas_complex_numIfEPKS1_S3_PS1_EviT_T9_T10_S5_lS7_S5_lS6_T11_S5_li,"axG",@progbits,_ZL29rocblas_internal_gemmt_kernelIiLi16ELi32ELi8ELc78ELc67ELc76ELb0ELb1E19rocblas_complex_numIfEPKS1_S3_PS1_EviT_T9_T10_S5_lS7_S5_lS6_T11_S5_li,comdat
	.globl	_ZL29rocblas_internal_gemmt_kernelIiLi16ELi32ELi8ELc78ELc67ELc76ELb0ELb1E19rocblas_complex_numIfEPKS1_S3_PS1_EviT_T9_T10_S5_lS7_S5_lS6_T11_S5_li ; -- Begin function _ZL29rocblas_internal_gemmt_kernelIiLi16ELi32ELi8ELc78ELc67ELc76ELb0ELb1E19rocblas_complex_numIfEPKS1_S3_PS1_EviT_T9_T10_S5_lS7_S5_lS6_T11_S5_li
	.p2align	8
	.type	_ZL29rocblas_internal_gemmt_kernelIiLi16ELi32ELi8ELc78ELc67ELc76ELb0ELb1E19rocblas_complex_numIfEPKS1_S3_PS1_EviT_T9_T10_S5_lS7_S5_lS6_T11_S5_li,@function
_ZL29rocblas_internal_gemmt_kernelIiLi16ELi32ELi8ELc78ELc67ELc76ELb0ELb1E19rocblas_complex_numIfEPKS1_S3_PS1_EviT_T9_T10_S5_lS7_S5_lS6_T11_S5_li: ; @_ZL29rocblas_internal_gemmt_kernelIiLi16ELi32ELi8ELc78ELc67ELc76ELb0ELb1E19rocblas_complex_numIfEPKS1_S3_PS1_EviT_T9_T10_S5_lS7_S5_lS6_T11_S5_li
; %bb.0:
	s_load_dwordx4 s[8:11], s[0:1], 0x38
	s_load_dwordx4 s[12:15], s[0:1], 0x8
	s_waitcnt lgkmcnt(0)
	s_load_dwordx2 s[6:7], s[10:11], 0x0
	s_load_dwordx2 s[22:23], s[0:1], 0x0
	;; [unrolled: 1-line block ×3, first 2 shown]
	s_waitcnt lgkmcnt(0)
	s_and_b32 s5, s7, 0x7fffffff
	s_cmp_eq_u32 s5, 0
	v_cmp_eq_f32_e64 s[12:13], s6, 1.0
	s_cselect_b64 s[10:11], -1, 0
	s_and_b64 s[12:13], s[12:13], s[10:11]
	s_and_b64 vcc, exec, s[12:13]
	s_cbranch_vccnz .LBB83_2
; %bb.1:
	s_mov_b64 s[12:13], -1
	s_cbranch_execz .LBB83_3
	s_branch .LBB83_4
.LBB83_2:
	s_mov_b64 s[12:13], 0
.LBB83_3:
	s_cmp_lg_u32 s23, 0
	v_cmp_neq_f32_e64 s[16:17], s20, 0
	v_cmp_neq_f32_e64 s[18:19], s21, 0
	s_cselect_b64 s[12:13], -1, 0
	s_or_b64 s[16:17], s[16:17], s[18:19]
	s_and_b64 s[12:13], s[12:13], s[16:17]
.LBB83_4:
	s_andn2_b64 vcc, exec, s[12:13]
	s_cbranch_vccnz .LBB83_30
; %bb.5:
	s_lshl_b32 s24, s2, 5
	s_lshl_b32 s5, s3, 5
	v_cmp_eq_f32_e64 s[2:3], s20, 0
	v_cmp_eq_f32_e64 s[16:17], s21, 0
	s_load_dwordx2 s[12:13], s[0:1], 0x48
	s_and_b64 s[2:3], s[2:3], s[16:17]
	s_cmp_lt_i32 s23, 1
	s_cselect_b64 s[16:17], -1, 0
	s_or_b64 s[2:3], s[2:3], s[16:17]
	v_and_b32_e32 v15, 0x3ff, v0
	v_bfe_u32 v13, v0, 10, 10
	s_mov_b32 s25, 0
	v_mov_b32_e32 v24, 0
	s_and_b64 vcc, exec, s[2:3]
	v_mov_b32_e32 v26, 0
	v_mov_b32_e32 v20, 0
	;; [unrolled: 1-line block ×7, first 2 shown]
	s_cbranch_vccnz .LBB83_14
; %bb.6:
	v_lshl_add_u32 v1, v13, 4, v15
	v_and_b32_e32 v4, 31, v1
	v_lshrrev_b32_e32 v19, 5, v1
	v_lshrrev_b32_e32 v2, 3, v1
	v_or_b32_e32 v1, s24, v4
	s_load_dword s26, s[0:1], 0x18
	s_load_dwordx4 s[16:19], s[0:1], 0x20
	s_load_dword s28, s[0:1], 0x30
	v_and_b32_e32 v17, 7, v15
	v_cmp_gt_i32_e32 vcc, s22, v1
	v_lshlrev_b32_e32 v1, 3, v4
	v_lshl_or_b32 v21, v19, 8, v1
	v_lshlrev_b32_e32 v1, 3, v17
	v_add_u32_e32 v0, s5, v2
	v_lshl_or_b32 v1, v2, 6, v1
	v_mov_b32_e32 v2, 0x800
	v_lshl_add_u32 v27, v13, 6, v2
	s_waitcnt lgkmcnt(0)
	v_mad_i64_i32 v[2:3], s[30:31], v19, s26, 0
	s_mul_i32 s17, s17, s4
	s_mul_hi_u32 s30, s16, s4
	s_add_i32 s17, s30, s17
	s_mul_i32 s16, s16, s4
	s_lshl_b64 s[16:17], s[16:17], 3
	v_add_u32_e32 v4, s24, v4
	v_lshl_add_u64 v[2:3], v[2:3], 3, s[16:17]
	v_ashrrev_i32_e32 v5, 31, v4
	v_lshl_add_u64 v[2:3], v[4:5], 3, v[2:3]
	s_mul_i32 s9, s9, s4
	s_mul_hi_u32 s16, s8, s4
	v_lshl_add_u64 v[8:9], s[14:15], 0, v[2:3]
	s_add_i32 s9, s16, s9
	v_mad_i64_i32 v[2:3], s[16:17], s28, v17, 0
	s_mul_i32 s8, s8, s4
	v_lshlrev_b64 v[2:3], 3, v[2:3]
	v_add_u32_e32 v23, 0x800, v1
	v_ashrrev_i32_e32 v1, 31, v0
	v_lshl_add_u64 v[2:3], s[8:9], 3, v[2:3]
	v_cmp_gt_i32_e64 s[2:3], s22, v0
	v_lshl_add_u64 v[0:1], v[0:1], 3, v[2:3]
	s_ashr_i32 s27, s26, 31
	s_ashr_i32 s29, s28, 31
	v_lshl_add_u64 v[0:1], s[18:19], 0, v[0:1]
	v_lshlrev_b32_e32 v25, 3, v15
	s_lshl_b64 s[14:15], s[26:27], 6
	v_lshl_add_u64 v[10:11], v[0:1], 0, 4
	s_lshl_b64 s[8:9], s[28:29], 6
	v_mov_b32_e32 v28, 0
	s_xor_b64 s[16:17], s[2:3], -1
	v_mov_b32_e32 v14, 0
	v_mov_b32_e32 v12, 0
	v_mov_b32_e32 v18, 0
	v_mov_b32_e32 v16, 0
	v_mov_b32_e32 v22, 0
	v_mov_b32_e32 v20, 0
	v_mov_b32_e32 v26, 0
	v_mov_b32_e32 v24, 0
	s_branch .LBB83_8
.LBB83_7:                               ;   in Loop: Header=BB83_8 Depth=1
	s_or_b64 exec, exec, s[2:3]
	ds_write_b32 v23, v0 offset:4
	s_waitcnt lgkmcnt(0)
	s_barrier
	ds_read2_b64 v[30:33], v25 offset1:16
	ds_read_b128 v[34:37], v27
	ds_read_b128 v[38:41], v27 offset:16
	ds_read_b128 v[4:7], v27 offset:32
	;; [unrolled: 1-line block ×3, first 2 shown]
	ds_read2_b64 v[50:53], v25 offset0:32 offset1:48
	s_waitcnt lgkmcnt(4)
	v_mul_f32_e32 v42, v34, v31
	v_fmac_f32_e32 v42, v35, v30
	v_add_f32_e32 v26, v26, v42
	ds_read_b128 v[42:45], v27 offset:1024
	ds_read_b128 v[46:49], v27 offset:1040
	v_mul_f32_e32 v29, v35, v31
	v_fma_f32 v29, v34, v30, -v29
	v_add_f32_e32 v24, v24, v29
	v_mul_f32_e32 v29, v35, v33
	v_fma_f32 v29, v34, v32, -v29
	v_add_f32_e32 v20, v20, v29
	s_waitcnt lgkmcnt(1)
	v_mul_f32_e32 v29, v43, v31
	v_mul_f32_e32 v31, v42, v31
	v_fma_f32 v29, v42, v30, -v29
	v_fmac_f32_e32 v31, v43, v30
	v_mul_f32_e32 v30, v42, v33
	v_fmac_f32_e32 v30, v43, v32
	v_add_f32_e32 v14, v14, v30
	v_mul_f32_e32 v30, v36, v51
	v_mul_f32_e32 v34, v34, v33
	v_fmac_f32_e32 v30, v37, v50
	v_fmac_f32_e32 v34, v35, v32
	v_add_f32_e32 v26, v26, v30
	v_mul_f32_e32 v30, v36, v53
	v_add_f32_e32 v22, v22, v34
	v_add_f32_e32 v16, v16, v29
	v_mul_f32_e32 v29, v43, v33
	v_fmac_f32_e32 v30, v37, v52
	v_fma_f32 v29, v42, v32, -v29
	v_add_f32_e32 v22, v22, v30
	v_mul_f32_e32 v30, v44, v51
	v_add_f32_e32 v18, v18, v31
	v_add_f32_e32 v12, v12, v29
	v_mul_f32_e32 v29, v37, v51
	v_fmac_f32_e32 v30, v45, v50
	v_fma_f32 v29, v36, v50, -v29
	v_add_f32_e32 v18, v18, v30
	ds_read2_b64 v[30:33], v25 offset0:64 offset1:80
	v_add_f32_e32 v24, v24, v29
	v_mul_f32_e32 v29, v37, v53
	v_fma_f32 v29, v36, v52, -v29
	v_add_f32_e32 v20, v20, v29
	v_mul_f32_e32 v29, v45, v51
	v_mul_f32_e32 v34, v44, v53
	v_fma_f32 v29, v44, v50, -v29
	v_fmac_f32_e32 v34, v45, v52
	v_add_f32_e32 v16, v16, v29
	v_mul_f32_e32 v29, v45, v53
	v_add_f32_e32 v14, v14, v34
	s_waitcnt lgkmcnt(0)
	v_mul_f32_e32 v34, v38, v31
	v_fma_f32 v29, v44, v52, -v29
	v_fmac_f32_e32 v34, v39, v30
	v_add_f32_e32 v12, v12, v29
	v_mul_f32_e32 v29, v39, v31
	v_add_f32_e32 v26, v26, v34
	v_mul_f32_e32 v34, v38, v33
	v_fma_f32 v29, v38, v30, -v29
	v_fmac_f32_e32 v34, v39, v32
	v_add_f32_e32 v24, v24, v29
	v_mul_f32_e32 v29, v39, v33
	v_add_f32_e32 v22, v22, v34
	ds_read2_b64 v[34:37], v25 offset0:96 offset1:112
	v_fma_f32 v29, v38, v32, -v29
	v_add_f32_e32 v20, v20, v29
	v_mul_f32_e32 v29, v47, v31
	v_mul_f32_e32 v31, v46, v31
	v_fma_f32 v29, v46, v30, -v29
	v_fmac_f32_e32 v31, v47, v30
	v_mul_f32_e32 v30, v46, v33
	v_fmac_f32_e32 v30, v47, v32
	v_add_f32_e32 v14, v14, v30
	s_waitcnt lgkmcnt(0)
	v_mul_f32_e32 v30, v40, v35
	v_fmac_f32_e32 v30, v41, v34
	v_add_f32_e32 v16, v16, v29
	v_mul_f32_e32 v29, v47, v33
	v_add_f32_e32 v26, v26, v30
	v_mul_f32_e32 v30, v40, v37
	v_fma_f32 v29, v46, v32, -v29
	v_fmac_f32_e32 v30, v41, v36
	v_add_f32_e32 v12, v12, v29
	v_mul_f32_e32 v29, v41, v35
	v_add_f32_e32 v22, v22, v30
	v_mul_f32_e32 v30, v48, v35
	v_add_f32_e32 v18, v18, v31
	v_fma_f32 v29, v40, v34, -v29
	v_fmac_f32_e32 v30, v49, v34
	v_add_f32_e32 v24, v24, v29
	v_mul_f32_e32 v29, v41, v37
	v_add_f32_e32 v18, v18, v30
	ds_read2_b64 v[30:33], v25 offset0:128 offset1:144
	v_fma_f32 v29, v40, v36, -v29
	v_add_f32_e32 v20, v20, v29
	v_mul_f32_e32 v29, v49, v35
	v_fma_f32 v29, v48, v34, -v29
	v_mul_f32_e32 v34, v48, v37
	v_fmac_f32_e32 v34, v49, v36
	v_add_f32_e32 v14, v14, v34
	s_waitcnt lgkmcnt(0)
	v_mul_f32_e32 v34, v4, v31
	v_add_f32_e32 v16, v16, v29
	v_mul_f32_e32 v29, v49, v37
	v_fmac_f32_e32 v34, v5, v30
	v_fma_f32 v29, v48, v36, -v29
	v_add_f32_e32 v26, v26, v34
	ds_read_b128 v[34:37], v27 offset:1056
	ds_read_b128 v[38:41], v27 offset:1072
	v_add_f32_e32 v12, v12, v29
	v_mul_f32_e32 v29, v5, v31
	v_fma_f32 v29, v4, v30, -v29
	v_add_f32_e32 v24, v24, v29
	v_mul_f32_e32 v29, v5, v33
	v_fma_f32 v29, v4, v32, -v29
	v_mul_f32_e32 v4, v4, v33
	ds_read2_b64 v[42:45], v25 offset0:160 offset1:176
	v_fmac_f32_e32 v4, v5, v32
	v_add_f32_e32 v5, v20, v29
	s_waitcnt lgkmcnt(2)
	v_mul_f32_e32 v20, v35, v31
	v_fma_f32 v20, v34, v30, -v20
	v_add_f32_e32 v16, v16, v20
	v_mul_f32_e32 v20, v35, v33
	v_add_f32_e32 v4, v22, v4
	v_mul_f32_e32 v22, v34, v31
	v_fma_f32 v20, v34, v32, -v20
	v_fmac_f32_e32 v22, v35, v30
	v_add_f32_e32 v12, v12, v20
	s_waitcnt lgkmcnt(0)
	v_mul_f32_e32 v20, v7, v43
	v_add_f32_e32 v18, v18, v22
	v_mul_f32_e32 v22, v34, v33
	v_fma_f32 v20, v6, v42, -v20
	v_fmac_f32_e32 v22, v35, v32
	v_add_f32_e32 v20, v24, v20
	v_mul_f32_e32 v24, v7, v45
	v_add_f32_e32 v14, v14, v22
	v_mul_f32_e32 v22, v6, v43
	v_fma_f32 v24, v6, v44, -v24
	v_mul_f32_e32 v6, v6, v45
	v_fmac_f32_e32 v22, v7, v42
	v_fmac_f32_e32 v6, v7, v44
	v_add_f32_e32 v22, v26, v22
	v_add_f32_e32 v26, v4, v6
	v_mul_f32_e32 v4, v37, v43
	v_add_f32_e32 v24, v5, v24
	v_fma_f32 v4, v36, v42, -v4
	v_mul_f32_e32 v5, v36, v43
	v_fmac_f32_e32 v5, v37, v42
	v_add_f32_e32 v16, v16, v4
	v_mul_f32_e32 v4, v37, v45
	v_add_f32_e32 v18, v18, v5
	v_fma_f32 v29, v36, v44, -v4
	ds_read2_b64 v[4:7], v25 offset0:192 offset1:208
	v_mul_f32_e32 v30, v36, v45
	v_fmac_f32_e32 v30, v37, v44
	v_add_f32_e32 v12, v12, v29
	v_add_f32_e32 v14, v14, v30
	s_waitcnt lgkmcnt(0)
	v_mul_f32_e32 v29, v1, v5
	v_fma_f32 v29, v0, v4, -v29
	v_mul_f32_e32 v30, v0, v5
	v_fmac_f32_e32 v30, v1, v4
	v_add_f32_e32 v20, v20, v29
	v_mul_f32_e32 v29, v1, v7
	v_add_f32_e32 v22, v22, v30
	v_fma_f32 v29, v0, v6, -v29
	v_mul_f32_e32 v0, v0, v7
	ds_read2_b64 v[30:33], v25 offset0:224 offset1:240
	v_fmac_f32_e32 v0, v1, v6
	v_add_f32_e32 v1, v24, v29
	v_mul_f32_e32 v24, v39, v5
	v_fma_f32 v24, v38, v4, -v24
	v_mul_f32_e32 v5, v38, v5
	v_fmac_f32_e32 v5, v39, v4
	v_add_f32_e32 v4, v16, v24
	v_mul_f32_e32 v16, v39, v7
	v_fma_f32 v16, v38, v6, -v16
	v_mul_f32_e32 v7, v38, v7
	v_fmac_f32_e32 v7, v39, v6
	v_add_f32_e32 v6, v12, v16
	s_waitcnt lgkmcnt(0)
	v_mul_f32_e32 v12, v3, v31
	v_fma_f32 v12, v2, v30, -v12
	v_add_f32_e32 v24, v20, v12
	v_mul_f32_e32 v12, v3, v33
	v_add_f32_e32 v7, v14, v7
	v_mul_f32_e32 v14, v2, v31
	v_fma_f32 v12, v2, v32, -v12
	v_mul_f32_e32 v2, v2, v33
	v_add_f32_e32 v0, v26, v0
	v_fmac_f32_e32 v14, v3, v30
	v_fmac_f32_e32 v2, v3, v32
	v_add_f32_e32 v26, v22, v14
	v_add_f32_e32 v20, v1, v12
	;; [unrolled: 1-line block ×3, first 2 shown]
	v_mul_f32_e32 v0, v41, v31
	v_mul_f32_e32 v1, v40, v31
	v_add_f32_e32 v5, v18, v5
	v_fma_f32 v0, v40, v30, -v0
	v_fmac_f32_e32 v1, v41, v30
	v_add_f32_e32 v16, v4, v0
	v_add_f32_e32 v18, v5, v1
	v_mul_f32_e32 v0, v41, v33
	v_mul_f32_e32 v1, v40, v33
	v_fma_f32 v0, v40, v32, -v0
	v_fmac_f32_e32 v1, v41, v32
	s_add_i32 s25, s25, 8
	v_add_f32_e32 v12, v6, v0
	v_add_f32_e32 v14, v7, v1
	v_lshl_add_u64 v[8:9], v[8:9], 0, s[14:15]
	s_cmp_lt_i32 s25, s23
	v_lshl_add_u64 v[10:11], v[10:11], 0, s[8:9]
	s_barrier
	s_cbranch_scc0 .LBB83_14
.LBB83_8:                               ; =>This Inner Loop Header: Depth=1
	v_add_u32_e32 v0, s25, v19
	v_cmp_gt_i32_e64 s[2:3], s23, v0
	s_and_b64 s[18:19], vcc, s[2:3]
	v_mov_b32_e32 v0, 0
	v_mov_b32_e32 v1, 0
	s_and_saveexec_b64 s[2:3], s[18:19]
	s_cbranch_execz .LBB83_10
; %bb.9:                                ;   in Loop: Header=BB83_8 Depth=1
	global_load_dwordx2 v[0:1], v[8:9], off
.LBB83_10:                              ;   in Loop: Header=BB83_8 Depth=1
	s_or_b64 exec, exec, s[2:3]
	s_waitcnt vmcnt(0)
	ds_write_b64 v21, v[0:1]
	v_add_u32_e32 v0, s25, v17
	v_cmp_le_i32_e64 s[2:3], s23, v0
	s_or_b64 s[2:3], s[2:3], s[16:17]
	s_and_saveexec_b64 s[18:19], s[2:3]
	s_xor_b64 s[2:3], exec, s[18:19]
; %bb.11:                               ;   in Loop: Header=BB83_8 Depth=1
	ds_write_b32 v23, v28
; %bb.12:                               ;   in Loop: Header=BB83_8 Depth=1
	s_or_saveexec_b64 s[2:3], s[2:3]
	v_mov_b32_e32 v0, 0
	s_xor_b64 exec, exec, s[2:3]
	s_cbranch_execz .LBB83_7
; %bb.13:                               ;   in Loop: Header=BB83_8 Depth=1
	global_load_dwordx2 v[2:3], v[10:11], off offset:-4
	s_waitcnt vmcnt(0)
	v_xor_b32_e32 v0, 0x80000000, v3
	ds_write_b32 v23, v2
	s_branch .LBB83_7
.LBB83_14:
	s_load_dwordx2 s[2:3], s[0:1], 0x58
	s_load_dword s14, s[0:1], 0x50
	v_add_u32_e32 v10, s5, v13
	v_add_u32_e32 v0, s24, v15
	v_cmp_le_i32_e32 vcc, v10, v0
	s_waitcnt lgkmcnt(0)
	s_mul_i32 s1, s3, s4
	s_mul_hi_u32 s3, s2, s4
	s_mul_i32 s0, s2, s4
	s_add_i32 s1, s3, s1
	s_lshl_b64 s[0:1], s[0:1], 3
	s_add_u32 s8, s12, s0
	s_addc_u32 s9, s13, s1
	v_cmp_neq_f32_e64 s[0:1], s6, 0
	s_xor_b64 s[4:5], s[10:11], -1
	v_mad_i64_i32 v[2:3], s[2:3], v10, s14, 0
	s_or_b64 s[0:1], s[0:1], s[4:5]
	v_lshl_add_u64 v[4:5], v[2:3], 3, s[8:9]
	v_cmp_gt_i32_e64 s[2:3], s22, v0
	v_cndmask_b32_e64 v2, 0, 1, s[0:1]
	s_and_b64 s[10:11], vcc, s[2:3]
	v_ashrrev_i32_e32 v1, 31, v0
	v_cmp_ne_u32_e64 s[0:1], 1, v2
	s_and_saveexec_b64 s[4:5], s[10:11]
	s_cbranch_execz .LBB83_18
; %bb.15:
	v_pk_mul_f32 v[6:7], v[26:27], s[20:21] op_sel:[0,1] op_sel_hi:[0,0]
	v_pk_fma_f32 v[2:3], v[24:25], s[20:21], v[6:7] op_sel_hi:[0,1,1] neg_lo:[0,0,1] neg_hi:[0,0,1]
	v_pk_fma_f32 v[8:9], v[24:25], s[20:21], v[6:7] op_sel_hi:[0,1,1]
	s_and_b64 vcc, exec, s[0:1]
	v_lshl_add_u64 v[6:7], v[0:1], 3, v[4:5]
	s_cbranch_vccnz .LBB83_17
; %bb.16:
	global_load_dwordx2 v[24:25], v[6:7], off
	s_mov_b32 s10, s7
	v_mov_b32_e32 v3, v9
	s_waitcnt vmcnt(0)
	v_pk_mul_f32 v[8:9], v[24:25], s[10:11] op_sel:[1,0] op_sel_hi:[0,0]
	v_pk_fma_f32 v[26:27], v[24:25], s[6:7], v[8:9] neg_lo:[0,0,1] neg_hi:[0,0,1]
	v_pk_fma_f32 v[8:9], v[24:25], s[6:7], v[8:9] op_sel_hi:[1,0,1]
	s_nop 0
	v_mov_b32_e32 v27, v9
	v_pk_add_f32 v[2:3], v[2:3], v[26:27]
	s_nop 0
	v_mov_b32_e32 v9, v3
.LBB83_17:
	v_mov_b32_e32 v3, v9
	global_store_dwordx2 v[6:7], v[2:3], off
.LBB83_18:
	s_or_b64 exec, exec, s[4:5]
	v_add_u32_e32 v2, 16, v0
	v_cmp_le_i32_e32 vcc, v10, v2
	v_cmp_gt_i32_e64 s[4:5], s22, v2
	s_and_b64 s[12:13], vcc, s[4:5]
	v_ashrrev_i32_e32 v3, 31, v2
	s_and_saveexec_b64 s[10:11], s[12:13]
	s_cbranch_execz .LBB83_22
; %bb.19:
	v_pk_mul_f32 v[8:9], v[22:23], s[20:21] op_sel:[0,1] op_sel_hi:[0,0]
	v_pk_fma_f32 v[6:7], v[20:21], s[20:21], v[8:9] op_sel_hi:[0,1,1] neg_lo:[0,0,1] neg_hi:[0,0,1]
	v_pk_fma_f32 v[8:9], v[20:21], s[20:21], v[8:9] op_sel_hi:[0,1,1]
	s_and_b64 vcc, exec, s[0:1]
	v_lshl_add_u64 v[4:5], v[2:3], 3, v[4:5]
	s_cbranch_vccnz .LBB83_21
; %bb.20:
	global_load_dwordx2 v[20:21], v[4:5], off
	s_mov_b32 s12, s7
	v_mov_b32_e32 v7, v9
	s_waitcnt vmcnt(0)
	v_pk_mul_f32 v[8:9], v[20:21], s[12:13] op_sel:[1,0] op_sel_hi:[0,0]
	v_pk_fma_f32 v[22:23], v[20:21], s[6:7], v[8:9] neg_lo:[0,0,1] neg_hi:[0,0,1]
	v_pk_fma_f32 v[8:9], v[20:21], s[6:7], v[8:9] op_sel_hi:[1,0,1]
	s_nop 0
	v_mov_b32_e32 v23, v9
	v_pk_add_f32 v[6:7], v[6:7], v[22:23]
	s_nop 0
	v_mov_b32_e32 v9, v7
.LBB83_21:
	v_mov_b32_e32 v7, v9
	global_store_dwordx2 v[4:5], v[6:7], off
.LBB83_22:
	s_or_b64 exec, exec, s[10:11]
	v_add_u32_e32 v10, 16, v10
	v_mad_i64_i32 v[4:5], s[10:11], v10, s14, 0
	v_cmp_le_i32_e32 vcc, v10, v0
	v_lshl_add_u64 v[4:5], v[4:5], 3, s[8:9]
	s_and_b64 s[8:9], vcc, s[2:3]
	s_and_saveexec_b64 s[2:3], s[8:9]
	s_cbranch_execz .LBB83_26
; %bb.23:
	v_pk_mul_f32 v[8:9], v[18:19], s[20:21] op_sel:[0,1] op_sel_hi:[0,0]
	v_pk_fma_f32 v[6:7], v[16:17], s[20:21], v[8:9] op_sel_hi:[0,1,1] neg_lo:[0,0,1] neg_hi:[0,0,1]
	v_pk_fma_f32 v[8:9], v[16:17], s[20:21], v[8:9] op_sel_hi:[0,1,1]
	s_and_b64 vcc, exec, s[0:1]
	v_lshl_add_u64 v[0:1], v[0:1], 3, v[4:5]
	s_cbranch_vccnz .LBB83_25
; %bb.24:
	global_load_dwordx2 v[16:17], v[0:1], off
	s_mov_b32 s8, s7
	v_mov_b32_e32 v7, v9
	s_waitcnt vmcnt(0)
	v_pk_mul_f32 v[8:9], v[16:17], s[8:9] op_sel:[1,0] op_sel_hi:[0,0]
	v_pk_fma_f32 v[18:19], v[16:17], s[6:7], v[8:9] neg_lo:[0,0,1] neg_hi:[0,0,1]
	v_pk_fma_f32 v[8:9], v[16:17], s[6:7], v[8:9] op_sel_hi:[1,0,1]
	s_nop 0
	v_mov_b32_e32 v19, v9
	v_pk_add_f32 v[6:7], v[6:7], v[18:19]
	s_nop 0
	v_mov_b32_e32 v9, v7
.LBB83_25:
	v_mov_b32_e32 v7, v9
	global_store_dwordx2 v[0:1], v[6:7], off
.LBB83_26:
	s_or_b64 exec, exec, s[2:3]
	v_cmp_le_i32_e32 vcc, v10, v2
	s_and_b64 s[2:3], vcc, s[4:5]
	s_and_saveexec_b64 s[4:5], s[2:3]
	s_cbranch_execz .LBB83_30
; %bb.27:
	v_pk_mul_f32 v[6:7], v[14:15], s[20:21] op_sel:[0,1] op_sel_hi:[0,0]
	v_pk_fma_f32 v[0:1], v[12:13], s[20:21], v[6:7] op_sel_hi:[0,1,1] neg_lo:[0,0,1] neg_hi:[0,0,1]
	v_pk_fma_f32 v[6:7], v[12:13], s[20:21], v[6:7] op_sel_hi:[0,1,1]
	s_and_b64 vcc, exec, s[0:1]
	v_lshl_add_u64 v[2:3], v[2:3], 3, v[4:5]
	s_cbranch_vccnz .LBB83_29
; %bb.28:
	global_load_dwordx2 v[4:5], v[2:3], off
	s_mov_b32 s0, s7
	v_mov_b32_e32 v1, v7
	s_waitcnt vmcnt(0)
	v_pk_mul_f32 v[6:7], v[4:5], s[0:1] op_sel:[1,0] op_sel_hi:[0,0]
	v_pk_fma_f32 v[8:9], v[4:5], s[6:7], v[6:7] neg_lo:[0,0,1] neg_hi:[0,0,1]
	v_pk_fma_f32 v[4:5], v[4:5], s[6:7], v[6:7] op_sel_hi:[1,0,1]
	s_nop 0
	v_mov_b32_e32 v9, v5
	v_pk_add_f32 v[0:1], v[0:1], v[8:9]
	s_nop 0
	v_mov_b32_e32 v7, v1
.LBB83_29:
	v_mov_b32_e32 v1, v7
	global_store_dwordx2 v[2:3], v[0:1], off
.LBB83_30:
	s_endpgm
	.section	.rodata,"a",@progbits
	.p2align	6, 0x0
	.amdhsa_kernel _ZL29rocblas_internal_gemmt_kernelIiLi16ELi32ELi8ELc78ELc67ELc76ELb0ELb1E19rocblas_complex_numIfEPKS1_S3_PS1_EviT_T9_T10_S5_lS7_S5_lS6_T11_S5_li
		.amdhsa_group_segment_fixed_size 4096
		.amdhsa_private_segment_fixed_size 0
		.amdhsa_kernarg_size 100
		.amdhsa_user_sgpr_count 2
		.amdhsa_user_sgpr_dispatch_ptr 0
		.amdhsa_user_sgpr_queue_ptr 0
		.amdhsa_user_sgpr_kernarg_segment_ptr 1
		.amdhsa_user_sgpr_dispatch_id 0
		.amdhsa_user_sgpr_kernarg_preload_length 0
		.amdhsa_user_sgpr_kernarg_preload_offset 0
		.amdhsa_user_sgpr_private_segment_size 0
		.amdhsa_uses_dynamic_stack 0
		.amdhsa_enable_private_segment 0
		.amdhsa_system_sgpr_workgroup_id_x 1
		.amdhsa_system_sgpr_workgroup_id_y 1
		.amdhsa_system_sgpr_workgroup_id_z 1
		.amdhsa_system_sgpr_workgroup_info 0
		.amdhsa_system_vgpr_workitem_id 1
		.amdhsa_next_free_vgpr 54
		.amdhsa_next_free_sgpr 32
		.amdhsa_accum_offset 56
		.amdhsa_reserve_vcc 1
		.amdhsa_float_round_mode_32 0
		.amdhsa_float_round_mode_16_64 0
		.amdhsa_float_denorm_mode_32 3
		.amdhsa_float_denorm_mode_16_64 3
		.amdhsa_dx10_clamp 1
		.amdhsa_ieee_mode 1
		.amdhsa_fp16_overflow 0
		.amdhsa_tg_split 0
		.amdhsa_exception_fp_ieee_invalid_op 0
		.amdhsa_exception_fp_denorm_src 0
		.amdhsa_exception_fp_ieee_div_zero 0
		.amdhsa_exception_fp_ieee_overflow 0
		.amdhsa_exception_fp_ieee_underflow 0
		.amdhsa_exception_fp_ieee_inexact 0
		.amdhsa_exception_int_div_zero 0
	.end_amdhsa_kernel
	.section	.text._ZL29rocblas_internal_gemmt_kernelIiLi16ELi32ELi8ELc78ELc67ELc76ELb0ELb1E19rocblas_complex_numIfEPKS1_S3_PS1_EviT_T9_T10_S5_lS7_S5_lS6_T11_S5_li,"axG",@progbits,_ZL29rocblas_internal_gemmt_kernelIiLi16ELi32ELi8ELc78ELc67ELc76ELb0ELb1E19rocblas_complex_numIfEPKS1_S3_PS1_EviT_T9_T10_S5_lS7_S5_lS6_T11_S5_li,comdat
.Lfunc_end83:
	.size	_ZL29rocblas_internal_gemmt_kernelIiLi16ELi32ELi8ELc78ELc67ELc76ELb0ELb1E19rocblas_complex_numIfEPKS1_S3_PS1_EviT_T9_T10_S5_lS7_S5_lS6_T11_S5_li, .Lfunc_end83-_ZL29rocblas_internal_gemmt_kernelIiLi16ELi32ELi8ELc78ELc67ELc76ELb0ELb1E19rocblas_complex_numIfEPKS1_S3_PS1_EviT_T9_T10_S5_lS7_S5_lS6_T11_S5_li
                                        ; -- End function
	.set _ZL29rocblas_internal_gemmt_kernelIiLi16ELi32ELi8ELc78ELc67ELc76ELb0ELb1E19rocblas_complex_numIfEPKS1_S3_PS1_EviT_T9_T10_S5_lS7_S5_lS6_T11_S5_li.num_vgpr, 54
	.set _ZL29rocblas_internal_gemmt_kernelIiLi16ELi32ELi8ELc78ELc67ELc76ELb0ELb1E19rocblas_complex_numIfEPKS1_S3_PS1_EviT_T9_T10_S5_lS7_S5_lS6_T11_S5_li.num_agpr, 0
	.set _ZL29rocblas_internal_gemmt_kernelIiLi16ELi32ELi8ELc78ELc67ELc76ELb0ELb1E19rocblas_complex_numIfEPKS1_S3_PS1_EviT_T9_T10_S5_lS7_S5_lS6_T11_S5_li.numbered_sgpr, 32
	.set _ZL29rocblas_internal_gemmt_kernelIiLi16ELi32ELi8ELc78ELc67ELc76ELb0ELb1E19rocblas_complex_numIfEPKS1_S3_PS1_EviT_T9_T10_S5_lS7_S5_lS6_T11_S5_li.num_named_barrier, 0
	.set _ZL29rocblas_internal_gemmt_kernelIiLi16ELi32ELi8ELc78ELc67ELc76ELb0ELb1E19rocblas_complex_numIfEPKS1_S3_PS1_EviT_T9_T10_S5_lS7_S5_lS6_T11_S5_li.private_seg_size, 0
	.set _ZL29rocblas_internal_gemmt_kernelIiLi16ELi32ELi8ELc78ELc67ELc76ELb0ELb1E19rocblas_complex_numIfEPKS1_S3_PS1_EviT_T9_T10_S5_lS7_S5_lS6_T11_S5_li.uses_vcc, 1
	.set _ZL29rocblas_internal_gemmt_kernelIiLi16ELi32ELi8ELc78ELc67ELc76ELb0ELb1E19rocblas_complex_numIfEPKS1_S3_PS1_EviT_T9_T10_S5_lS7_S5_lS6_T11_S5_li.uses_flat_scratch, 0
	.set _ZL29rocblas_internal_gemmt_kernelIiLi16ELi32ELi8ELc78ELc67ELc76ELb0ELb1E19rocblas_complex_numIfEPKS1_S3_PS1_EviT_T9_T10_S5_lS7_S5_lS6_T11_S5_li.has_dyn_sized_stack, 0
	.set _ZL29rocblas_internal_gemmt_kernelIiLi16ELi32ELi8ELc78ELc67ELc76ELb0ELb1E19rocblas_complex_numIfEPKS1_S3_PS1_EviT_T9_T10_S5_lS7_S5_lS6_T11_S5_li.has_recursion, 0
	.set _ZL29rocblas_internal_gemmt_kernelIiLi16ELi32ELi8ELc78ELc67ELc76ELb0ELb1E19rocblas_complex_numIfEPKS1_S3_PS1_EviT_T9_T10_S5_lS7_S5_lS6_T11_S5_li.has_indirect_call, 0
	.section	.AMDGPU.csdata,"",@progbits
; Kernel info:
; codeLenInByte = 2520
; TotalNumSgprs: 38
; NumVgprs: 54
; NumAgprs: 0
; TotalNumVgprs: 54
; ScratchSize: 0
; MemoryBound: 0
; FloatMode: 240
; IeeeMode: 1
; LDSByteSize: 4096 bytes/workgroup (compile time only)
; SGPRBlocks: 4
; VGPRBlocks: 6
; NumSGPRsForWavesPerEU: 38
; NumVGPRsForWavesPerEU: 54
; AccumOffset: 56
; Occupancy: 8
; WaveLimiterHint : 0
; COMPUTE_PGM_RSRC2:SCRATCH_EN: 0
; COMPUTE_PGM_RSRC2:USER_SGPR: 2
; COMPUTE_PGM_RSRC2:TRAP_HANDLER: 0
; COMPUTE_PGM_RSRC2:TGID_X_EN: 1
; COMPUTE_PGM_RSRC2:TGID_Y_EN: 1
; COMPUTE_PGM_RSRC2:TGID_Z_EN: 1
; COMPUTE_PGM_RSRC2:TIDIG_COMP_CNT: 1
; COMPUTE_PGM_RSRC3_GFX90A:ACCUM_OFFSET: 13
; COMPUTE_PGM_RSRC3_GFX90A:TG_SPLIT: 0
	.section	.text._ZL29rocblas_internal_gemmt_kernelIiLi16ELi32ELi8ELc84ELc78ELc76ELb0ELb0E19rocblas_complex_numIfEPKS1_S3_PS1_EviT_T9_T10_S5_lS7_S5_lS6_T11_S5_li,"axG",@progbits,_ZL29rocblas_internal_gemmt_kernelIiLi16ELi32ELi8ELc84ELc78ELc76ELb0ELb0E19rocblas_complex_numIfEPKS1_S3_PS1_EviT_T9_T10_S5_lS7_S5_lS6_T11_S5_li,comdat
	.globl	_ZL29rocblas_internal_gemmt_kernelIiLi16ELi32ELi8ELc84ELc78ELc76ELb0ELb0E19rocblas_complex_numIfEPKS1_S3_PS1_EviT_T9_T10_S5_lS7_S5_lS6_T11_S5_li ; -- Begin function _ZL29rocblas_internal_gemmt_kernelIiLi16ELi32ELi8ELc84ELc78ELc76ELb0ELb0E19rocblas_complex_numIfEPKS1_S3_PS1_EviT_T9_T10_S5_lS7_S5_lS6_T11_S5_li
	.p2align	8
	.type	_ZL29rocblas_internal_gemmt_kernelIiLi16ELi32ELi8ELc84ELc78ELc76ELb0ELb0E19rocblas_complex_numIfEPKS1_S3_PS1_EviT_T9_T10_S5_lS7_S5_lS6_T11_S5_li,@function
_ZL29rocblas_internal_gemmt_kernelIiLi16ELi32ELi8ELc84ELc78ELc76ELb0ELb0E19rocblas_complex_numIfEPKS1_S3_PS1_EviT_T9_T10_S5_lS7_S5_lS6_T11_S5_li: ; @_ZL29rocblas_internal_gemmt_kernelIiLi16ELi32ELi8ELc84ELc78ELc76ELb0ELb0E19rocblas_complex_numIfEPKS1_S3_PS1_EviT_T9_T10_S5_lS7_S5_lS6_T11_S5_li
; %bb.0:
	s_load_dwordx4 s[8:11], s[0:1], 0x38
	s_load_dwordx4 s[12:15], s[0:1], 0x8
	s_waitcnt lgkmcnt(0)
	s_load_dwordx2 s[20:21], s[10:11], 0x0
	s_load_dwordx2 s[24:25], s[0:1], 0x0
	;; [unrolled: 1-line block ×3, first 2 shown]
	s_waitcnt lgkmcnt(0)
	s_and_b32 s5, s21, 0x7fffffff
	s_cmp_eq_u32 s5, 0
	v_cmp_eq_f32_e64 s[6:7], s20, 1.0
	s_cselect_b64 s[10:11], -1, 0
	s_and_b64 s[6:7], s[6:7], s[10:11]
	s_and_b64 vcc, exec, s[6:7]
	s_cbranch_vccnz .LBB84_2
; %bb.1:
	s_mov_b64 s[6:7], -1
	s_cbranch_execz .LBB84_3
	s_branch .LBB84_4
.LBB84_2:
	s_mov_b64 s[6:7], 0
.LBB84_3:
	s_cmp_lg_u32 s25, 0
	v_cmp_neq_f32_e64 s[12:13], s22, 0
	v_cmp_neq_f32_e64 s[16:17], s23, 0
	s_cselect_b64 s[6:7], -1, 0
	s_or_b64 s[12:13], s[12:13], s[16:17]
	s_and_b64 s[6:7], s[6:7], s[12:13]
.LBB84_4:
	s_andn2_b64 vcc, exec, s[6:7]
	s_cbranch_vccnz .LBB84_28
; %bb.5:
	s_lshl_b32 s26, s2, 5
	s_lshl_b32 s5, s3, 5
	v_cmp_eq_f32_e64 s[2:3], s22, 0
	v_cmp_eq_f32_e64 s[6:7], s23, 0
	s_load_dwordx2 s[12:13], s[0:1], 0x48
	s_and_b64 s[2:3], s[2:3], s[6:7]
	s_cmp_lt_i32 s25, 1
	s_cselect_b64 s[6:7], -1, 0
	s_or_b64 s[2:3], s[2:3], s[6:7]
	v_and_b32_e32 v15, 0x3ff, v0
	v_bfe_u32 v13, v0, 10, 10
	s_mov_b32 s27, 0
	v_mov_b32_e32 v24, 0
	s_and_b64 vcc, exec, s[2:3]
	v_mov_b32_e32 v26, 0
	v_mov_b32_e32 v20, 0
	;; [unrolled: 1-line block ×7, first 2 shown]
	s_cbranch_vccnz .LBB84_12
; %bb.6:
	v_lshl_add_u32 v0, v13, 4, v15
	v_and_b32_e32 v2, 31, v0
	v_lshrrev_b32_e32 v19, 5, v0
	v_lshrrev_b32_e32 v1, 3, v0
	v_or_b32_e32 v0, s26, v2
	v_and_b32_e32 v17, 7, v15
	v_cmp_gt_i32_e32 vcc, s24, v0
	v_lshlrev_b32_e32 v0, 3, v2
	v_lshl_or_b32 v21, v19, 8, v0
	v_lshlrev_b32_e32 v0, 3, v17
	s_load_dword s6, s[0:1], 0x18
	s_load_dwordx4 s[16:19], s[0:1], 0x20
	s_load_dword s28, s[0:1], 0x30
	v_add_u32_e32 v6, s5, v1
	v_lshl_or_b32 v1, v1, 6, v0
	v_add_u32_e32 v23, 0x800, v1
	v_mov_b32_e32 v1, 0x800
	v_lshl_add_u32 v27, v13, 6, v1
	v_add_u32_e32 v1, s26, v2
	s_waitcnt lgkmcnt(0)
	v_mad_i64_i32 v[2:3], s[6:7], s6, v1, 0
	s_mul_i32 s6, s17, s4
	s_mul_hi_u32 s7, s16, s4
	s_add_i32 s7, s7, s6
	s_mul_i32 s6, s16, s4
	s_lshl_b64 s[6:7], s[6:7], 3
	v_lshl_add_u64 v[2:3], v[2:3], 3, s[6:7]
	v_lshlrev_b32_e32 v4, 3, v19
	v_mov_b32_e32 v5, 0
	v_lshl_add_u64 v[2:3], v[2:3], 0, v[4:5]
	v_lshl_add_u64 v[8:9], s[14:15], 0, v[2:3]
	v_mad_i64_i32 v[2:3], s[6:7], s28, v6, 0
	s_mul_i32 s6, s9, s4
	s_mul_hi_u32 s7, s8, s4
	s_add_i32 s7, s7, s6
	s_mul_i32 s6, s8, s4
	s_lshl_b64 s[6:7], s[6:7], 3
	v_lshl_add_u64 v[2:3], v[2:3], 3, s[6:7]
	v_mov_b32_e32 v1, v5
	v_lshl_add_u64 v[0:1], v[2:3], 0, v[0:1]
	v_cmp_gt_i32_e64 s[2:3], s24, v6
	v_lshlrev_b32_e32 v25, 3, v15
	v_lshl_add_u64 v[10:11], s[18:19], 0, v[0:1]
	v_mov_b32_e32 v14, v5
	v_mov_b32_e32 v12, v5
	v_mov_b32_e32 v18, v5
	v_mov_b32_e32 v16, v5
	v_mov_b32_e32 v22, v5
	v_mov_b32_e32 v20, v5
	v_mov_b32_e32 v26, v5
	v_mov_b32_e32 v24, v5
	s_branch .LBB84_8
.LBB84_7:                               ;   in Loop: Header=BB84_8 Depth=1
	s_or_b64 exec, exec, s[6:7]
	s_waitcnt vmcnt(0)
	ds_write_b64 v23, v[0:1]
	s_waitcnt lgkmcnt(0)
	s_barrier
	ds_read2_b64 v[28:31], v25 offset1:16
	ds_read_b128 v[32:35], v27
	ds_read_b128 v[36:39], v27 offset:16
	ds_read_b128 v[4:7], v27 offset:32
	;; [unrolled: 1-line block ×3, first 2 shown]
	ds_read2_b64 v[48:51], v25 offset0:32 offset1:48
	s_waitcnt lgkmcnt(4)
	v_mul_f32_e32 v40, v33, v29
	v_fma_f32 v40, v32, v28, -v40
	v_mul_f32_e32 v41, v32, v29
	v_fmac_f32_e32 v41, v33, v28
	v_add_f32_e32 v24, v24, v40
	v_mul_f32_e32 v40, v33, v31
	v_add_f32_e32 v26, v26, v41
	v_fma_f32 v44, v32, v30, -v40
	ds_read_b128 v[40:43], v27 offset:1024
	v_mul_f32_e32 v32, v32, v31
	v_fmac_f32_e32 v32, v33, v30
	v_add_f32_e32 v20, v20, v44
	v_add_f32_e32 v22, v22, v32
	ds_read_b128 v[44:47], v27 offset:1040
	s_waitcnt lgkmcnt(1)
	v_mul_f32_e32 v32, v41, v29
	v_mul_f32_e32 v29, v40, v29
	v_fma_f32 v32, v40, v28, -v32
	v_fmac_f32_e32 v29, v41, v28
	v_mul_f32_e32 v28, v41, v31
	v_add_f32_e32 v18, v18, v29
	v_fma_f32 v28, v40, v30, -v28
	v_mul_f32_e32 v29, v40, v31
	v_fmac_f32_e32 v29, v41, v30
	v_add_f32_e32 v12, v12, v28
	v_mul_f32_e32 v28, v35, v49
	v_add_f32_e32 v14, v14, v29
	v_fma_f32 v28, v34, v48, -v28
	v_mul_f32_e32 v29, v34, v49
	v_fmac_f32_e32 v29, v35, v48
	v_add_f32_e32 v24, v24, v28
	;; [unrolled: 6-line block ×3, first 2 shown]
	v_mul_f32_e32 v28, v43, v49
	v_add_f32_e32 v16, v16, v32
	v_add_f32_e32 v22, v22, v29
	v_fma_f32 v28, v42, v48, -v28
	v_mul_f32_e32 v29, v42, v49
	v_fmac_f32_e32 v29, v43, v48
	v_add_f32_e32 v16, v16, v28
	v_mul_f32_e32 v28, v43, v51
	v_add_f32_e32 v18, v18, v29
	v_fma_f32 v32, v42, v50, -v28
	ds_read2_b64 v[28:31], v25 offset0:64 offset1:80
	v_mul_f32_e32 v33, v42, v51
	v_add_f32_e32 v12, v12, v32
	v_fmac_f32_e32 v33, v43, v50
	v_add_f32_e32 v14, v14, v33
	s_waitcnt lgkmcnt(0)
	v_mul_f32_e32 v32, v37, v29
	v_fma_f32 v32, v36, v28, -v32
	v_mul_f32_e32 v33, v36, v29
	v_add_f32_e32 v24, v24, v32
	v_mul_f32_e32 v32, v37, v31
	v_fmac_f32_e32 v33, v37, v28
	v_fma_f32 v32, v36, v30, -v32
	v_add_f32_e32 v26, v26, v33
	v_mul_f32_e32 v33, v36, v31
	v_add_f32_e32 v20, v20, v32
	v_mul_f32_e32 v32, v45, v29
	v_fmac_f32_e32 v33, v37, v30
	v_fma_f32 v32, v44, v28, -v32
	v_add_f32_e32 v22, v22, v33
	v_add_f32_e32 v16, v16, v32
	ds_read2_b64 v[32:35], v25 offset0:96 offset1:112
	v_mul_f32_e32 v29, v44, v29
	v_fmac_f32_e32 v29, v45, v28
	v_mul_f32_e32 v28, v45, v31
	v_add_f32_e32 v18, v18, v29
	v_fma_f32 v28, v44, v30, -v28
	v_mul_f32_e32 v29, v44, v31
	v_fmac_f32_e32 v29, v45, v30
	v_add_f32_e32 v12, v12, v28
	s_waitcnt lgkmcnt(0)
	v_mul_f32_e32 v28, v39, v33
	v_add_f32_e32 v14, v14, v29
	v_fma_f32 v28, v38, v32, -v28
	v_mul_f32_e32 v29, v38, v33
	v_fmac_f32_e32 v29, v39, v32
	v_add_f32_e32 v24, v24, v28
	v_mul_f32_e32 v28, v39, v35
	v_add_f32_e32 v26, v26, v29
	v_fma_f32 v28, v38, v34, -v28
	v_mul_f32_e32 v29, v38, v35
	v_fmac_f32_e32 v29, v39, v34
	v_add_f32_e32 v20, v20, v28
	;; [unrolled: 6-line block ×3, first 2 shown]
	v_mul_f32_e32 v28, v47, v35
	v_add_f32_e32 v18, v18, v29
	v_fma_f32 v32, v46, v34, -v28
	ds_read2_b64 v[28:31], v25 offset0:128 offset1:144
	v_mul_f32_e32 v33, v46, v35
	v_fmac_f32_e32 v33, v47, v34
	v_add_f32_e32 v12, v12, v32
	v_add_f32_e32 v14, v14, v33
	s_waitcnt lgkmcnt(0)
	v_mul_f32_e32 v32, v5, v29
	v_fma_f32 v32, v4, v28, -v32
	v_mul_f32_e32 v33, v4, v29
	v_fmac_f32_e32 v33, v5, v28
	v_add_f32_e32 v24, v24, v32
	v_mul_f32_e32 v32, v5, v31
	v_add_f32_e32 v26, v26, v33
	v_fma_f32 v36, v4, v30, -v32
	ds_read_b128 v[32:35], v27 offset:1056
	v_mul_f32_e32 v4, v4, v31
	ds_read2_b64 v[40:43], v25 offset0:160 offset1:176
	v_fmac_f32_e32 v4, v5, v30
	v_add_f32_e32 v5, v20, v36
	ds_read_b128 v[36:39], v27 offset:1072
	s_waitcnt lgkmcnt(2)
	v_mul_f32_e32 v20, v33, v29
	v_fma_f32 v20, v32, v28, -v20
	v_add_f32_e32 v16, v16, v20
	v_mul_f32_e32 v20, v33, v31
	v_add_f32_e32 v4, v22, v4
	v_mul_f32_e32 v22, v32, v29
	v_fma_f32 v20, v32, v30, -v20
	v_fmac_f32_e32 v22, v33, v28
	v_add_f32_e32 v12, v12, v20
	s_waitcnt lgkmcnt(1)
	v_mul_f32_e32 v20, v7, v41
	v_add_f32_e32 v18, v18, v22
	v_mul_f32_e32 v22, v32, v31
	v_fma_f32 v20, v6, v40, -v20
	v_fmac_f32_e32 v22, v33, v30
	v_add_f32_e32 v20, v24, v20
	v_mul_f32_e32 v24, v7, v43
	v_add_f32_e32 v14, v14, v22
	v_mul_f32_e32 v22, v6, v41
	v_fma_f32 v24, v6, v42, -v24
	v_mul_f32_e32 v6, v6, v43
	v_fmac_f32_e32 v22, v7, v40
	v_fmac_f32_e32 v6, v7, v42
	v_add_f32_e32 v22, v26, v22
	v_add_f32_e32 v26, v4, v6
	v_mul_f32_e32 v4, v35, v41
	v_add_f32_e32 v24, v5, v24
	v_fma_f32 v4, v34, v40, -v4
	v_mul_f32_e32 v5, v34, v41
	v_fmac_f32_e32 v5, v35, v40
	v_add_f32_e32 v16, v16, v4
	v_mul_f32_e32 v4, v35, v43
	v_add_f32_e32 v18, v18, v5
	v_fma_f32 v28, v34, v42, -v4
	ds_read2_b64 v[4:7], v25 offset0:192 offset1:208
	v_mul_f32_e32 v29, v34, v43
	v_add_f32_e32 v12, v12, v28
	v_fmac_f32_e32 v29, v35, v42
	v_add_f32_e32 v14, v14, v29
	s_waitcnt lgkmcnt(0)
	v_mul_f32_e32 v28, v1, v5
	v_fma_f32 v28, v0, v4, -v28
	v_mul_f32_e32 v29, v0, v5
	v_add_f32_e32 v20, v20, v28
	v_mul_f32_e32 v28, v1, v7
	v_fmac_f32_e32 v29, v1, v4
	v_fma_f32 v28, v0, v6, -v28
	v_mul_f32_e32 v0, v0, v7
	v_add_f32_e32 v22, v22, v29
	v_fmac_f32_e32 v0, v1, v6
	v_add_f32_e32 v1, v24, v28
	ds_read2_b64 v[28:31], v25 offset0:224 offset1:240
	v_mul_f32_e32 v24, v37, v5
	v_fma_f32 v24, v36, v4, -v24
	v_mul_f32_e32 v5, v36, v5
	v_fmac_f32_e32 v5, v37, v4
	v_add_f32_e32 v4, v16, v24
	v_mul_f32_e32 v16, v37, v7
	v_fma_f32 v16, v36, v6, -v16
	v_mul_f32_e32 v7, v36, v7
	v_fmac_f32_e32 v7, v37, v6
	v_add_f32_e32 v6, v12, v16
	s_waitcnt lgkmcnt(0)
	v_mul_f32_e32 v12, v3, v29
	v_fma_f32 v12, v2, v28, -v12
	v_add_f32_e32 v24, v20, v12
	v_mul_f32_e32 v12, v3, v31
	v_add_f32_e32 v7, v14, v7
	v_mul_f32_e32 v14, v2, v29
	v_fma_f32 v12, v2, v30, -v12
	v_mul_f32_e32 v2, v2, v31
	v_add_f32_e32 v0, v26, v0
	v_fmac_f32_e32 v14, v3, v28
	v_fmac_f32_e32 v2, v3, v30
	v_add_f32_e32 v26, v22, v14
	v_add_f32_e32 v20, v1, v12
	;; [unrolled: 1-line block ×3, first 2 shown]
	v_mul_f32_e32 v0, v39, v29
	v_mul_f32_e32 v1, v38, v29
	v_add_f32_e32 v5, v18, v5
	v_fma_f32 v0, v38, v28, -v0
	v_fmac_f32_e32 v1, v39, v28
	v_add_f32_e32 v16, v4, v0
	v_add_f32_e32 v18, v5, v1
	v_mul_f32_e32 v0, v39, v31
	v_mul_f32_e32 v1, v38, v31
	v_fma_f32 v0, v38, v30, -v0
	v_fmac_f32_e32 v1, v39, v30
	s_add_i32 s27, s27, 8
	v_add_f32_e32 v12, v6, v0
	v_add_f32_e32 v14, v7, v1
	v_lshl_add_u64 v[8:9], v[8:9], 0, 64
	s_cmp_lt_i32 s27, s25
	v_lshl_add_u64 v[10:11], v[10:11], 0, 64
	s_barrier
	s_cbranch_scc0 .LBB84_12
.LBB84_8:                               ; =>This Inner Loop Header: Depth=1
	v_add_u32_e32 v0, s27, v19
	v_cmp_gt_i32_e64 s[6:7], s25, v0
	s_and_b64 s[8:9], vcc, s[6:7]
	v_mov_b32_e32 v0, 0
	v_mov_b32_e32 v1, 0
	s_and_saveexec_b64 s[6:7], s[8:9]
	s_cbranch_execz .LBB84_10
; %bb.9:                                ;   in Loop: Header=BB84_8 Depth=1
	global_load_dwordx2 v[0:1], v[8:9], off
.LBB84_10:                              ;   in Loop: Header=BB84_8 Depth=1
	s_or_b64 exec, exec, s[6:7]
	s_waitcnt vmcnt(0)
	ds_write_b64 v21, v[0:1]
	v_add_u32_e32 v0, s27, v17
	v_cmp_gt_i32_e64 s[6:7], s25, v0
	s_and_b64 s[8:9], s[6:7], s[2:3]
	v_mov_b32_e32 v0, 0
	v_mov_b32_e32 v1, 0
	s_and_saveexec_b64 s[6:7], s[8:9]
	s_cbranch_execz .LBB84_7
; %bb.11:                               ;   in Loop: Header=BB84_8 Depth=1
	global_load_dwordx2 v[0:1], v[10:11], off
	s_branch .LBB84_7
.LBB84_12:
	s_load_dwordx2 s[2:3], s[0:1], 0x58
	s_load_dword s14, s[0:1], 0x50
	v_add_u32_e32 v10, s5, v13
	v_add_u32_e32 v0, s26, v15
	v_cmp_le_i32_e32 vcc, v10, v0
	s_waitcnt lgkmcnt(0)
	s_mul_i32 s1, s3, s4
	s_mul_hi_u32 s3, s2, s4
	s_mul_i32 s0, s2, s4
	s_add_i32 s1, s3, s1
	s_lshl_b64 s[0:1], s[0:1], 3
	s_add_u32 s6, s12, s0
	s_addc_u32 s7, s13, s1
	v_cmp_neq_f32_e64 s[0:1], s20, 0
	s_xor_b64 s[4:5], s[10:11], -1
	v_mad_i64_i32 v[2:3], s[2:3], v10, s14, 0
	s_or_b64 s[0:1], s[0:1], s[4:5]
	v_lshl_add_u64 v[4:5], v[2:3], 3, s[6:7]
	v_cmp_gt_i32_e64 s[2:3], s24, v0
	v_cndmask_b32_e64 v2, 0, 1, s[0:1]
	s_and_b64 s[8:9], vcc, s[2:3]
	v_ashrrev_i32_e32 v1, 31, v0
	v_cmp_ne_u32_e64 s[0:1], 1, v2
	s_and_saveexec_b64 s[4:5], s[8:9]
	s_cbranch_execz .LBB84_16
; %bb.13:
	v_pk_mul_f32 v[6:7], v[26:27], s[22:23] op_sel:[0,1] op_sel_hi:[0,0]
	v_pk_fma_f32 v[2:3], v[24:25], s[22:23], v[6:7] op_sel_hi:[0,1,1] neg_lo:[0,0,1] neg_hi:[0,0,1]
	v_pk_fma_f32 v[8:9], v[24:25], s[22:23], v[6:7] op_sel_hi:[0,1,1]
	s_and_b64 vcc, exec, s[0:1]
	v_lshl_add_u64 v[6:7], v[0:1], 3, v[4:5]
	s_cbranch_vccnz .LBB84_15
; %bb.14:
	global_load_dwordx2 v[24:25], v[6:7], off
	s_mov_b32 s8, s21
	v_mov_b32_e32 v3, v9
	s_waitcnt vmcnt(0)
	v_pk_mul_f32 v[8:9], v[24:25], s[8:9] op_sel:[1,0] op_sel_hi:[0,0]
	v_pk_fma_f32 v[26:27], v[24:25], s[20:21], v[8:9] neg_lo:[0,0,1] neg_hi:[0,0,1]
	v_pk_fma_f32 v[8:9], v[24:25], s[20:21], v[8:9] op_sel_hi:[1,0,1]
	s_nop 0
	v_mov_b32_e32 v27, v9
	v_pk_add_f32 v[2:3], v[2:3], v[26:27]
	s_nop 0
	v_mov_b32_e32 v9, v3
.LBB84_15:
	v_mov_b32_e32 v3, v9
	global_store_dwordx2 v[6:7], v[2:3], off
.LBB84_16:
	s_or_b64 exec, exec, s[4:5]
	v_add_u32_e32 v2, 16, v0
	v_cmp_le_i32_e32 vcc, v10, v2
	v_cmp_gt_i32_e64 s[4:5], s24, v2
	s_and_b64 s[10:11], vcc, s[4:5]
	v_ashrrev_i32_e32 v3, 31, v2
	s_and_saveexec_b64 s[8:9], s[10:11]
	s_cbranch_execz .LBB84_20
; %bb.17:
	v_pk_mul_f32 v[8:9], v[22:23], s[22:23] op_sel:[0,1] op_sel_hi:[0,0]
	v_pk_fma_f32 v[6:7], v[20:21], s[22:23], v[8:9] op_sel_hi:[0,1,1] neg_lo:[0,0,1] neg_hi:[0,0,1]
	v_pk_fma_f32 v[8:9], v[20:21], s[22:23], v[8:9] op_sel_hi:[0,1,1]
	s_and_b64 vcc, exec, s[0:1]
	v_lshl_add_u64 v[4:5], v[2:3], 3, v[4:5]
	s_cbranch_vccnz .LBB84_19
; %bb.18:
	global_load_dwordx2 v[20:21], v[4:5], off
	s_mov_b32 s10, s21
	v_mov_b32_e32 v7, v9
	s_waitcnt vmcnt(0)
	v_pk_mul_f32 v[8:9], v[20:21], s[10:11] op_sel:[1,0] op_sel_hi:[0,0]
	v_pk_fma_f32 v[22:23], v[20:21], s[20:21], v[8:9] neg_lo:[0,0,1] neg_hi:[0,0,1]
	v_pk_fma_f32 v[8:9], v[20:21], s[20:21], v[8:9] op_sel_hi:[1,0,1]
	s_nop 0
	v_mov_b32_e32 v23, v9
	v_pk_add_f32 v[6:7], v[6:7], v[22:23]
	s_nop 0
	v_mov_b32_e32 v9, v7
.LBB84_19:
	v_mov_b32_e32 v7, v9
	global_store_dwordx2 v[4:5], v[6:7], off
.LBB84_20:
	s_or_b64 exec, exec, s[8:9]
	v_add_u32_e32 v10, 16, v10
	v_mad_i64_i32 v[4:5], s[8:9], v10, s14, 0
	v_cmp_le_i32_e32 vcc, v10, v0
	v_lshl_add_u64 v[4:5], v[4:5], 3, s[6:7]
	s_and_b64 s[6:7], vcc, s[2:3]
	s_and_saveexec_b64 s[2:3], s[6:7]
	s_cbranch_execz .LBB84_24
; %bb.21:
	v_pk_mul_f32 v[8:9], v[18:19], s[22:23] op_sel:[0,1] op_sel_hi:[0,0]
	v_pk_fma_f32 v[6:7], v[16:17], s[22:23], v[8:9] op_sel_hi:[0,1,1] neg_lo:[0,0,1] neg_hi:[0,0,1]
	v_pk_fma_f32 v[8:9], v[16:17], s[22:23], v[8:9] op_sel_hi:[0,1,1]
	s_and_b64 vcc, exec, s[0:1]
	v_lshl_add_u64 v[0:1], v[0:1], 3, v[4:5]
	s_cbranch_vccnz .LBB84_23
; %bb.22:
	global_load_dwordx2 v[16:17], v[0:1], off
	s_mov_b32 s6, s21
	v_mov_b32_e32 v7, v9
	s_waitcnt vmcnt(0)
	v_pk_mul_f32 v[8:9], v[16:17], s[6:7] op_sel:[1,0] op_sel_hi:[0,0]
	v_pk_fma_f32 v[18:19], v[16:17], s[20:21], v[8:9] neg_lo:[0,0,1] neg_hi:[0,0,1]
	v_pk_fma_f32 v[8:9], v[16:17], s[20:21], v[8:9] op_sel_hi:[1,0,1]
	s_nop 0
	v_mov_b32_e32 v19, v9
	v_pk_add_f32 v[6:7], v[6:7], v[18:19]
	s_nop 0
	v_mov_b32_e32 v9, v7
.LBB84_23:
	v_mov_b32_e32 v7, v9
	global_store_dwordx2 v[0:1], v[6:7], off
.LBB84_24:
	s_or_b64 exec, exec, s[2:3]
	v_cmp_le_i32_e32 vcc, v10, v2
	s_and_b64 s[2:3], vcc, s[4:5]
	s_and_saveexec_b64 s[4:5], s[2:3]
	s_cbranch_execz .LBB84_28
; %bb.25:
	v_pk_mul_f32 v[6:7], v[14:15], s[22:23] op_sel:[0,1] op_sel_hi:[0,0]
	v_pk_fma_f32 v[0:1], v[12:13], s[22:23], v[6:7] op_sel_hi:[0,1,1] neg_lo:[0,0,1] neg_hi:[0,0,1]
	v_pk_fma_f32 v[6:7], v[12:13], s[22:23], v[6:7] op_sel_hi:[0,1,1]
	s_and_b64 vcc, exec, s[0:1]
	v_lshl_add_u64 v[2:3], v[2:3], 3, v[4:5]
	s_cbranch_vccnz .LBB84_27
; %bb.26:
	global_load_dwordx2 v[4:5], v[2:3], off
	s_mov_b32 s0, s21
	v_mov_b32_e32 v1, v7
	s_waitcnt vmcnt(0)
	v_pk_mul_f32 v[6:7], v[4:5], s[0:1] op_sel:[1,0] op_sel_hi:[0,0]
	v_pk_fma_f32 v[8:9], v[4:5], s[20:21], v[6:7] neg_lo:[0,0,1] neg_hi:[0,0,1]
	v_pk_fma_f32 v[4:5], v[4:5], s[20:21], v[6:7] op_sel_hi:[1,0,1]
	s_nop 0
	v_mov_b32_e32 v9, v5
	v_pk_add_f32 v[0:1], v[0:1], v[8:9]
	s_nop 0
	v_mov_b32_e32 v7, v1
.LBB84_27:
	v_mov_b32_e32 v1, v7
	global_store_dwordx2 v[2:3], v[0:1], off
.LBB84_28:
	s_endpgm
	.section	.rodata,"a",@progbits
	.p2align	6, 0x0
	.amdhsa_kernel _ZL29rocblas_internal_gemmt_kernelIiLi16ELi32ELi8ELc84ELc78ELc76ELb0ELb0E19rocblas_complex_numIfEPKS1_S3_PS1_EviT_T9_T10_S5_lS7_S5_lS6_T11_S5_li
		.amdhsa_group_segment_fixed_size 4096
		.amdhsa_private_segment_fixed_size 0
		.amdhsa_kernarg_size 100
		.amdhsa_user_sgpr_count 2
		.amdhsa_user_sgpr_dispatch_ptr 0
		.amdhsa_user_sgpr_queue_ptr 0
		.amdhsa_user_sgpr_kernarg_segment_ptr 1
		.amdhsa_user_sgpr_dispatch_id 0
		.amdhsa_user_sgpr_kernarg_preload_length 0
		.amdhsa_user_sgpr_kernarg_preload_offset 0
		.amdhsa_user_sgpr_private_segment_size 0
		.amdhsa_uses_dynamic_stack 0
		.amdhsa_enable_private_segment 0
		.amdhsa_system_sgpr_workgroup_id_x 1
		.amdhsa_system_sgpr_workgroup_id_y 1
		.amdhsa_system_sgpr_workgroup_id_z 1
		.amdhsa_system_sgpr_workgroup_info 0
		.amdhsa_system_vgpr_workitem_id 1
		.amdhsa_next_free_vgpr 52
		.amdhsa_next_free_sgpr 29
		.amdhsa_accum_offset 52
		.amdhsa_reserve_vcc 1
		.amdhsa_float_round_mode_32 0
		.amdhsa_float_round_mode_16_64 0
		.amdhsa_float_denorm_mode_32 3
		.amdhsa_float_denorm_mode_16_64 3
		.amdhsa_dx10_clamp 1
		.amdhsa_ieee_mode 1
		.amdhsa_fp16_overflow 0
		.amdhsa_tg_split 0
		.amdhsa_exception_fp_ieee_invalid_op 0
		.amdhsa_exception_fp_denorm_src 0
		.amdhsa_exception_fp_ieee_div_zero 0
		.amdhsa_exception_fp_ieee_overflow 0
		.amdhsa_exception_fp_ieee_underflow 0
		.amdhsa_exception_fp_ieee_inexact 0
		.amdhsa_exception_int_div_zero 0
	.end_amdhsa_kernel
	.section	.text._ZL29rocblas_internal_gemmt_kernelIiLi16ELi32ELi8ELc84ELc78ELc76ELb0ELb0E19rocblas_complex_numIfEPKS1_S3_PS1_EviT_T9_T10_S5_lS7_S5_lS6_T11_S5_li,"axG",@progbits,_ZL29rocblas_internal_gemmt_kernelIiLi16ELi32ELi8ELc84ELc78ELc76ELb0ELb0E19rocblas_complex_numIfEPKS1_S3_PS1_EviT_T9_T10_S5_lS7_S5_lS6_T11_S5_li,comdat
.Lfunc_end84:
	.size	_ZL29rocblas_internal_gemmt_kernelIiLi16ELi32ELi8ELc84ELc78ELc76ELb0ELb0E19rocblas_complex_numIfEPKS1_S3_PS1_EviT_T9_T10_S5_lS7_S5_lS6_T11_S5_li, .Lfunc_end84-_ZL29rocblas_internal_gemmt_kernelIiLi16ELi32ELi8ELc84ELc78ELc76ELb0ELb0E19rocblas_complex_numIfEPKS1_S3_PS1_EviT_T9_T10_S5_lS7_S5_lS6_T11_S5_li
                                        ; -- End function
	.set _ZL29rocblas_internal_gemmt_kernelIiLi16ELi32ELi8ELc84ELc78ELc76ELb0ELb0E19rocblas_complex_numIfEPKS1_S3_PS1_EviT_T9_T10_S5_lS7_S5_lS6_T11_S5_li.num_vgpr, 52
	.set _ZL29rocblas_internal_gemmt_kernelIiLi16ELi32ELi8ELc84ELc78ELc76ELb0ELb0E19rocblas_complex_numIfEPKS1_S3_PS1_EviT_T9_T10_S5_lS7_S5_lS6_T11_S5_li.num_agpr, 0
	.set _ZL29rocblas_internal_gemmt_kernelIiLi16ELi32ELi8ELc84ELc78ELc76ELb0ELb0E19rocblas_complex_numIfEPKS1_S3_PS1_EviT_T9_T10_S5_lS7_S5_lS6_T11_S5_li.numbered_sgpr, 29
	.set _ZL29rocblas_internal_gemmt_kernelIiLi16ELi32ELi8ELc84ELc78ELc76ELb0ELb0E19rocblas_complex_numIfEPKS1_S3_PS1_EviT_T9_T10_S5_lS7_S5_lS6_T11_S5_li.num_named_barrier, 0
	.set _ZL29rocblas_internal_gemmt_kernelIiLi16ELi32ELi8ELc84ELc78ELc76ELb0ELb0E19rocblas_complex_numIfEPKS1_S3_PS1_EviT_T9_T10_S5_lS7_S5_lS6_T11_S5_li.private_seg_size, 0
	.set _ZL29rocblas_internal_gemmt_kernelIiLi16ELi32ELi8ELc84ELc78ELc76ELb0ELb0E19rocblas_complex_numIfEPKS1_S3_PS1_EviT_T9_T10_S5_lS7_S5_lS6_T11_S5_li.uses_vcc, 1
	.set _ZL29rocblas_internal_gemmt_kernelIiLi16ELi32ELi8ELc84ELc78ELc76ELb0ELb0E19rocblas_complex_numIfEPKS1_S3_PS1_EviT_T9_T10_S5_lS7_S5_lS6_T11_S5_li.uses_flat_scratch, 0
	.set _ZL29rocblas_internal_gemmt_kernelIiLi16ELi32ELi8ELc84ELc78ELc76ELb0ELb0E19rocblas_complex_numIfEPKS1_S3_PS1_EviT_T9_T10_S5_lS7_S5_lS6_T11_S5_li.has_dyn_sized_stack, 0
	.set _ZL29rocblas_internal_gemmt_kernelIiLi16ELi32ELi8ELc84ELc78ELc76ELb0ELb0E19rocblas_complex_numIfEPKS1_S3_PS1_EviT_T9_T10_S5_lS7_S5_lS6_T11_S5_li.has_recursion, 0
	.set _ZL29rocblas_internal_gemmt_kernelIiLi16ELi32ELi8ELc84ELc78ELc76ELb0ELb0E19rocblas_complex_numIfEPKS1_S3_PS1_EviT_T9_T10_S5_lS7_S5_lS6_T11_S5_li.has_indirect_call, 0
	.section	.AMDGPU.csdata,"",@progbits
; Kernel info:
; codeLenInByte = 2456
; TotalNumSgprs: 35
; NumVgprs: 52
; NumAgprs: 0
; TotalNumVgprs: 52
; ScratchSize: 0
; MemoryBound: 0
; FloatMode: 240
; IeeeMode: 1
; LDSByteSize: 4096 bytes/workgroup (compile time only)
; SGPRBlocks: 4
; VGPRBlocks: 6
; NumSGPRsForWavesPerEU: 35
; NumVGPRsForWavesPerEU: 52
; AccumOffset: 52
; Occupancy: 8
; WaveLimiterHint : 0
; COMPUTE_PGM_RSRC2:SCRATCH_EN: 0
; COMPUTE_PGM_RSRC2:USER_SGPR: 2
; COMPUTE_PGM_RSRC2:TRAP_HANDLER: 0
; COMPUTE_PGM_RSRC2:TGID_X_EN: 1
; COMPUTE_PGM_RSRC2:TGID_Y_EN: 1
; COMPUTE_PGM_RSRC2:TGID_Z_EN: 1
; COMPUTE_PGM_RSRC2:TIDIG_COMP_CNT: 1
; COMPUTE_PGM_RSRC3_GFX90A:ACCUM_OFFSET: 12
; COMPUTE_PGM_RSRC3_GFX90A:TG_SPLIT: 0
	.section	.text._ZL29rocblas_internal_gemmt_kernelIiLi16ELi32ELi8ELc84ELc84ELc76ELb0ELb0E19rocblas_complex_numIfEPKS1_S3_PS1_EviT_T9_T10_S5_lS7_S5_lS6_T11_S5_li,"axG",@progbits,_ZL29rocblas_internal_gemmt_kernelIiLi16ELi32ELi8ELc84ELc84ELc76ELb0ELb0E19rocblas_complex_numIfEPKS1_S3_PS1_EviT_T9_T10_S5_lS7_S5_lS6_T11_S5_li,comdat
	.globl	_ZL29rocblas_internal_gemmt_kernelIiLi16ELi32ELi8ELc84ELc84ELc76ELb0ELb0E19rocblas_complex_numIfEPKS1_S3_PS1_EviT_T9_T10_S5_lS7_S5_lS6_T11_S5_li ; -- Begin function _ZL29rocblas_internal_gemmt_kernelIiLi16ELi32ELi8ELc84ELc84ELc76ELb0ELb0E19rocblas_complex_numIfEPKS1_S3_PS1_EviT_T9_T10_S5_lS7_S5_lS6_T11_S5_li
	.p2align	8
	.type	_ZL29rocblas_internal_gemmt_kernelIiLi16ELi32ELi8ELc84ELc84ELc76ELb0ELb0E19rocblas_complex_numIfEPKS1_S3_PS1_EviT_T9_T10_S5_lS7_S5_lS6_T11_S5_li,@function
_ZL29rocblas_internal_gemmt_kernelIiLi16ELi32ELi8ELc84ELc84ELc76ELb0ELb0E19rocblas_complex_numIfEPKS1_S3_PS1_EviT_T9_T10_S5_lS7_S5_lS6_T11_S5_li: ; @_ZL29rocblas_internal_gemmt_kernelIiLi16ELi32ELi8ELc84ELc84ELc76ELb0ELb0E19rocblas_complex_numIfEPKS1_S3_PS1_EviT_T9_T10_S5_lS7_S5_lS6_T11_S5_li
; %bb.0:
	s_load_dwordx4 s[8:11], s[0:1], 0x38
	s_load_dwordx4 s[12:15], s[0:1], 0x8
	s_waitcnt lgkmcnt(0)
	s_load_dwordx2 s[20:21], s[10:11], 0x0
	s_load_dwordx2 s[24:25], s[0:1], 0x0
	;; [unrolled: 1-line block ×3, first 2 shown]
	s_waitcnt lgkmcnt(0)
	s_and_b32 s5, s21, 0x7fffffff
	s_cmp_eq_u32 s5, 0
	v_cmp_eq_f32_e64 s[6:7], s20, 1.0
	s_cselect_b64 s[10:11], -1, 0
	s_and_b64 s[6:7], s[6:7], s[10:11]
	s_and_b64 vcc, exec, s[6:7]
	s_cbranch_vccnz .LBB85_2
; %bb.1:
	s_mov_b64 s[6:7], -1
	s_cbranch_execz .LBB85_3
	s_branch .LBB85_4
.LBB85_2:
	s_mov_b64 s[6:7], 0
.LBB85_3:
	s_cmp_lg_u32 s25, 0
	v_cmp_neq_f32_e64 s[12:13], s22, 0
	v_cmp_neq_f32_e64 s[16:17], s23, 0
	s_cselect_b64 s[6:7], -1, 0
	s_or_b64 s[12:13], s[12:13], s[16:17]
	s_and_b64 s[6:7], s[6:7], s[12:13]
.LBB85_4:
	s_andn2_b64 vcc, exec, s[6:7]
	s_cbranch_vccnz .LBB85_28
; %bb.5:
	s_lshl_b32 s26, s2, 5
	s_lshl_b32 s5, s3, 5
	v_cmp_eq_f32_e64 s[2:3], s22, 0
	v_cmp_eq_f32_e64 s[6:7], s23, 0
	s_load_dwordx2 s[12:13], s[0:1], 0x48
	s_and_b64 s[2:3], s[2:3], s[6:7]
	s_cmp_lt_i32 s25, 1
	s_cselect_b64 s[6:7], -1, 0
	s_or_b64 s[2:3], s[2:3], s[6:7]
	v_and_b32_e32 v15, 0x3ff, v0
	v_bfe_u32 v13, v0, 10, 10
	s_mov_b32 s27, 0
	v_mov_b32_e32 v24, 0
	s_and_b64 vcc, exec, s[2:3]
	v_mov_b32_e32 v26, 0
	v_mov_b32_e32 v20, 0
	v_mov_b32_e32 v22, 0
	v_mov_b32_e32 v16, 0
	v_mov_b32_e32 v18, 0
	v_mov_b32_e32 v12, 0
	v_mov_b32_e32 v14, 0
	s_cbranch_vccnz .LBB85_12
; %bb.6:
	v_lshl_add_u32 v1, v13, 4, v15
	v_and_b32_e32 v3, 31, v1
	v_lshrrev_b32_e32 v19, 5, v1
	v_lshrrev_b32_e32 v2, 3, v1
	v_or_b32_e32 v1, s26, v3
	s_load_dword s28, s[0:1], 0x18
	s_load_dword s6, s[0:1], 0x30
	s_load_dwordx4 s[16:19], s[0:1], 0x20
	v_and_b32_e32 v17, 7, v15
	v_cmp_gt_i32_e32 vcc, s24, v1
	v_lshlrev_b32_e32 v1, 3, v3
	v_lshl_or_b32 v21, v19, 8, v1
	v_lshlrev_b32_e32 v1, 3, v17
	v_add_u32_e32 v0, s5, v2
	v_lshl_or_b32 v1, v2, 6, v1
	v_mov_b32_e32 v2, 0x800
	v_lshl_add_u32 v27, v13, 6, v2
	v_add_u32_e32 v2, s26, v3
	s_waitcnt lgkmcnt(0)
	v_mad_i64_i32 v[2:3], s[28:29], s28, v2, 0
	s_mul_i32 s17, s17, s4
	s_mul_hi_u32 s28, s16, s4
	s_add_i32 s17, s28, s17
	s_mul_i32 s16, s16, s4
	s_lshl_b64 s[16:17], s[16:17], 3
	v_lshl_add_u64 v[2:3], v[2:3], 3, s[16:17]
	v_lshlrev_b32_e32 v4, 3, v19
	v_mov_b32_e32 v5, 0
	v_lshl_add_u64 v[2:3], v[2:3], 0, v[4:5]
	v_lshl_add_u64 v[8:9], s[14:15], 0, v[2:3]
	s_mul_i32 s9, s9, s4
	s_mul_hi_u32 s14, s8, s4
	s_add_i32 s9, s14, s9
	v_mad_i64_i32 v[2:3], s[14:15], s6, v17, 0
	s_mul_i32 s8, s8, s4
	v_lshlrev_b64 v[2:3], 3, v[2:3]
	v_add_u32_e32 v23, 0x800, v1
	v_ashrrev_i32_e32 v1, 31, v0
	v_lshl_add_u64 v[2:3], s[8:9], 3, v[2:3]
	s_ashr_i32 s7, s6, 31
	v_cmp_gt_i32_e64 s[2:3], s24, v0
	v_lshl_add_u64 v[0:1], v[0:1], 3, v[2:3]
	v_lshlrev_b32_e32 v25, 3, v15
	v_lshl_add_u64 v[10:11], s[18:19], 0, v[0:1]
	s_lshl_b64 s[8:9], s[6:7], 6
	v_mov_b32_e32 v14, v5
	v_mov_b32_e32 v12, v5
	;; [unrolled: 1-line block ×8, first 2 shown]
	s_branch .LBB85_8
.LBB85_7:                               ;   in Loop: Header=BB85_8 Depth=1
	s_or_b64 exec, exec, s[6:7]
	s_waitcnt vmcnt(0)
	ds_write_b64 v23, v[0:1]
	s_waitcnt lgkmcnt(0)
	s_barrier
	ds_read2_b64 v[28:31], v25 offset1:16
	ds_read_b128 v[32:35], v27
	ds_read_b128 v[36:39], v27 offset:16
	ds_read_b128 v[4:7], v27 offset:32
	;; [unrolled: 1-line block ×3, first 2 shown]
	ds_read2_b64 v[48:51], v25 offset0:32 offset1:48
	s_waitcnt lgkmcnt(4)
	v_mul_f32_e32 v40, v33, v29
	v_fma_f32 v40, v32, v28, -v40
	v_mul_f32_e32 v41, v32, v29
	v_fmac_f32_e32 v41, v33, v28
	v_add_f32_e32 v24, v24, v40
	v_mul_f32_e32 v40, v33, v31
	v_add_f32_e32 v26, v26, v41
	v_fma_f32 v44, v32, v30, -v40
	ds_read_b128 v[40:43], v27 offset:1024
	v_mul_f32_e32 v32, v32, v31
	v_fmac_f32_e32 v32, v33, v30
	v_add_f32_e32 v20, v20, v44
	v_add_f32_e32 v22, v22, v32
	ds_read_b128 v[44:47], v27 offset:1040
	s_waitcnt lgkmcnt(1)
	v_mul_f32_e32 v32, v41, v29
	v_mul_f32_e32 v29, v40, v29
	v_fma_f32 v32, v40, v28, -v32
	v_fmac_f32_e32 v29, v41, v28
	v_mul_f32_e32 v28, v41, v31
	v_add_f32_e32 v18, v18, v29
	v_fma_f32 v28, v40, v30, -v28
	v_mul_f32_e32 v29, v40, v31
	v_fmac_f32_e32 v29, v41, v30
	v_add_f32_e32 v12, v12, v28
	v_mul_f32_e32 v28, v35, v49
	v_add_f32_e32 v14, v14, v29
	v_fma_f32 v28, v34, v48, -v28
	v_mul_f32_e32 v29, v34, v49
	v_fmac_f32_e32 v29, v35, v48
	v_add_f32_e32 v24, v24, v28
	;; [unrolled: 6-line block ×3, first 2 shown]
	v_mul_f32_e32 v28, v43, v49
	v_add_f32_e32 v16, v16, v32
	v_add_f32_e32 v22, v22, v29
	v_fma_f32 v28, v42, v48, -v28
	v_mul_f32_e32 v29, v42, v49
	v_fmac_f32_e32 v29, v43, v48
	v_add_f32_e32 v16, v16, v28
	v_mul_f32_e32 v28, v43, v51
	v_add_f32_e32 v18, v18, v29
	v_fma_f32 v32, v42, v50, -v28
	ds_read2_b64 v[28:31], v25 offset0:64 offset1:80
	v_mul_f32_e32 v33, v42, v51
	v_add_f32_e32 v12, v12, v32
	v_fmac_f32_e32 v33, v43, v50
	v_add_f32_e32 v14, v14, v33
	s_waitcnt lgkmcnt(0)
	v_mul_f32_e32 v32, v37, v29
	v_fma_f32 v32, v36, v28, -v32
	v_mul_f32_e32 v33, v36, v29
	v_add_f32_e32 v24, v24, v32
	v_mul_f32_e32 v32, v37, v31
	v_fmac_f32_e32 v33, v37, v28
	v_fma_f32 v32, v36, v30, -v32
	v_add_f32_e32 v26, v26, v33
	v_mul_f32_e32 v33, v36, v31
	v_add_f32_e32 v20, v20, v32
	v_mul_f32_e32 v32, v45, v29
	v_fmac_f32_e32 v33, v37, v30
	v_fma_f32 v32, v44, v28, -v32
	v_add_f32_e32 v22, v22, v33
	v_add_f32_e32 v16, v16, v32
	ds_read2_b64 v[32:35], v25 offset0:96 offset1:112
	v_mul_f32_e32 v29, v44, v29
	v_fmac_f32_e32 v29, v45, v28
	v_mul_f32_e32 v28, v45, v31
	v_add_f32_e32 v18, v18, v29
	v_fma_f32 v28, v44, v30, -v28
	v_mul_f32_e32 v29, v44, v31
	v_fmac_f32_e32 v29, v45, v30
	v_add_f32_e32 v12, v12, v28
	s_waitcnt lgkmcnt(0)
	v_mul_f32_e32 v28, v39, v33
	v_add_f32_e32 v14, v14, v29
	v_fma_f32 v28, v38, v32, -v28
	v_mul_f32_e32 v29, v38, v33
	v_fmac_f32_e32 v29, v39, v32
	v_add_f32_e32 v24, v24, v28
	v_mul_f32_e32 v28, v39, v35
	v_add_f32_e32 v26, v26, v29
	v_fma_f32 v28, v38, v34, -v28
	v_mul_f32_e32 v29, v38, v35
	v_fmac_f32_e32 v29, v39, v34
	v_add_f32_e32 v20, v20, v28
	;; [unrolled: 6-line block ×3, first 2 shown]
	v_mul_f32_e32 v28, v47, v35
	v_add_f32_e32 v18, v18, v29
	v_fma_f32 v32, v46, v34, -v28
	ds_read2_b64 v[28:31], v25 offset0:128 offset1:144
	v_mul_f32_e32 v33, v46, v35
	v_fmac_f32_e32 v33, v47, v34
	v_add_f32_e32 v12, v12, v32
	v_add_f32_e32 v14, v14, v33
	s_waitcnt lgkmcnt(0)
	v_mul_f32_e32 v32, v5, v29
	v_fma_f32 v32, v4, v28, -v32
	v_mul_f32_e32 v33, v4, v29
	v_fmac_f32_e32 v33, v5, v28
	v_add_f32_e32 v24, v24, v32
	v_mul_f32_e32 v32, v5, v31
	v_add_f32_e32 v26, v26, v33
	v_fma_f32 v36, v4, v30, -v32
	ds_read_b128 v[32:35], v27 offset:1056
	v_mul_f32_e32 v4, v4, v31
	ds_read2_b64 v[40:43], v25 offset0:160 offset1:176
	v_fmac_f32_e32 v4, v5, v30
	v_add_f32_e32 v5, v20, v36
	ds_read_b128 v[36:39], v27 offset:1072
	s_waitcnt lgkmcnt(2)
	v_mul_f32_e32 v20, v33, v29
	v_fma_f32 v20, v32, v28, -v20
	v_add_f32_e32 v16, v16, v20
	v_mul_f32_e32 v20, v33, v31
	v_add_f32_e32 v4, v22, v4
	v_mul_f32_e32 v22, v32, v29
	v_fma_f32 v20, v32, v30, -v20
	v_fmac_f32_e32 v22, v33, v28
	v_add_f32_e32 v12, v12, v20
	s_waitcnt lgkmcnt(1)
	v_mul_f32_e32 v20, v7, v41
	v_add_f32_e32 v18, v18, v22
	v_mul_f32_e32 v22, v32, v31
	v_fma_f32 v20, v6, v40, -v20
	v_fmac_f32_e32 v22, v33, v30
	v_add_f32_e32 v20, v24, v20
	v_mul_f32_e32 v24, v7, v43
	v_add_f32_e32 v14, v14, v22
	v_mul_f32_e32 v22, v6, v41
	v_fma_f32 v24, v6, v42, -v24
	v_mul_f32_e32 v6, v6, v43
	v_fmac_f32_e32 v22, v7, v40
	v_fmac_f32_e32 v6, v7, v42
	v_add_f32_e32 v22, v26, v22
	v_add_f32_e32 v26, v4, v6
	v_mul_f32_e32 v4, v35, v41
	v_add_f32_e32 v24, v5, v24
	v_fma_f32 v4, v34, v40, -v4
	v_mul_f32_e32 v5, v34, v41
	v_fmac_f32_e32 v5, v35, v40
	v_add_f32_e32 v16, v16, v4
	v_mul_f32_e32 v4, v35, v43
	v_add_f32_e32 v18, v18, v5
	v_fma_f32 v28, v34, v42, -v4
	ds_read2_b64 v[4:7], v25 offset0:192 offset1:208
	v_mul_f32_e32 v29, v34, v43
	v_add_f32_e32 v12, v12, v28
	v_fmac_f32_e32 v29, v35, v42
	v_add_f32_e32 v14, v14, v29
	s_waitcnt lgkmcnt(0)
	v_mul_f32_e32 v28, v1, v5
	v_fma_f32 v28, v0, v4, -v28
	v_mul_f32_e32 v29, v0, v5
	v_add_f32_e32 v20, v20, v28
	v_mul_f32_e32 v28, v1, v7
	v_fmac_f32_e32 v29, v1, v4
	v_fma_f32 v28, v0, v6, -v28
	v_mul_f32_e32 v0, v0, v7
	v_add_f32_e32 v22, v22, v29
	v_fmac_f32_e32 v0, v1, v6
	v_add_f32_e32 v1, v24, v28
	ds_read2_b64 v[28:31], v25 offset0:224 offset1:240
	v_mul_f32_e32 v24, v37, v5
	v_fma_f32 v24, v36, v4, -v24
	v_mul_f32_e32 v5, v36, v5
	v_fmac_f32_e32 v5, v37, v4
	v_add_f32_e32 v4, v16, v24
	v_mul_f32_e32 v16, v37, v7
	v_fma_f32 v16, v36, v6, -v16
	v_mul_f32_e32 v7, v36, v7
	v_fmac_f32_e32 v7, v37, v6
	v_add_f32_e32 v6, v12, v16
	s_waitcnt lgkmcnt(0)
	v_mul_f32_e32 v12, v3, v29
	v_fma_f32 v12, v2, v28, -v12
	v_add_f32_e32 v24, v20, v12
	v_mul_f32_e32 v12, v3, v31
	v_add_f32_e32 v7, v14, v7
	v_mul_f32_e32 v14, v2, v29
	v_fma_f32 v12, v2, v30, -v12
	v_mul_f32_e32 v2, v2, v31
	v_add_f32_e32 v0, v26, v0
	v_fmac_f32_e32 v14, v3, v28
	v_fmac_f32_e32 v2, v3, v30
	v_add_f32_e32 v26, v22, v14
	v_add_f32_e32 v20, v1, v12
	;; [unrolled: 1-line block ×3, first 2 shown]
	v_mul_f32_e32 v0, v39, v29
	v_mul_f32_e32 v1, v38, v29
	v_add_f32_e32 v5, v18, v5
	v_fma_f32 v0, v38, v28, -v0
	v_fmac_f32_e32 v1, v39, v28
	v_add_f32_e32 v16, v4, v0
	v_add_f32_e32 v18, v5, v1
	v_mul_f32_e32 v0, v39, v31
	v_mul_f32_e32 v1, v38, v31
	v_fma_f32 v0, v38, v30, -v0
	v_fmac_f32_e32 v1, v39, v30
	s_add_i32 s27, s27, 8
	v_add_f32_e32 v12, v6, v0
	v_add_f32_e32 v14, v7, v1
	v_lshl_add_u64 v[8:9], v[8:9], 0, 64
	s_cmp_lt_i32 s27, s25
	v_lshl_add_u64 v[10:11], v[10:11], 0, s[8:9]
	s_barrier
	s_cbranch_scc0 .LBB85_12
.LBB85_8:                               ; =>This Inner Loop Header: Depth=1
	v_add_u32_e32 v0, s27, v19
	v_cmp_gt_i32_e64 s[6:7], s25, v0
	s_and_b64 s[14:15], vcc, s[6:7]
	v_mov_b32_e32 v0, 0
	v_mov_b32_e32 v1, 0
	s_and_saveexec_b64 s[6:7], s[14:15]
	s_cbranch_execz .LBB85_10
; %bb.9:                                ;   in Loop: Header=BB85_8 Depth=1
	global_load_dwordx2 v[0:1], v[8:9], off
.LBB85_10:                              ;   in Loop: Header=BB85_8 Depth=1
	s_or_b64 exec, exec, s[6:7]
	s_waitcnt vmcnt(0)
	ds_write_b64 v21, v[0:1]
	v_add_u32_e32 v0, s27, v17
	v_cmp_gt_i32_e64 s[6:7], s25, v0
	s_and_b64 s[14:15], s[6:7], s[2:3]
	v_mov_b32_e32 v0, 0
	v_mov_b32_e32 v1, 0
	s_and_saveexec_b64 s[6:7], s[14:15]
	s_cbranch_execz .LBB85_7
; %bb.11:                               ;   in Loop: Header=BB85_8 Depth=1
	global_load_dwordx2 v[0:1], v[10:11], off
	s_branch .LBB85_7
.LBB85_12:
	s_load_dwordx2 s[2:3], s[0:1], 0x58
	s_load_dword s14, s[0:1], 0x50
	v_add_u32_e32 v10, s5, v13
	v_add_u32_e32 v0, s26, v15
	v_cmp_le_i32_e32 vcc, v10, v0
	s_waitcnt lgkmcnt(0)
	s_mul_i32 s1, s3, s4
	s_mul_hi_u32 s3, s2, s4
	s_mul_i32 s0, s2, s4
	s_add_i32 s1, s3, s1
	s_lshl_b64 s[0:1], s[0:1], 3
	s_add_u32 s6, s12, s0
	s_addc_u32 s7, s13, s1
	v_cmp_neq_f32_e64 s[0:1], s20, 0
	s_xor_b64 s[4:5], s[10:11], -1
	v_mad_i64_i32 v[2:3], s[2:3], v10, s14, 0
	s_or_b64 s[0:1], s[0:1], s[4:5]
	v_lshl_add_u64 v[4:5], v[2:3], 3, s[6:7]
	v_cmp_gt_i32_e64 s[2:3], s24, v0
	v_cndmask_b32_e64 v2, 0, 1, s[0:1]
	s_and_b64 s[8:9], vcc, s[2:3]
	v_ashrrev_i32_e32 v1, 31, v0
	v_cmp_ne_u32_e64 s[0:1], 1, v2
	s_and_saveexec_b64 s[4:5], s[8:9]
	s_cbranch_execz .LBB85_16
; %bb.13:
	v_pk_mul_f32 v[6:7], v[26:27], s[22:23] op_sel:[0,1] op_sel_hi:[0,0]
	v_pk_fma_f32 v[2:3], v[24:25], s[22:23], v[6:7] op_sel_hi:[0,1,1] neg_lo:[0,0,1] neg_hi:[0,0,1]
	v_pk_fma_f32 v[8:9], v[24:25], s[22:23], v[6:7] op_sel_hi:[0,1,1]
	s_and_b64 vcc, exec, s[0:1]
	v_lshl_add_u64 v[6:7], v[0:1], 3, v[4:5]
	s_cbranch_vccnz .LBB85_15
; %bb.14:
	global_load_dwordx2 v[24:25], v[6:7], off
	s_mov_b32 s8, s21
	v_mov_b32_e32 v3, v9
	s_waitcnt vmcnt(0)
	v_pk_mul_f32 v[8:9], v[24:25], s[8:9] op_sel:[1,0] op_sel_hi:[0,0]
	v_pk_fma_f32 v[26:27], v[24:25], s[20:21], v[8:9] neg_lo:[0,0,1] neg_hi:[0,0,1]
	v_pk_fma_f32 v[8:9], v[24:25], s[20:21], v[8:9] op_sel_hi:[1,0,1]
	s_nop 0
	v_mov_b32_e32 v27, v9
	v_pk_add_f32 v[2:3], v[2:3], v[26:27]
	s_nop 0
	v_mov_b32_e32 v9, v3
.LBB85_15:
	v_mov_b32_e32 v3, v9
	global_store_dwordx2 v[6:7], v[2:3], off
.LBB85_16:
	s_or_b64 exec, exec, s[4:5]
	v_add_u32_e32 v2, 16, v0
	v_cmp_le_i32_e32 vcc, v10, v2
	v_cmp_gt_i32_e64 s[4:5], s24, v2
	s_and_b64 s[10:11], vcc, s[4:5]
	v_ashrrev_i32_e32 v3, 31, v2
	s_and_saveexec_b64 s[8:9], s[10:11]
	s_cbranch_execz .LBB85_20
; %bb.17:
	v_pk_mul_f32 v[8:9], v[22:23], s[22:23] op_sel:[0,1] op_sel_hi:[0,0]
	v_pk_fma_f32 v[6:7], v[20:21], s[22:23], v[8:9] op_sel_hi:[0,1,1] neg_lo:[0,0,1] neg_hi:[0,0,1]
	v_pk_fma_f32 v[8:9], v[20:21], s[22:23], v[8:9] op_sel_hi:[0,1,1]
	s_and_b64 vcc, exec, s[0:1]
	v_lshl_add_u64 v[4:5], v[2:3], 3, v[4:5]
	s_cbranch_vccnz .LBB85_19
; %bb.18:
	global_load_dwordx2 v[20:21], v[4:5], off
	s_mov_b32 s10, s21
	v_mov_b32_e32 v7, v9
	s_waitcnt vmcnt(0)
	v_pk_mul_f32 v[8:9], v[20:21], s[10:11] op_sel:[1,0] op_sel_hi:[0,0]
	v_pk_fma_f32 v[22:23], v[20:21], s[20:21], v[8:9] neg_lo:[0,0,1] neg_hi:[0,0,1]
	v_pk_fma_f32 v[8:9], v[20:21], s[20:21], v[8:9] op_sel_hi:[1,0,1]
	s_nop 0
	v_mov_b32_e32 v23, v9
	v_pk_add_f32 v[6:7], v[6:7], v[22:23]
	s_nop 0
	v_mov_b32_e32 v9, v7
.LBB85_19:
	v_mov_b32_e32 v7, v9
	global_store_dwordx2 v[4:5], v[6:7], off
.LBB85_20:
	s_or_b64 exec, exec, s[8:9]
	v_add_u32_e32 v10, 16, v10
	v_mad_i64_i32 v[4:5], s[8:9], v10, s14, 0
	v_cmp_le_i32_e32 vcc, v10, v0
	v_lshl_add_u64 v[4:5], v[4:5], 3, s[6:7]
	s_and_b64 s[6:7], vcc, s[2:3]
	s_and_saveexec_b64 s[2:3], s[6:7]
	s_cbranch_execz .LBB85_24
; %bb.21:
	v_pk_mul_f32 v[8:9], v[18:19], s[22:23] op_sel:[0,1] op_sel_hi:[0,0]
	v_pk_fma_f32 v[6:7], v[16:17], s[22:23], v[8:9] op_sel_hi:[0,1,1] neg_lo:[0,0,1] neg_hi:[0,0,1]
	v_pk_fma_f32 v[8:9], v[16:17], s[22:23], v[8:9] op_sel_hi:[0,1,1]
	s_and_b64 vcc, exec, s[0:1]
	v_lshl_add_u64 v[0:1], v[0:1], 3, v[4:5]
	s_cbranch_vccnz .LBB85_23
; %bb.22:
	global_load_dwordx2 v[16:17], v[0:1], off
	s_mov_b32 s6, s21
	v_mov_b32_e32 v7, v9
	s_waitcnt vmcnt(0)
	v_pk_mul_f32 v[8:9], v[16:17], s[6:7] op_sel:[1,0] op_sel_hi:[0,0]
	v_pk_fma_f32 v[18:19], v[16:17], s[20:21], v[8:9] neg_lo:[0,0,1] neg_hi:[0,0,1]
	v_pk_fma_f32 v[8:9], v[16:17], s[20:21], v[8:9] op_sel_hi:[1,0,1]
	s_nop 0
	v_mov_b32_e32 v19, v9
	v_pk_add_f32 v[6:7], v[6:7], v[18:19]
	s_nop 0
	v_mov_b32_e32 v9, v7
.LBB85_23:
	v_mov_b32_e32 v7, v9
	global_store_dwordx2 v[0:1], v[6:7], off
.LBB85_24:
	s_or_b64 exec, exec, s[2:3]
	v_cmp_le_i32_e32 vcc, v10, v2
	s_and_b64 s[2:3], vcc, s[4:5]
	s_and_saveexec_b64 s[4:5], s[2:3]
	s_cbranch_execz .LBB85_28
; %bb.25:
	v_pk_mul_f32 v[6:7], v[14:15], s[22:23] op_sel:[0,1] op_sel_hi:[0,0]
	v_pk_fma_f32 v[0:1], v[12:13], s[22:23], v[6:7] op_sel_hi:[0,1,1] neg_lo:[0,0,1] neg_hi:[0,0,1]
	v_pk_fma_f32 v[6:7], v[12:13], s[22:23], v[6:7] op_sel_hi:[0,1,1]
	s_and_b64 vcc, exec, s[0:1]
	v_lshl_add_u64 v[2:3], v[2:3], 3, v[4:5]
	s_cbranch_vccnz .LBB85_27
; %bb.26:
	global_load_dwordx2 v[4:5], v[2:3], off
	s_mov_b32 s0, s21
	v_mov_b32_e32 v1, v7
	s_waitcnt vmcnt(0)
	v_pk_mul_f32 v[6:7], v[4:5], s[0:1] op_sel:[1,0] op_sel_hi:[0,0]
	v_pk_fma_f32 v[8:9], v[4:5], s[20:21], v[6:7] neg_lo:[0,0,1] neg_hi:[0,0,1]
	v_pk_fma_f32 v[4:5], v[4:5], s[20:21], v[6:7] op_sel_hi:[1,0,1]
	s_nop 0
	v_mov_b32_e32 v9, v5
	v_pk_add_f32 v[0:1], v[0:1], v[8:9]
	s_nop 0
	v_mov_b32_e32 v7, v1
.LBB85_27:
	v_mov_b32_e32 v1, v7
	global_store_dwordx2 v[2:3], v[0:1], off
.LBB85_28:
	s_endpgm
	.section	.rodata,"a",@progbits
	.p2align	6, 0x0
	.amdhsa_kernel _ZL29rocblas_internal_gemmt_kernelIiLi16ELi32ELi8ELc84ELc84ELc76ELb0ELb0E19rocblas_complex_numIfEPKS1_S3_PS1_EviT_T9_T10_S5_lS7_S5_lS6_T11_S5_li
		.amdhsa_group_segment_fixed_size 4096
		.amdhsa_private_segment_fixed_size 0
		.amdhsa_kernarg_size 100
		.amdhsa_user_sgpr_count 2
		.amdhsa_user_sgpr_dispatch_ptr 0
		.amdhsa_user_sgpr_queue_ptr 0
		.amdhsa_user_sgpr_kernarg_segment_ptr 1
		.amdhsa_user_sgpr_dispatch_id 0
		.amdhsa_user_sgpr_kernarg_preload_length 0
		.amdhsa_user_sgpr_kernarg_preload_offset 0
		.amdhsa_user_sgpr_private_segment_size 0
		.amdhsa_uses_dynamic_stack 0
		.amdhsa_enable_private_segment 0
		.amdhsa_system_sgpr_workgroup_id_x 1
		.amdhsa_system_sgpr_workgroup_id_y 1
		.amdhsa_system_sgpr_workgroup_id_z 1
		.amdhsa_system_sgpr_workgroup_info 0
		.amdhsa_system_vgpr_workitem_id 1
		.amdhsa_next_free_vgpr 52
		.amdhsa_next_free_sgpr 30
		.amdhsa_accum_offset 52
		.amdhsa_reserve_vcc 1
		.amdhsa_float_round_mode_32 0
		.amdhsa_float_round_mode_16_64 0
		.amdhsa_float_denorm_mode_32 3
		.amdhsa_float_denorm_mode_16_64 3
		.amdhsa_dx10_clamp 1
		.amdhsa_ieee_mode 1
		.amdhsa_fp16_overflow 0
		.amdhsa_tg_split 0
		.amdhsa_exception_fp_ieee_invalid_op 0
		.amdhsa_exception_fp_denorm_src 0
		.amdhsa_exception_fp_ieee_div_zero 0
		.amdhsa_exception_fp_ieee_overflow 0
		.amdhsa_exception_fp_ieee_underflow 0
		.amdhsa_exception_fp_ieee_inexact 0
		.amdhsa_exception_int_div_zero 0
	.end_amdhsa_kernel
	.section	.text._ZL29rocblas_internal_gemmt_kernelIiLi16ELi32ELi8ELc84ELc84ELc76ELb0ELb0E19rocblas_complex_numIfEPKS1_S3_PS1_EviT_T9_T10_S5_lS7_S5_lS6_T11_S5_li,"axG",@progbits,_ZL29rocblas_internal_gemmt_kernelIiLi16ELi32ELi8ELc84ELc84ELc76ELb0ELb0E19rocblas_complex_numIfEPKS1_S3_PS1_EviT_T9_T10_S5_lS7_S5_lS6_T11_S5_li,comdat
.Lfunc_end85:
	.size	_ZL29rocblas_internal_gemmt_kernelIiLi16ELi32ELi8ELc84ELc84ELc76ELb0ELb0E19rocblas_complex_numIfEPKS1_S3_PS1_EviT_T9_T10_S5_lS7_S5_lS6_T11_S5_li, .Lfunc_end85-_ZL29rocblas_internal_gemmt_kernelIiLi16ELi32ELi8ELc84ELc84ELc76ELb0ELb0E19rocblas_complex_numIfEPKS1_S3_PS1_EviT_T9_T10_S5_lS7_S5_lS6_T11_S5_li
                                        ; -- End function
	.set _ZL29rocblas_internal_gemmt_kernelIiLi16ELi32ELi8ELc84ELc84ELc76ELb0ELb0E19rocblas_complex_numIfEPKS1_S3_PS1_EviT_T9_T10_S5_lS7_S5_lS6_T11_S5_li.num_vgpr, 52
	.set _ZL29rocblas_internal_gemmt_kernelIiLi16ELi32ELi8ELc84ELc84ELc76ELb0ELb0E19rocblas_complex_numIfEPKS1_S3_PS1_EviT_T9_T10_S5_lS7_S5_lS6_T11_S5_li.num_agpr, 0
	.set _ZL29rocblas_internal_gemmt_kernelIiLi16ELi32ELi8ELc84ELc84ELc76ELb0ELb0E19rocblas_complex_numIfEPKS1_S3_PS1_EviT_T9_T10_S5_lS7_S5_lS6_T11_S5_li.numbered_sgpr, 30
	.set _ZL29rocblas_internal_gemmt_kernelIiLi16ELi32ELi8ELc84ELc84ELc76ELb0ELb0E19rocblas_complex_numIfEPKS1_S3_PS1_EviT_T9_T10_S5_lS7_S5_lS6_T11_S5_li.num_named_barrier, 0
	.set _ZL29rocblas_internal_gemmt_kernelIiLi16ELi32ELi8ELc84ELc84ELc76ELb0ELb0E19rocblas_complex_numIfEPKS1_S3_PS1_EviT_T9_T10_S5_lS7_S5_lS6_T11_S5_li.private_seg_size, 0
	.set _ZL29rocblas_internal_gemmt_kernelIiLi16ELi32ELi8ELc84ELc84ELc76ELb0ELb0E19rocblas_complex_numIfEPKS1_S3_PS1_EviT_T9_T10_S5_lS7_S5_lS6_T11_S5_li.uses_vcc, 1
	.set _ZL29rocblas_internal_gemmt_kernelIiLi16ELi32ELi8ELc84ELc84ELc76ELb0ELb0E19rocblas_complex_numIfEPKS1_S3_PS1_EviT_T9_T10_S5_lS7_S5_lS6_T11_S5_li.uses_flat_scratch, 0
	.set _ZL29rocblas_internal_gemmt_kernelIiLi16ELi32ELi8ELc84ELc84ELc76ELb0ELb0E19rocblas_complex_numIfEPKS1_S3_PS1_EviT_T9_T10_S5_lS7_S5_lS6_T11_S5_li.has_dyn_sized_stack, 0
	.set _ZL29rocblas_internal_gemmt_kernelIiLi16ELi32ELi8ELc84ELc84ELc76ELb0ELb0E19rocblas_complex_numIfEPKS1_S3_PS1_EviT_T9_T10_S5_lS7_S5_lS6_T11_S5_li.has_recursion, 0
	.set _ZL29rocblas_internal_gemmt_kernelIiLi16ELi32ELi8ELc84ELc84ELc76ELb0ELb0E19rocblas_complex_numIfEPKS1_S3_PS1_EviT_T9_T10_S5_lS7_S5_lS6_T11_S5_li.has_indirect_call, 0
	.section	.AMDGPU.csdata,"",@progbits
; Kernel info:
; codeLenInByte = 2468
; TotalNumSgprs: 36
; NumVgprs: 52
; NumAgprs: 0
; TotalNumVgprs: 52
; ScratchSize: 0
; MemoryBound: 0
; FloatMode: 240
; IeeeMode: 1
; LDSByteSize: 4096 bytes/workgroup (compile time only)
; SGPRBlocks: 4
; VGPRBlocks: 6
; NumSGPRsForWavesPerEU: 36
; NumVGPRsForWavesPerEU: 52
; AccumOffset: 52
; Occupancy: 8
; WaveLimiterHint : 0
; COMPUTE_PGM_RSRC2:SCRATCH_EN: 0
; COMPUTE_PGM_RSRC2:USER_SGPR: 2
; COMPUTE_PGM_RSRC2:TRAP_HANDLER: 0
; COMPUTE_PGM_RSRC2:TGID_X_EN: 1
; COMPUTE_PGM_RSRC2:TGID_Y_EN: 1
; COMPUTE_PGM_RSRC2:TGID_Z_EN: 1
; COMPUTE_PGM_RSRC2:TIDIG_COMP_CNT: 1
; COMPUTE_PGM_RSRC3_GFX90A:ACCUM_OFFSET: 12
; COMPUTE_PGM_RSRC3_GFX90A:TG_SPLIT: 0
	.section	.text._ZL29rocblas_internal_gemmt_kernelIiLi16ELi32ELi8ELc84ELc67ELc76ELb0ELb1E19rocblas_complex_numIfEPKS1_S3_PS1_EviT_T9_T10_S5_lS7_S5_lS6_T11_S5_li,"axG",@progbits,_ZL29rocblas_internal_gemmt_kernelIiLi16ELi32ELi8ELc84ELc67ELc76ELb0ELb1E19rocblas_complex_numIfEPKS1_S3_PS1_EviT_T9_T10_S5_lS7_S5_lS6_T11_S5_li,comdat
	.globl	_ZL29rocblas_internal_gemmt_kernelIiLi16ELi32ELi8ELc84ELc67ELc76ELb0ELb1E19rocblas_complex_numIfEPKS1_S3_PS1_EviT_T9_T10_S5_lS7_S5_lS6_T11_S5_li ; -- Begin function _ZL29rocblas_internal_gemmt_kernelIiLi16ELi32ELi8ELc84ELc67ELc76ELb0ELb1E19rocblas_complex_numIfEPKS1_S3_PS1_EviT_T9_T10_S5_lS7_S5_lS6_T11_S5_li
	.p2align	8
	.type	_ZL29rocblas_internal_gemmt_kernelIiLi16ELi32ELi8ELc84ELc67ELc76ELb0ELb1E19rocblas_complex_numIfEPKS1_S3_PS1_EviT_T9_T10_S5_lS7_S5_lS6_T11_S5_li,@function
_ZL29rocblas_internal_gemmt_kernelIiLi16ELi32ELi8ELc84ELc67ELc76ELb0ELb1E19rocblas_complex_numIfEPKS1_S3_PS1_EviT_T9_T10_S5_lS7_S5_lS6_T11_S5_li: ; @_ZL29rocblas_internal_gemmt_kernelIiLi16ELi32ELi8ELc84ELc67ELc76ELb0ELb1E19rocblas_complex_numIfEPKS1_S3_PS1_EviT_T9_T10_S5_lS7_S5_lS6_T11_S5_li
; %bb.0:
	s_load_dwordx4 s[8:11], s[0:1], 0x38
	s_load_dwordx4 s[12:15], s[0:1], 0x8
	s_waitcnt lgkmcnt(0)
	s_load_dwordx2 s[6:7], s[10:11], 0x0
	s_load_dwordx2 s[22:23], s[0:1], 0x0
	;; [unrolled: 1-line block ×3, first 2 shown]
	s_waitcnt lgkmcnt(0)
	s_and_b32 s5, s7, 0x7fffffff
	s_cmp_eq_u32 s5, 0
	v_cmp_eq_f32_e64 s[12:13], s6, 1.0
	s_cselect_b64 s[10:11], -1, 0
	s_and_b64 s[12:13], s[12:13], s[10:11]
	s_and_b64 vcc, exec, s[12:13]
	s_cbranch_vccnz .LBB86_2
; %bb.1:
	s_mov_b64 s[12:13], -1
	s_cbranch_execz .LBB86_3
	s_branch .LBB86_4
.LBB86_2:
	s_mov_b64 s[12:13], 0
.LBB86_3:
	s_cmp_lg_u32 s23, 0
	v_cmp_neq_f32_e64 s[16:17], s20, 0
	v_cmp_neq_f32_e64 s[18:19], s21, 0
	s_cselect_b64 s[12:13], -1, 0
	s_or_b64 s[16:17], s[16:17], s[18:19]
	s_and_b64 s[12:13], s[12:13], s[16:17]
.LBB86_4:
	s_andn2_b64 vcc, exec, s[12:13]
	s_cbranch_vccnz .LBB86_30
; %bb.5:
	s_lshl_b32 s24, s2, 5
	s_lshl_b32 s5, s3, 5
	v_cmp_eq_f32_e64 s[2:3], s20, 0
	v_cmp_eq_f32_e64 s[16:17], s21, 0
	s_load_dwordx2 s[12:13], s[0:1], 0x48
	s_and_b64 s[2:3], s[2:3], s[16:17]
	s_cmp_lt_i32 s23, 1
	s_cselect_b64 s[16:17], -1, 0
	s_or_b64 s[2:3], s[2:3], s[16:17]
	v_and_b32_e32 v17, 0x3ff, v0
	v_bfe_u32 v15, v0, 10, 10
	s_mov_b32 s25, 0
	v_mov_b32_e32 v24, 0
	s_and_b64 vcc, exec, s[2:3]
	v_mov_b32_e32 v26, 0
	v_mov_b32_e32 v20, 0
	;; [unrolled: 1-line block ×7, first 2 shown]
	s_cbranch_vccnz .LBB86_14
; %bb.6:
	v_lshl_add_u32 v1, v15, 4, v17
	v_and_b32_e32 v3, 31, v1
	v_lshrrev_b32_e32 v21, 5, v1
	v_lshrrev_b32_e32 v2, 3, v1
	v_or_b32_e32 v1, s24, v3
	s_load_dword s28, s[0:1], 0x18
	s_load_dword s26, s[0:1], 0x30
	s_load_dwordx4 s[16:19], s[0:1], 0x20
	v_and_b32_e32 v19, 7, v17
	v_cmp_gt_i32_e32 vcc, s22, v1
	v_lshlrev_b32_e32 v1, 3, v3
	v_lshl_or_b32 v23, v21, 8, v1
	v_lshlrev_b32_e32 v1, 3, v19
	v_add_u32_e32 v0, s5, v2
	v_lshl_or_b32 v1, v2, 6, v1
	v_mov_b32_e32 v2, 0x800
	v_lshl_add_u32 v28, v15, 6, v2
	v_add_u32_e32 v2, s24, v3
	s_waitcnt lgkmcnt(0)
	v_mad_i64_i32 v[2:3], s[28:29], s28, v2, 0
	s_mul_i32 s17, s17, s4
	s_mul_hi_u32 s28, s16, s4
	s_add_i32 s17, s28, s17
	s_mul_i32 s16, s16, s4
	s_lshl_b64 s[16:17], s[16:17], 3
	v_lshl_add_u64 v[2:3], v[2:3], 3, s[16:17]
	v_lshlrev_b32_e32 v8, 3, v21
	v_mov_b32_e32 v9, 0
	v_lshl_add_u64 v[2:3], v[2:3], 0, v[8:9]
	v_lshl_add_u64 v[10:11], s[14:15], 0, v[2:3]
	s_mul_i32 s9, s9, s4
	s_mul_hi_u32 s14, s8, s4
	s_add_i32 s9, s14, s9
	v_mad_i64_i32 v[2:3], s[14:15], s26, v19, 0
	s_mul_i32 s8, s8, s4
	v_lshlrev_b64 v[2:3], 3, v[2:3]
	v_add_u32_e32 v25, 0x800, v1
	v_ashrrev_i32_e32 v1, 31, v0
	v_lshl_add_u64 v[2:3], s[8:9], 3, v[2:3]
	v_cmp_gt_i32_e64 s[2:3], s22, v0
	v_lshl_add_u64 v[0:1], v[0:1], 3, v[2:3]
	s_ashr_i32 s27, s26, 31
	v_lshl_add_u64 v[0:1], s[18:19], 0, v[0:1]
	v_lshlrev_b32_e32 v27, 3, v17
	v_lshl_add_u64 v[12:13], v[0:1], 0, 4
	s_lshl_b64 s[8:9], s[26:27], 6
	s_xor_b64 s[14:15], s[2:3], -1
	v_mov_b32_e32 v14, 0
	v_mov_b32_e32 v8, 0
	;; [unrolled: 1-line block ×8, first 2 shown]
	s_branch .LBB86_8
.LBB86_7:                               ;   in Loop: Header=BB86_8 Depth=1
	s_or_b64 exec, exec, s[2:3]
	ds_write_b32 v25, v0 offset:4
	s_waitcnt lgkmcnt(0)
	s_barrier
	ds_read2_b64 v[30:33], v27 offset1:16
	ds_read_b128 v[34:37], v28
	ds_read_b128 v[38:41], v28 offset:16
	ds_read_b128 v[4:7], v28 offset:32
	;; [unrolled: 1-line block ×3, first 2 shown]
	ds_read2_b64 v[50:53], v27 offset0:32 offset1:48
	s_waitcnt lgkmcnt(4)
	v_mul_f32_e32 v42, v34, v31
	v_fmac_f32_e32 v42, v35, v30
	v_add_f32_e32 v26, v26, v42
	ds_read_b128 v[42:45], v28 offset:1024
	ds_read_b128 v[46:49], v28 offset:1040
	v_mul_f32_e32 v29, v35, v31
	v_fma_f32 v29, v34, v30, -v29
	v_add_f32_e32 v24, v24, v29
	v_mul_f32_e32 v29, v35, v33
	v_fma_f32 v29, v34, v32, -v29
	v_add_f32_e32 v20, v20, v29
	s_waitcnt lgkmcnt(1)
	v_mul_f32_e32 v29, v43, v31
	v_mul_f32_e32 v31, v42, v31
	v_fma_f32 v29, v42, v30, -v29
	v_fmac_f32_e32 v31, v43, v30
	v_mul_f32_e32 v30, v42, v33
	v_fmac_f32_e32 v30, v43, v32
	v_add_f32_e32 v14, v14, v30
	v_mul_f32_e32 v30, v36, v51
	v_mul_f32_e32 v34, v34, v33
	v_fmac_f32_e32 v30, v37, v50
	v_fmac_f32_e32 v34, v35, v32
	v_add_f32_e32 v26, v26, v30
	v_mul_f32_e32 v30, v36, v53
	v_add_f32_e32 v22, v22, v34
	v_add_f32_e32 v16, v16, v29
	v_mul_f32_e32 v29, v43, v33
	v_fmac_f32_e32 v30, v37, v52
	v_fma_f32 v29, v42, v32, -v29
	v_add_f32_e32 v22, v22, v30
	v_mul_f32_e32 v30, v44, v51
	v_add_f32_e32 v18, v18, v31
	v_add_f32_e32 v8, v8, v29
	v_mul_f32_e32 v29, v37, v51
	v_fmac_f32_e32 v30, v45, v50
	v_fma_f32 v29, v36, v50, -v29
	v_add_f32_e32 v18, v18, v30
	ds_read2_b64 v[30:33], v27 offset0:64 offset1:80
	v_add_f32_e32 v24, v24, v29
	v_mul_f32_e32 v29, v37, v53
	v_fma_f32 v29, v36, v52, -v29
	v_add_f32_e32 v20, v20, v29
	v_mul_f32_e32 v29, v45, v51
	v_mul_f32_e32 v34, v44, v53
	v_fma_f32 v29, v44, v50, -v29
	v_fmac_f32_e32 v34, v45, v52
	v_add_f32_e32 v16, v16, v29
	v_mul_f32_e32 v29, v45, v53
	v_add_f32_e32 v14, v14, v34
	s_waitcnt lgkmcnt(0)
	v_mul_f32_e32 v34, v38, v31
	v_fma_f32 v29, v44, v52, -v29
	v_fmac_f32_e32 v34, v39, v30
	v_add_f32_e32 v8, v8, v29
	v_mul_f32_e32 v29, v39, v31
	v_add_f32_e32 v26, v26, v34
	v_mul_f32_e32 v34, v38, v33
	v_fma_f32 v29, v38, v30, -v29
	v_fmac_f32_e32 v34, v39, v32
	v_add_f32_e32 v24, v24, v29
	v_mul_f32_e32 v29, v39, v33
	v_add_f32_e32 v22, v22, v34
	ds_read2_b64 v[34:37], v27 offset0:96 offset1:112
	v_fma_f32 v29, v38, v32, -v29
	v_add_f32_e32 v20, v20, v29
	v_mul_f32_e32 v29, v47, v31
	v_mul_f32_e32 v31, v46, v31
	v_fma_f32 v29, v46, v30, -v29
	v_fmac_f32_e32 v31, v47, v30
	v_mul_f32_e32 v30, v46, v33
	v_fmac_f32_e32 v30, v47, v32
	v_add_f32_e32 v14, v14, v30
	s_waitcnt lgkmcnt(0)
	v_mul_f32_e32 v30, v40, v35
	v_fmac_f32_e32 v30, v41, v34
	v_add_f32_e32 v16, v16, v29
	v_mul_f32_e32 v29, v47, v33
	v_add_f32_e32 v26, v26, v30
	v_mul_f32_e32 v30, v40, v37
	v_fma_f32 v29, v46, v32, -v29
	v_fmac_f32_e32 v30, v41, v36
	v_add_f32_e32 v8, v8, v29
	v_mul_f32_e32 v29, v41, v35
	v_add_f32_e32 v22, v22, v30
	v_mul_f32_e32 v30, v48, v35
	v_add_f32_e32 v18, v18, v31
	v_fma_f32 v29, v40, v34, -v29
	v_fmac_f32_e32 v30, v49, v34
	v_add_f32_e32 v24, v24, v29
	v_mul_f32_e32 v29, v41, v37
	v_add_f32_e32 v18, v18, v30
	ds_read2_b64 v[30:33], v27 offset0:128 offset1:144
	v_fma_f32 v29, v40, v36, -v29
	v_add_f32_e32 v20, v20, v29
	v_mul_f32_e32 v29, v49, v35
	v_fma_f32 v29, v48, v34, -v29
	v_mul_f32_e32 v34, v48, v37
	v_fmac_f32_e32 v34, v49, v36
	v_add_f32_e32 v14, v14, v34
	s_waitcnt lgkmcnt(0)
	v_mul_f32_e32 v34, v4, v31
	v_add_f32_e32 v16, v16, v29
	v_mul_f32_e32 v29, v49, v37
	v_fmac_f32_e32 v34, v5, v30
	v_fma_f32 v29, v48, v36, -v29
	v_add_f32_e32 v26, v26, v34
	ds_read_b128 v[34:37], v28 offset:1056
	ds_read_b128 v[38:41], v28 offset:1072
	v_add_f32_e32 v8, v8, v29
	v_mul_f32_e32 v29, v5, v31
	v_fma_f32 v29, v4, v30, -v29
	v_add_f32_e32 v24, v24, v29
	v_mul_f32_e32 v29, v5, v33
	v_fma_f32 v29, v4, v32, -v29
	v_mul_f32_e32 v4, v4, v33
	ds_read2_b64 v[42:45], v27 offset0:160 offset1:176
	v_fmac_f32_e32 v4, v5, v32
	v_add_f32_e32 v5, v20, v29
	s_waitcnt lgkmcnt(2)
	v_mul_f32_e32 v20, v35, v31
	v_fma_f32 v20, v34, v30, -v20
	v_add_f32_e32 v16, v16, v20
	v_mul_f32_e32 v20, v35, v33
	v_add_f32_e32 v4, v22, v4
	v_mul_f32_e32 v22, v34, v31
	v_fma_f32 v20, v34, v32, -v20
	v_fmac_f32_e32 v22, v35, v30
	v_add_f32_e32 v8, v8, v20
	s_waitcnt lgkmcnt(0)
	v_mul_f32_e32 v20, v7, v43
	v_add_f32_e32 v18, v18, v22
	v_mul_f32_e32 v22, v34, v33
	v_fma_f32 v20, v6, v42, -v20
	v_fmac_f32_e32 v22, v35, v32
	v_add_f32_e32 v20, v24, v20
	v_mul_f32_e32 v24, v7, v45
	v_add_f32_e32 v14, v14, v22
	v_mul_f32_e32 v22, v6, v43
	v_fma_f32 v24, v6, v44, -v24
	v_mul_f32_e32 v6, v6, v45
	v_fmac_f32_e32 v22, v7, v42
	v_fmac_f32_e32 v6, v7, v44
	v_add_f32_e32 v22, v26, v22
	v_add_f32_e32 v26, v4, v6
	v_mul_f32_e32 v4, v37, v43
	v_add_f32_e32 v24, v5, v24
	v_fma_f32 v4, v36, v42, -v4
	v_mul_f32_e32 v5, v36, v43
	v_fmac_f32_e32 v5, v37, v42
	v_add_f32_e32 v16, v16, v4
	v_mul_f32_e32 v4, v37, v45
	v_add_f32_e32 v18, v18, v5
	v_fma_f32 v29, v36, v44, -v4
	ds_read2_b64 v[4:7], v27 offset0:192 offset1:208
	v_mul_f32_e32 v30, v36, v45
	v_fmac_f32_e32 v30, v37, v44
	v_add_f32_e32 v8, v8, v29
	v_add_f32_e32 v14, v14, v30
	s_waitcnt lgkmcnt(0)
	v_mul_f32_e32 v29, v1, v5
	v_fma_f32 v29, v0, v4, -v29
	v_mul_f32_e32 v30, v0, v5
	v_fmac_f32_e32 v30, v1, v4
	v_add_f32_e32 v20, v20, v29
	v_mul_f32_e32 v29, v1, v7
	v_add_f32_e32 v22, v22, v30
	v_fma_f32 v29, v0, v6, -v29
	v_mul_f32_e32 v0, v0, v7
	ds_read2_b64 v[30:33], v27 offset0:224 offset1:240
	v_fmac_f32_e32 v0, v1, v6
	v_add_f32_e32 v1, v24, v29
	v_mul_f32_e32 v24, v39, v5
	v_fma_f32 v24, v38, v4, -v24
	v_mul_f32_e32 v5, v38, v5
	v_fmac_f32_e32 v5, v39, v4
	v_add_f32_e32 v4, v16, v24
	v_mul_f32_e32 v16, v39, v7
	v_fma_f32 v16, v38, v6, -v16
	v_mul_f32_e32 v7, v38, v7
	v_fmac_f32_e32 v7, v39, v6
	v_add_f32_e32 v6, v8, v16
	s_waitcnt lgkmcnt(0)
	v_mul_f32_e32 v8, v3, v31
	v_fma_f32 v8, v2, v30, -v8
	v_add_f32_e32 v24, v20, v8
	v_mul_f32_e32 v8, v3, v33
	v_add_f32_e32 v7, v14, v7
	v_mul_f32_e32 v14, v2, v31
	v_fma_f32 v8, v2, v32, -v8
	v_mul_f32_e32 v2, v2, v33
	v_add_f32_e32 v0, v26, v0
	v_fmac_f32_e32 v14, v3, v30
	v_fmac_f32_e32 v2, v3, v32
	v_add_f32_e32 v26, v22, v14
	v_add_f32_e32 v20, v1, v8
	;; [unrolled: 1-line block ×3, first 2 shown]
	v_mul_f32_e32 v0, v41, v31
	v_mul_f32_e32 v1, v40, v31
	v_add_f32_e32 v5, v18, v5
	v_fma_f32 v0, v40, v30, -v0
	v_fmac_f32_e32 v1, v41, v30
	v_add_f32_e32 v16, v4, v0
	v_add_f32_e32 v18, v5, v1
	v_mul_f32_e32 v0, v41, v33
	v_mul_f32_e32 v1, v40, v33
	v_fma_f32 v0, v40, v32, -v0
	v_fmac_f32_e32 v1, v41, v32
	s_add_i32 s25, s25, 8
	v_add_f32_e32 v8, v6, v0
	v_add_f32_e32 v14, v7, v1
	v_lshl_add_u64 v[10:11], v[10:11], 0, 64
	s_cmp_lt_i32 s25, s23
	v_lshl_add_u64 v[12:13], v[12:13], 0, s[8:9]
	s_barrier
	s_cbranch_scc0 .LBB86_14
.LBB86_8:                               ; =>This Inner Loop Header: Depth=1
	v_add_u32_e32 v0, s25, v21
	v_cmp_gt_i32_e64 s[2:3], s23, v0
	s_and_b64 s[16:17], vcc, s[2:3]
	v_mov_b32_e32 v0, 0
	v_mov_b32_e32 v1, 0
	s_and_saveexec_b64 s[2:3], s[16:17]
	s_cbranch_execz .LBB86_10
; %bb.9:                                ;   in Loop: Header=BB86_8 Depth=1
	global_load_dwordx2 v[0:1], v[10:11], off
.LBB86_10:                              ;   in Loop: Header=BB86_8 Depth=1
	s_or_b64 exec, exec, s[2:3]
	s_waitcnt vmcnt(0)
	ds_write_b64 v23, v[0:1]
	v_add_u32_e32 v0, s25, v19
	v_cmp_le_i32_e64 s[2:3], s23, v0
	s_or_b64 s[2:3], s[2:3], s[14:15]
	s_and_saveexec_b64 s[16:17], s[2:3]
	s_xor_b64 s[2:3], exec, s[16:17]
; %bb.11:                               ;   in Loop: Header=BB86_8 Depth=1
	ds_write_b32 v25, v9
; %bb.12:                               ;   in Loop: Header=BB86_8 Depth=1
	s_or_saveexec_b64 s[2:3], s[2:3]
	v_mov_b32_e32 v0, 0
	s_xor_b64 exec, exec, s[2:3]
	s_cbranch_execz .LBB86_7
; %bb.13:                               ;   in Loop: Header=BB86_8 Depth=1
	global_load_dwordx2 v[2:3], v[12:13], off offset:-4
	s_waitcnt vmcnt(0)
	v_xor_b32_e32 v0, 0x80000000, v3
	ds_write_b32 v25, v2
	s_branch .LBB86_7
.LBB86_14:
	s_load_dwordx2 s[2:3], s[0:1], 0x58
	s_load_dword s14, s[0:1], 0x50
	v_add_u32_e32 v9, s5, v15
	v_add_u32_e32 v0, s24, v17
	v_cmp_le_i32_e32 vcc, v9, v0
	s_waitcnt lgkmcnt(0)
	s_mul_i32 s1, s3, s4
	s_mul_hi_u32 s3, s2, s4
	s_mul_i32 s0, s2, s4
	s_add_i32 s1, s3, s1
	s_lshl_b64 s[0:1], s[0:1], 3
	s_add_u32 s8, s12, s0
	s_addc_u32 s9, s13, s1
	v_cmp_neq_f32_e64 s[0:1], s6, 0
	s_xor_b64 s[4:5], s[10:11], -1
	v_mad_i64_i32 v[2:3], s[2:3], v9, s14, 0
	s_or_b64 s[0:1], s[0:1], s[4:5]
	v_lshl_add_u64 v[4:5], v[2:3], 3, s[8:9]
	v_cmp_gt_i32_e64 s[2:3], s22, v0
	v_cndmask_b32_e64 v2, 0, 1, s[0:1]
	s_and_b64 s[10:11], vcc, s[2:3]
	v_ashrrev_i32_e32 v1, 31, v0
	v_cmp_ne_u32_e64 s[0:1], 1, v2
	s_and_saveexec_b64 s[4:5], s[10:11]
	s_cbranch_execz .LBB86_18
; %bb.15:
	v_pk_mul_f32 v[6:7], v[26:27], s[20:21] op_sel:[0,1] op_sel_hi:[0,0]
	v_pk_fma_f32 v[2:3], v[24:25], s[20:21], v[6:7] op_sel_hi:[0,1,1] neg_lo:[0,0,1] neg_hi:[0,0,1]
	v_pk_fma_f32 v[10:11], v[24:25], s[20:21], v[6:7] op_sel_hi:[0,1,1]
	s_and_b64 vcc, exec, s[0:1]
	v_lshl_add_u64 v[6:7], v[0:1], 3, v[4:5]
	s_cbranch_vccnz .LBB86_17
; %bb.16:
	global_load_dwordx2 v[12:13], v[6:7], off
	s_mov_b32 s10, s7
	v_mov_b32_e32 v3, v11
	s_waitcnt vmcnt(0)
	v_pk_mul_f32 v[10:11], v[12:13], s[10:11] op_sel:[1,0] op_sel_hi:[0,0]
	v_pk_fma_f32 v[24:25], v[12:13], s[6:7], v[10:11] neg_lo:[0,0,1] neg_hi:[0,0,1]
	v_pk_fma_f32 v[10:11], v[12:13], s[6:7], v[10:11] op_sel_hi:[1,0,1]
	s_nop 0
	v_mov_b32_e32 v25, v11
	v_pk_add_f32 v[2:3], v[2:3], v[24:25]
	s_nop 0
	v_mov_b32_e32 v11, v3
.LBB86_17:
	v_mov_b32_e32 v3, v11
	global_store_dwordx2 v[6:7], v[2:3], off
.LBB86_18:
	s_or_b64 exec, exec, s[4:5]
	v_add_u32_e32 v2, 16, v0
	v_cmp_le_i32_e32 vcc, v9, v2
	v_cmp_gt_i32_e64 s[4:5], s22, v2
	s_and_b64 s[12:13], vcc, s[4:5]
	v_ashrrev_i32_e32 v3, 31, v2
	s_and_saveexec_b64 s[10:11], s[12:13]
	s_cbranch_execz .LBB86_22
; %bb.19:
	v_pk_mul_f32 v[10:11], v[22:23], s[20:21] op_sel:[0,1] op_sel_hi:[0,0]
	v_pk_fma_f32 v[6:7], v[20:21], s[20:21], v[10:11] op_sel_hi:[0,1,1] neg_lo:[0,0,1] neg_hi:[0,0,1]
	v_pk_fma_f32 v[10:11], v[20:21], s[20:21], v[10:11] op_sel_hi:[0,1,1]
	s_and_b64 vcc, exec, s[0:1]
	v_lshl_add_u64 v[4:5], v[2:3], 3, v[4:5]
	s_cbranch_vccnz .LBB86_21
; %bb.20:
	global_load_dwordx2 v[12:13], v[4:5], off
	s_mov_b32 s12, s7
	v_mov_b32_e32 v7, v11
	s_waitcnt vmcnt(0)
	v_pk_mul_f32 v[10:11], v[12:13], s[12:13] op_sel:[1,0] op_sel_hi:[0,0]
	v_pk_fma_f32 v[20:21], v[12:13], s[6:7], v[10:11] neg_lo:[0,0,1] neg_hi:[0,0,1]
	v_pk_fma_f32 v[10:11], v[12:13], s[6:7], v[10:11] op_sel_hi:[1,0,1]
	s_nop 0
	v_mov_b32_e32 v21, v11
	v_pk_add_f32 v[6:7], v[6:7], v[20:21]
	s_nop 0
	v_mov_b32_e32 v11, v7
.LBB86_21:
	v_mov_b32_e32 v7, v11
	global_store_dwordx2 v[4:5], v[6:7], off
.LBB86_22:
	s_or_b64 exec, exec, s[10:11]
	v_add_u32_e32 v9, 16, v9
	v_mad_i64_i32 v[4:5], s[10:11], v9, s14, 0
	v_cmp_le_i32_e32 vcc, v9, v0
	v_lshl_add_u64 v[4:5], v[4:5], 3, s[8:9]
	s_and_b64 s[8:9], vcc, s[2:3]
	s_and_saveexec_b64 s[2:3], s[8:9]
	s_cbranch_execz .LBB86_26
; %bb.23:
	v_pk_mul_f32 v[10:11], v[18:19], s[20:21] op_sel:[0,1] op_sel_hi:[0,0]
	v_pk_fma_f32 v[6:7], v[16:17], s[20:21], v[10:11] op_sel_hi:[0,1,1] neg_lo:[0,0,1] neg_hi:[0,0,1]
	v_pk_fma_f32 v[10:11], v[16:17], s[20:21], v[10:11] op_sel_hi:[0,1,1]
	s_and_b64 vcc, exec, s[0:1]
	v_lshl_add_u64 v[0:1], v[0:1], 3, v[4:5]
	s_cbranch_vccnz .LBB86_25
; %bb.24:
	global_load_dwordx2 v[12:13], v[0:1], off
	s_mov_b32 s8, s7
	v_mov_b32_e32 v7, v11
	s_waitcnt vmcnt(0)
	v_pk_mul_f32 v[10:11], v[12:13], s[8:9] op_sel:[1,0] op_sel_hi:[0,0]
	v_pk_fma_f32 v[16:17], v[12:13], s[6:7], v[10:11] neg_lo:[0,0,1] neg_hi:[0,0,1]
	v_pk_fma_f32 v[10:11], v[12:13], s[6:7], v[10:11] op_sel_hi:[1,0,1]
	s_nop 0
	v_mov_b32_e32 v17, v11
	v_pk_add_f32 v[6:7], v[6:7], v[16:17]
	s_nop 0
	v_mov_b32_e32 v11, v7
.LBB86_25:
	v_mov_b32_e32 v7, v11
	global_store_dwordx2 v[0:1], v[6:7], off
.LBB86_26:
	s_or_b64 exec, exec, s[2:3]
	v_cmp_le_i32_e32 vcc, v9, v2
	s_and_b64 s[2:3], vcc, s[4:5]
	s_and_saveexec_b64 s[4:5], s[2:3]
	s_cbranch_execz .LBB86_30
; %bb.27:
	v_pk_mul_f32 v[6:7], v[14:15], s[20:21] op_sel:[0,1] op_sel_hi:[0,0]
	v_pk_fma_f32 v[0:1], v[8:9], s[20:21], v[6:7] op_sel_hi:[0,1,1] neg_lo:[0,0,1] neg_hi:[0,0,1]
	v_pk_fma_f32 v[6:7], v[8:9], s[20:21], v[6:7] op_sel_hi:[0,1,1]
	s_and_b64 vcc, exec, s[0:1]
	v_lshl_add_u64 v[2:3], v[2:3], 3, v[4:5]
	s_cbranch_vccnz .LBB86_29
; %bb.28:
	global_load_dwordx2 v[4:5], v[2:3], off
	s_mov_b32 s0, s7
	v_mov_b32_e32 v1, v7
	s_waitcnt vmcnt(0)
	v_pk_mul_f32 v[6:7], v[4:5], s[0:1] op_sel:[1,0] op_sel_hi:[0,0]
	v_pk_fma_f32 v[8:9], v[4:5], s[6:7], v[6:7] neg_lo:[0,0,1] neg_hi:[0,0,1]
	v_pk_fma_f32 v[4:5], v[4:5], s[6:7], v[6:7] op_sel_hi:[1,0,1]
	s_nop 0
	v_mov_b32_e32 v9, v5
	v_pk_add_f32 v[0:1], v[0:1], v[8:9]
	s_nop 0
	v_mov_b32_e32 v7, v1
.LBB86_29:
	v_mov_b32_e32 v1, v7
	global_store_dwordx2 v[2:3], v[0:1], off
.LBB86_30:
	s_endpgm
	.section	.rodata,"a",@progbits
	.p2align	6, 0x0
	.amdhsa_kernel _ZL29rocblas_internal_gemmt_kernelIiLi16ELi32ELi8ELc84ELc67ELc76ELb0ELb1E19rocblas_complex_numIfEPKS1_S3_PS1_EviT_T9_T10_S5_lS7_S5_lS6_T11_S5_li
		.amdhsa_group_segment_fixed_size 4096
		.amdhsa_private_segment_fixed_size 0
		.amdhsa_kernarg_size 100
		.amdhsa_user_sgpr_count 2
		.amdhsa_user_sgpr_dispatch_ptr 0
		.amdhsa_user_sgpr_queue_ptr 0
		.amdhsa_user_sgpr_kernarg_segment_ptr 1
		.amdhsa_user_sgpr_dispatch_id 0
		.amdhsa_user_sgpr_kernarg_preload_length 0
		.amdhsa_user_sgpr_kernarg_preload_offset 0
		.amdhsa_user_sgpr_private_segment_size 0
		.amdhsa_uses_dynamic_stack 0
		.amdhsa_enable_private_segment 0
		.amdhsa_system_sgpr_workgroup_id_x 1
		.amdhsa_system_sgpr_workgroup_id_y 1
		.amdhsa_system_sgpr_workgroup_id_z 1
		.amdhsa_system_sgpr_workgroup_info 0
		.amdhsa_system_vgpr_workitem_id 1
		.amdhsa_next_free_vgpr 54
		.amdhsa_next_free_sgpr 30
		.amdhsa_accum_offset 56
		.amdhsa_reserve_vcc 1
		.amdhsa_float_round_mode_32 0
		.amdhsa_float_round_mode_16_64 0
		.amdhsa_float_denorm_mode_32 3
		.amdhsa_float_denorm_mode_16_64 3
		.amdhsa_dx10_clamp 1
		.amdhsa_ieee_mode 1
		.amdhsa_fp16_overflow 0
		.amdhsa_tg_split 0
		.amdhsa_exception_fp_ieee_invalid_op 0
		.amdhsa_exception_fp_denorm_src 0
		.amdhsa_exception_fp_ieee_div_zero 0
		.amdhsa_exception_fp_ieee_overflow 0
		.amdhsa_exception_fp_ieee_underflow 0
		.amdhsa_exception_fp_ieee_inexact 0
		.amdhsa_exception_int_div_zero 0
	.end_amdhsa_kernel
	.section	.text._ZL29rocblas_internal_gemmt_kernelIiLi16ELi32ELi8ELc84ELc67ELc76ELb0ELb1E19rocblas_complex_numIfEPKS1_S3_PS1_EviT_T9_T10_S5_lS7_S5_lS6_T11_S5_li,"axG",@progbits,_ZL29rocblas_internal_gemmt_kernelIiLi16ELi32ELi8ELc84ELc67ELc76ELb0ELb1E19rocblas_complex_numIfEPKS1_S3_PS1_EviT_T9_T10_S5_lS7_S5_lS6_T11_S5_li,comdat
.Lfunc_end86:
	.size	_ZL29rocblas_internal_gemmt_kernelIiLi16ELi32ELi8ELc84ELc67ELc76ELb0ELb1E19rocblas_complex_numIfEPKS1_S3_PS1_EviT_T9_T10_S5_lS7_S5_lS6_T11_S5_li, .Lfunc_end86-_ZL29rocblas_internal_gemmt_kernelIiLi16ELi32ELi8ELc84ELc67ELc76ELb0ELb1E19rocblas_complex_numIfEPKS1_S3_PS1_EviT_T9_T10_S5_lS7_S5_lS6_T11_S5_li
                                        ; -- End function
	.set _ZL29rocblas_internal_gemmt_kernelIiLi16ELi32ELi8ELc84ELc67ELc76ELb0ELb1E19rocblas_complex_numIfEPKS1_S3_PS1_EviT_T9_T10_S5_lS7_S5_lS6_T11_S5_li.num_vgpr, 54
	.set _ZL29rocblas_internal_gemmt_kernelIiLi16ELi32ELi8ELc84ELc67ELc76ELb0ELb1E19rocblas_complex_numIfEPKS1_S3_PS1_EviT_T9_T10_S5_lS7_S5_lS6_T11_S5_li.num_agpr, 0
	.set _ZL29rocblas_internal_gemmt_kernelIiLi16ELi32ELi8ELc84ELc67ELc76ELb0ELb1E19rocblas_complex_numIfEPKS1_S3_PS1_EviT_T9_T10_S5_lS7_S5_lS6_T11_S5_li.numbered_sgpr, 30
	.set _ZL29rocblas_internal_gemmt_kernelIiLi16ELi32ELi8ELc84ELc67ELc76ELb0ELb1E19rocblas_complex_numIfEPKS1_S3_PS1_EviT_T9_T10_S5_lS7_S5_lS6_T11_S5_li.num_named_barrier, 0
	.set _ZL29rocblas_internal_gemmt_kernelIiLi16ELi32ELi8ELc84ELc67ELc76ELb0ELb1E19rocblas_complex_numIfEPKS1_S3_PS1_EviT_T9_T10_S5_lS7_S5_lS6_T11_S5_li.private_seg_size, 0
	.set _ZL29rocblas_internal_gemmt_kernelIiLi16ELi32ELi8ELc84ELc67ELc76ELb0ELb1E19rocblas_complex_numIfEPKS1_S3_PS1_EviT_T9_T10_S5_lS7_S5_lS6_T11_S5_li.uses_vcc, 1
	.set _ZL29rocblas_internal_gemmt_kernelIiLi16ELi32ELi8ELc84ELc67ELc76ELb0ELb1E19rocblas_complex_numIfEPKS1_S3_PS1_EviT_T9_T10_S5_lS7_S5_lS6_T11_S5_li.uses_flat_scratch, 0
	.set _ZL29rocblas_internal_gemmt_kernelIiLi16ELi32ELi8ELc84ELc67ELc76ELb0ELb1E19rocblas_complex_numIfEPKS1_S3_PS1_EviT_T9_T10_S5_lS7_S5_lS6_T11_S5_li.has_dyn_sized_stack, 0
	.set _ZL29rocblas_internal_gemmt_kernelIiLi16ELi32ELi8ELc84ELc67ELc76ELb0ELb1E19rocblas_complex_numIfEPKS1_S3_PS1_EviT_T9_T10_S5_lS7_S5_lS6_T11_S5_li.has_recursion, 0
	.set _ZL29rocblas_internal_gemmt_kernelIiLi16ELi32ELi8ELc84ELc67ELc76ELb0ELb1E19rocblas_complex_numIfEPKS1_S3_PS1_EviT_T9_T10_S5_lS7_S5_lS6_T11_S5_li.has_indirect_call, 0
	.section	.AMDGPU.csdata,"",@progbits
; Kernel info:
; codeLenInByte = 2512
; TotalNumSgprs: 36
; NumVgprs: 54
; NumAgprs: 0
; TotalNumVgprs: 54
; ScratchSize: 0
; MemoryBound: 0
; FloatMode: 240
; IeeeMode: 1
; LDSByteSize: 4096 bytes/workgroup (compile time only)
; SGPRBlocks: 4
; VGPRBlocks: 6
; NumSGPRsForWavesPerEU: 36
; NumVGPRsForWavesPerEU: 54
; AccumOffset: 56
; Occupancy: 8
; WaveLimiterHint : 0
; COMPUTE_PGM_RSRC2:SCRATCH_EN: 0
; COMPUTE_PGM_RSRC2:USER_SGPR: 2
; COMPUTE_PGM_RSRC2:TRAP_HANDLER: 0
; COMPUTE_PGM_RSRC2:TGID_X_EN: 1
; COMPUTE_PGM_RSRC2:TGID_Y_EN: 1
; COMPUTE_PGM_RSRC2:TGID_Z_EN: 1
; COMPUTE_PGM_RSRC2:TIDIG_COMP_CNT: 1
; COMPUTE_PGM_RSRC3_GFX90A:ACCUM_OFFSET: 13
; COMPUTE_PGM_RSRC3_GFX90A:TG_SPLIT: 0
	.section	.text._ZL29rocblas_internal_gemmt_kernelIiLi16ELi32ELi8ELc67ELc78ELc76ELb1ELb0E19rocblas_complex_numIfEPKS1_S3_PS1_EviT_T9_T10_S5_lS7_S5_lS6_T11_S5_li,"axG",@progbits,_ZL29rocblas_internal_gemmt_kernelIiLi16ELi32ELi8ELc67ELc78ELc76ELb1ELb0E19rocblas_complex_numIfEPKS1_S3_PS1_EviT_T9_T10_S5_lS7_S5_lS6_T11_S5_li,comdat
	.globl	_ZL29rocblas_internal_gemmt_kernelIiLi16ELi32ELi8ELc67ELc78ELc76ELb1ELb0E19rocblas_complex_numIfEPKS1_S3_PS1_EviT_T9_T10_S5_lS7_S5_lS6_T11_S5_li ; -- Begin function _ZL29rocblas_internal_gemmt_kernelIiLi16ELi32ELi8ELc67ELc78ELc76ELb1ELb0E19rocblas_complex_numIfEPKS1_S3_PS1_EviT_T9_T10_S5_lS7_S5_lS6_T11_S5_li
	.p2align	8
	.type	_ZL29rocblas_internal_gemmt_kernelIiLi16ELi32ELi8ELc67ELc78ELc76ELb1ELb0E19rocblas_complex_numIfEPKS1_S3_PS1_EviT_T9_T10_S5_lS7_S5_lS6_T11_S5_li,@function
_ZL29rocblas_internal_gemmt_kernelIiLi16ELi32ELi8ELc67ELc78ELc76ELb1ELb0E19rocblas_complex_numIfEPKS1_S3_PS1_EviT_T9_T10_S5_lS7_S5_lS6_T11_S5_li: ; @_ZL29rocblas_internal_gemmt_kernelIiLi16ELi32ELi8ELc67ELc78ELc76ELb1ELb0E19rocblas_complex_numIfEPKS1_S3_PS1_EviT_T9_T10_S5_lS7_S5_lS6_T11_S5_li
; %bb.0:
	s_load_dwordx4 s[8:11], s[0:1], 0x38
	s_load_dwordx4 s[12:15], s[0:1], 0x8
	s_waitcnt lgkmcnt(0)
	s_load_dwordx2 s[6:7], s[10:11], 0x0
	s_load_dwordx2 s[22:23], s[0:1], 0x0
	;; [unrolled: 1-line block ×3, first 2 shown]
	s_waitcnt lgkmcnt(0)
	s_and_b32 s5, s7, 0x7fffffff
	s_cmp_eq_u32 s5, 0
	v_cmp_eq_f32_e64 s[12:13], s6, 1.0
	s_cselect_b64 s[10:11], -1, 0
	s_and_b64 s[12:13], s[12:13], s[10:11]
	s_and_b64 vcc, exec, s[12:13]
	s_cbranch_vccnz .LBB87_2
; %bb.1:
	s_mov_b64 s[12:13], -1
	s_cbranch_execz .LBB87_3
	s_branch .LBB87_4
.LBB87_2:
	s_mov_b64 s[12:13], 0
.LBB87_3:
	s_cmp_lg_u32 s23, 0
	v_cmp_neq_f32_e64 s[16:17], s20, 0
	v_cmp_neq_f32_e64 s[18:19], s21, 0
	s_cselect_b64 s[12:13], -1, 0
	s_or_b64 s[16:17], s[16:17], s[18:19]
	s_and_b64 s[12:13], s[12:13], s[16:17]
.LBB87_4:
	s_andn2_b64 vcc, exec, s[12:13]
	s_cbranch_vccnz .LBB87_30
; %bb.5:
	s_lshl_b32 s24, s2, 5
	s_lshl_b32 s5, s3, 5
	v_cmp_eq_f32_e64 s[2:3], s20, 0
	v_cmp_eq_f32_e64 s[16:17], s21, 0
	s_load_dwordx2 s[12:13], s[0:1], 0x48
	s_and_b64 s[2:3], s[2:3], s[16:17]
	s_cmp_lt_i32 s23, 1
	s_cselect_b64 s[16:17], -1, 0
	s_or_b64 s[2:3], s[2:3], s[16:17]
	v_and_b32_e32 v17, 0x3ff, v0
	v_bfe_u32 v15, v0, 10, 10
	s_mov_b32 s25, 0
	v_mov_b32_e32 v24, 0
	s_and_b64 vcc, exec, s[2:3]
	v_mov_b32_e32 v26, 0
	v_mov_b32_e32 v20, 0
	;; [unrolled: 1-line block ×7, first 2 shown]
	s_cbranch_vccnz .LBB87_14
; %bb.6:
	v_lshl_add_u32 v0, v15, 4, v17
	v_and_b32_e32 v2, 31, v0
	v_lshrrev_b32_e32 v21, 5, v0
	v_lshrrev_b32_e32 v1, 3, v0
	v_or_b32_e32 v0, s24, v2
	v_and_b32_e32 v19, 7, v17
	v_cmp_gt_i32_e64 s[2:3], s22, v0
	v_lshlrev_b32_e32 v0, 3, v2
	v_lshl_or_b32 v23, v21, 8, v0
	v_lshlrev_b32_e32 v0, 3, v19
	s_load_dword s26, s[0:1], 0x18
	s_load_dwordx4 s[16:19], s[0:1], 0x20
	s_load_dword s28, s[0:1], 0x30
	v_add_u32_e32 v4, s5, v1
	v_lshl_or_b32 v1, v1, 6, v0
	v_add_u32_e32 v25, 0x800, v1
	v_mov_b32_e32 v1, 0x800
	v_lshl_add_u32 v28, v15, 6, v1
	v_add_u32_e32 v1, s24, v2
	s_waitcnt lgkmcnt(0)
	v_mad_i64_i32 v[2:3], s[26:27], s26, v1, 0
	s_mul_i32 s17, s17, s4
	s_mul_hi_u32 s26, s16, s4
	s_add_i32 s17, s26, s17
	s_mul_i32 s16, s16, s4
	s_lshl_b64 s[16:17], s[16:17], 3
	v_lshl_add_u64 v[2:3], v[2:3], 3, s[16:17]
	v_lshlrev_b32_e32 v8, 3, v21
	v_mov_b32_e32 v9, 0
	v_lshl_add_u64 v[2:3], v[2:3], 0, v[8:9]
	v_lshl_add_u64 v[2:3], s[14:15], 0, v[2:3]
	;; [unrolled: 1-line block ×3, first 2 shown]
	v_mad_i64_i32 v[2:3], s[14:15], s28, v4, 0
	s_mul_i32 s9, s9, s4
	s_mul_hi_u32 s14, s8, s4
	s_add_i32 s9, s14, s9
	s_mul_i32 s8, s8, s4
	s_lshl_b64 s[8:9], s[8:9], 3
	v_lshl_add_u64 v[2:3], v[2:3], 3, s[8:9]
	v_mov_b32_e32 v1, v9
	v_lshl_add_u64 v[0:1], v[2:3], 0, v[0:1]
	v_cmp_gt_i32_e32 vcc, s22, v4
	v_lshlrev_b32_e32 v27, 3, v17
	v_lshl_add_u64 v[12:13], s[18:19], 0, v[0:1]
	s_xor_b64 s[8:9], s[2:3], -1
	v_mov_b32_e32 v14, 0
	v_mov_b32_e32 v8, 0
	;; [unrolled: 1-line block ×8, first 2 shown]
	s_branch .LBB87_8
.LBB87_7:                               ;   in Loop: Header=BB87_8 Depth=1
	s_or_b64 exec, exec, s[2:3]
	s_waitcnt vmcnt(0)
	ds_write_b64 v25, v[2:3]
	s_waitcnt lgkmcnt(0)
	s_barrier
	ds_read2_b64 v[30:33], v27 offset1:16
	ds_read_b128 v[34:37], v28
	ds_read_b128 v[38:41], v28 offset:16
	ds_read_b128 v[4:7], v28 offset:32
	;; [unrolled: 1-line block ×3, first 2 shown]
	ds_read2_b64 v[50:53], v27 offset0:32 offset1:48
	s_waitcnt lgkmcnt(4)
	v_mul_f32_e32 v42, v34, v31
	v_fmac_f32_e32 v42, v35, v30
	v_add_f32_e32 v26, v26, v42
	ds_read_b128 v[42:45], v28 offset:1024
	ds_read_b128 v[46:49], v28 offset:1040
	v_mul_f32_e32 v29, v35, v31
	v_fma_f32 v29, v34, v30, -v29
	v_add_f32_e32 v24, v24, v29
	v_mul_f32_e32 v29, v35, v33
	v_fma_f32 v29, v34, v32, -v29
	v_add_f32_e32 v20, v20, v29
	s_waitcnt lgkmcnt(1)
	v_mul_f32_e32 v29, v43, v31
	v_mul_f32_e32 v31, v42, v31
	v_fma_f32 v29, v42, v30, -v29
	v_fmac_f32_e32 v31, v43, v30
	v_mul_f32_e32 v30, v42, v33
	v_fmac_f32_e32 v30, v43, v32
	v_add_f32_e32 v14, v14, v30
	v_mul_f32_e32 v30, v36, v51
	v_mul_f32_e32 v34, v34, v33
	v_fmac_f32_e32 v30, v37, v50
	v_fmac_f32_e32 v34, v35, v32
	v_add_f32_e32 v26, v26, v30
	v_mul_f32_e32 v30, v36, v53
	v_add_f32_e32 v22, v22, v34
	v_add_f32_e32 v16, v16, v29
	v_mul_f32_e32 v29, v43, v33
	v_fmac_f32_e32 v30, v37, v52
	v_fma_f32 v29, v42, v32, -v29
	v_add_f32_e32 v22, v22, v30
	v_mul_f32_e32 v30, v44, v51
	v_add_f32_e32 v18, v18, v31
	v_add_f32_e32 v8, v8, v29
	v_mul_f32_e32 v29, v37, v51
	v_fmac_f32_e32 v30, v45, v50
	v_fma_f32 v29, v36, v50, -v29
	v_add_f32_e32 v18, v18, v30
	ds_read2_b64 v[30:33], v27 offset0:64 offset1:80
	v_add_f32_e32 v24, v24, v29
	v_mul_f32_e32 v29, v37, v53
	v_fma_f32 v29, v36, v52, -v29
	v_add_f32_e32 v20, v20, v29
	v_mul_f32_e32 v29, v45, v51
	v_mul_f32_e32 v34, v44, v53
	v_fma_f32 v29, v44, v50, -v29
	v_fmac_f32_e32 v34, v45, v52
	v_add_f32_e32 v16, v16, v29
	v_mul_f32_e32 v29, v45, v53
	v_add_f32_e32 v14, v14, v34
	s_waitcnt lgkmcnt(0)
	v_mul_f32_e32 v34, v38, v31
	v_fma_f32 v29, v44, v52, -v29
	v_fmac_f32_e32 v34, v39, v30
	v_add_f32_e32 v8, v8, v29
	v_mul_f32_e32 v29, v39, v31
	v_add_f32_e32 v26, v26, v34
	v_mul_f32_e32 v34, v38, v33
	v_fma_f32 v29, v38, v30, -v29
	v_fmac_f32_e32 v34, v39, v32
	v_add_f32_e32 v24, v24, v29
	v_mul_f32_e32 v29, v39, v33
	v_add_f32_e32 v22, v22, v34
	ds_read2_b64 v[34:37], v27 offset0:96 offset1:112
	v_fma_f32 v29, v38, v32, -v29
	v_add_f32_e32 v20, v20, v29
	v_mul_f32_e32 v29, v47, v31
	v_mul_f32_e32 v31, v46, v31
	v_fma_f32 v29, v46, v30, -v29
	v_fmac_f32_e32 v31, v47, v30
	v_mul_f32_e32 v30, v46, v33
	v_fmac_f32_e32 v30, v47, v32
	v_add_f32_e32 v14, v14, v30
	s_waitcnt lgkmcnt(0)
	v_mul_f32_e32 v30, v40, v35
	v_fmac_f32_e32 v30, v41, v34
	v_add_f32_e32 v16, v16, v29
	v_mul_f32_e32 v29, v47, v33
	v_add_f32_e32 v26, v26, v30
	v_mul_f32_e32 v30, v40, v37
	v_fma_f32 v29, v46, v32, -v29
	v_fmac_f32_e32 v30, v41, v36
	v_add_f32_e32 v8, v8, v29
	v_mul_f32_e32 v29, v41, v35
	v_add_f32_e32 v22, v22, v30
	v_mul_f32_e32 v30, v48, v35
	v_add_f32_e32 v18, v18, v31
	v_fma_f32 v29, v40, v34, -v29
	v_fmac_f32_e32 v30, v49, v34
	v_add_f32_e32 v24, v24, v29
	v_mul_f32_e32 v29, v41, v37
	v_add_f32_e32 v18, v18, v30
	ds_read2_b64 v[30:33], v27 offset0:128 offset1:144
	v_fma_f32 v29, v40, v36, -v29
	v_add_f32_e32 v20, v20, v29
	v_mul_f32_e32 v29, v49, v35
	v_fma_f32 v29, v48, v34, -v29
	v_mul_f32_e32 v34, v48, v37
	v_fmac_f32_e32 v34, v49, v36
	v_add_f32_e32 v14, v14, v34
	s_waitcnt lgkmcnt(0)
	v_mul_f32_e32 v34, v4, v31
	v_add_f32_e32 v16, v16, v29
	v_mul_f32_e32 v29, v49, v37
	v_fmac_f32_e32 v34, v5, v30
	v_fma_f32 v29, v48, v36, -v29
	v_add_f32_e32 v26, v26, v34
	ds_read_b128 v[34:37], v28 offset:1056
	ds_read_b128 v[38:41], v28 offset:1072
	v_add_f32_e32 v8, v8, v29
	v_mul_f32_e32 v29, v5, v31
	v_fma_f32 v29, v4, v30, -v29
	v_add_f32_e32 v24, v24, v29
	v_mul_f32_e32 v29, v5, v33
	v_fma_f32 v29, v4, v32, -v29
	v_mul_f32_e32 v4, v4, v33
	ds_read2_b64 v[42:45], v27 offset0:160 offset1:176
	v_fmac_f32_e32 v4, v5, v32
	v_add_f32_e32 v5, v20, v29
	s_waitcnt lgkmcnt(2)
	v_mul_f32_e32 v20, v35, v31
	v_fma_f32 v20, v34, v30, -v20
	v_add_f32_e32 v16, v16, v20
	v_mul_f32_e32 v20, v35, v33
	v_add_f32_e32 v4, v22, v4
	v_mul_f32_e32 v22, v34, v31
	v_fma_f32 v20, v34, v32, -v20
	v_fmac_f32_e32 v22, v35, v30
	v_add_f32_e32 v8, v8, v20
	s_waitcnt lgkmcnt(0)
	v_mul_f32_e32 v20, v7, v43
	v_add_f32_e32 v18, v18, v22
	v_mul_f32_e32 v22, v34, v33
	v_fma_f32 v20, v6, v42, -v20
	v_fmac_f32_e32 v22, v35, v32
	v_add_f32_e32 v20, v24, v20
	v_mul_f32_e32 v24, v7, v45
	v_add_f32_e32 v14, v14, v22
	v_mul_f32_e32 v22, v6, v43
	v_fma_f32 v24, v6, v44, -v24
	v_mul_f32_e32 v6, v6, v45
	v_fmac_f32_e32 v22, v7, v42
	v_fmac_f32_e32 v6, v7, v44
	v_add_f32_e32 v22, v26, v22
	v_add_f32_e32 v26, v4, v6
	v_mul_f32_e32 v4, v37, v43
	v_add_f32_e32 v24, v5, v24
	v_fma_f32 v4, v36, v42, -v4
	v_mul_f32_e32 v5, v36, v43
	v_fmac_f32_e32 v5, v37, v42
	v_add_f32_e32 v16, v16, v4
	v_mul_f32_e32 v4, v37, v45
	v_add_f32_e32 v18, v18, v5
	v_fma_f32 v29, v36, v44, -v4
	ds_read2_b64 v[4:7], v27 offset0:192 offset1:208
	v_mul_f32_e32 v30, v36, v45
	v_fmac_f32_e32 v30, v37, v44
	v_add_f32_e32 v8, v8, v29
	v_add_f32_e32 v14, v14, v30
	s_waitcnt lgkmcnt(0)
	v_mul_f32_e32 v29, v1, v5
	v_fma_f32 v29, v0, v4, -v29
	v_mul_f32_e32 v30, v0, v5
	v_fmac_f32_e32 v30, v1, v4
	v_add_f32_e32 v20, v20, v29
	v_mul_f32_e32 v29, v1, v7
	v_add_f32_e32 v22, v22, v30
	v_fma_f32 v29, v0, v6, -v29
	v_mul_f32_e32 v0, v0, v7
	ds_read2_b64 v[30:33], v27 offset0:224 offset1:240
	v_fmac_f32_e32 v0, v1, v6
	v_add_f32_e32 v1, v24, v29
	v_mul_f32_e32 v24, v39, v5
	v_fma_f32 v24, v38, v4, -v24
	v_mul_f32_e32 v5, v38, v5
	v_fmac_f32_e32 v5, v39, v4
	v_add_f32_e32 v4, v16, v24
	v_mul_f32_e32 v16, v39, v7
	v_fma_f32 v16, v38, v6, -v16
	v_mul_f32_e32 v7, v38, v7
	v_fmac_f32_e32 v7, v39, v6
	v_add_f32_e32 v6, v8, v16
	s_waitcnt lgkmcnt(0)
	v_mul_f32_e32 v8, v3, v31
	v_fma_f32 v8, v2, v30, -v8
	v_add_f32_e32 v24, v20, v8
	v_mul_f32_e32 v8, v3, v33
	v_add_f32_e32 v7, v14, v7
	v_mul_f32_e32 v14, v2, v31
	v_fma_f32 v8, v2, v32, -v8
	v_mul_f32_e32 v2, v2, v33
	v_add_f32_e32 v0, v26, v0
	v_fmac_f32_e32 v14, v3, v30
	v_fmac_f32_e32 v2, v3, v32
	v_add_f32_e32 v26, v22, v14
	v_add_f32_e32 v20, v1, v8
	;; [unrolled: 1-line block ×3, first 2 shown]
	v_mul_f32_e32 v0, v41, v31
	v_mul_f32_e32 v1, v40, v31
	v_add_f32_e32 v5, v18, v5
	v_fma_f32 v0, v40, v30, -v0
	v_fmac_f32_e32 v1, v41, v30
	v_add_f32_e32 v16, v4, v0
	v_add_f32_e32 v18, v5, v1
	v_mul_f32_e32 v0, v41, v33
	v_mul_f32_e32 v1, v40, v33
	v_fma_f32 v0, v40, v32, -v0
	v_fmac_f32_e32 v1, v41, v32
	s_add_i32 s25, s25, 8
	v_add_f32_e32 v8, v6, v0
	v_add_f32_e32 v14, v7, v1
	v_lshl_add_u64 v[10:11], v[10:11], 0, 64
	s_cmp_lt_i32 s25, s23
	v_lshl_add_u64 v[12:13], v[12:13], 0, 64
	s_barrier
	s_cbranch_scc0 .LBB87_14
.LBB87_8:                               ; =>This Inner Loop Header: Depth=1
	v_add_u32_e32 v0, s25, v21
	v_cmp_le_i32_e64 s[2:3], s23, v0
	s_or_b64 s[2:3], s[8:9], s[2:3]
	s_and_saveexec_b64 s[14:15], s[2:3]
	s_xor_b64 s[2:3], exec, s[14:15]
; %bb.9:                                ;   in Loop: Header=BB87_8 Depth=1
	ds_write_b32 v23, v9
; %bb.10:                               ;   in Loop: Header=BB87_8 Depth=1
	s_or_saveexec_b64 s[2:3], s[2:3]
	v_mov_b32_e32 v2, 0
	v_mov_b32_e32 v0, 0
	s_xor_b64 exec, exec, s[2:3]
	s_cbranch_execz .LBB87_12
; %bb.11:                               ;   in Loop: Header=BB87_8 Depth=1
	global_load_dwordx2 v[4:5], v[10:11], off offset:-4
	s_waitcnt vmcnt(0)
	v_xor_b32_e32 v0, 0x80000000, v5
	ds_write_b32 v23, v4
.LBB87_12:                              ;   in Loop: Header=BB87_8 Depth=1
	s_or_b64 exec, exec, s[2:3]
	ds_write_b32 v23, v0 offset:4
	v_add_u32_e32 v0, s25, v19
	v_cmp_gt_i32_e64 s[2:3], s23, v0
	s_and_b64 s[14:15], s[2:3], vcc
	v_mov_b32_e32 v3, 0
	s_and_saveexec_b64 s[2:3], s[14:15]
	s_cbranch_execz .LBB87_7
; %bb.13:                               ;   in Loop: Header=BB87_8 Depth=1
	global_load_dwordx2 v[2:3], v[12:13], off
	s_branch .LBB87_7
.LBB87_14:
	s_load_dwordx2 s[2:3], s[0:1], 0x58
	s_load_dword s14, s[0:1], 0x50
	v_add_u32_e32 v9, s5, v15
	v_add_u32_e32 v0, s24, v17
	v_cmp_le_i32_e32 vcc, v9, v0
	s_waitcnt lgkmcnt(0)
	s_mul_i32 s1, s3, s4
	s_mul_hi_u32 s3, s2, s4
	s_mul_i32 s0, s2, s4
	s_add_i32 s1, s3, s1
	s_lshl_b64 s[0:1], s[0:1], 3
	s_add_u32 s8, s12, s0
	s_addc_u32 s9, s13, s1
	v_cmp_neq_f32_e64 s[0:1], s6, 0
	s_xor_b64 s[4:5], s[10:11], -1
	v_mad_i64_i32 v[2:3], s[2:3], v9, s14, 0
	s_or_b64 s[0:1], s[0:1], s[4:5]
	v_lshl_add_u64 v[4:5], v[2:3], 3, s[8:9]
	v_cmp_gt_i32_e64 s[2:3], s22, v0
	v_cndmask_b32_e64 v2, 0, 1, s[0:1]
	s_and_b64 s[10:11], vcc, s[2:3]
	v_ashrrev_i32_e32 v1, 31, v0
	v_cmp_ne_u32_e64 s[0:1], 1, v2
	s_and_saveexec_b64 s[4:5], s[10:11]
	s_cbranch_execz .LBB87_18
; %bb.15:
	v_pk_mul_f32 v[6:7], v[26:27], s[20:21] op_sel:[0,1] op_sel_hi:[0,0]
	v_pk_fma_f32 v[2:3], v[24:25], s[20:21], v[6:7] op_sel_hi:[0,1,1] neg_lo:[0,0,1] neg_hi:[0,0,1]
	v_pk_fma_f32 v[10:11], v[24:25], s[20:21], v[6:7] op_sel_hi:[0,1,1]
	s_and_b64 vcc, exec, s[0:1]
	v_lshl_add_u64 v[6:7], v[0:1], 3, v[4:5]
	s_cbranch_vccnz .LBB87_17
; %bb.16:
	global_load_dwordx2 v[12:13], v[6:7], off
	s_mov_b32 s10, s7
	v_mov_b32_e32 v3, v11
	s_waitcnt vmcnt(0)
	v_pk_mul_f32 v[10:11], v[12:13], s[10:11] op_sel:[1,0] op_sel_hi:[0,0]
	v_pk_fma_f32 v[24:25], v[12:13], s[6:7], v[10:11] neg_lo:[0,0,1] neg_hi:[0,0,1]
	v_pk_fma_f32 v[10:11], v[12:13], s[6:7], v[10:11] op_sel_hi:[1,0,1]
	s_nop 0
	v_mov_b32_e32 v25, v11
	v_pk_add_f32 v[2:3], v[2:3], v[24:25]
	s_nop 0
	v_mov_b32_e32 v11, v3
.LBB87_17:
	v_mov_b32_e32 v3, v11
	global_store_dwordx2 v[6:7], v[2:3], off
.LBB87_18:
	s_or_b64 exec, exec, s[4:5]
	v_add_u32_e32 v2, 16, v0
	v_cmp_le_i32_e32 vcc, v9, v2
	v_cmp_gt_i32_e64 s[4:5], s22, v2
	s_and_b64 s[12:13], vcc, s[4:5]
	v_ashrrev_i32_e32 v3, 31, v2
	s_and_saveexec_b64 s[10:11], s[12:13]
	s_cbranch_execz .LBB87_22
; %bb.19:
	v_pk_mul_f32 v[10:11], v[22:23], s[20:21] op_sel:[0,1] op_sel_hi:[0,0]
	v_pk_fma_f32 v[6:7], v[20:21], s[20:21], v[10:11] op_sel_hi:[0,1,1] neg_lo:[0,0,1] neg_hi:[0,0,1]
	v_pk_fma_f32 v[10:11], v[20:21], s[20:21], v[10:11] op_sel_hi:[0,1,1]
	s_and_b64 vcc, exec, s[0:1]
	v_lshl_add_u64 v[4:5], v[2:3], 3, v[4:5]
	s_cbranch_vccnz .LBB87_21
; %bb.20:
	global_load_dwordx2 v[12:13], v[4:5], off
	s_mov_b32 s12, s7
	v_mov_b32_e32 v7, v11
	s_waitcnt vmcnt(0)
	v_pk_mul_f32 v[10:11], v[12:13], s[12:13] op_sel:[1,0] op_sel_hi:[0,0]
	v_pk_fma_f32 v[20:21], v[12:13], s[6:7], v[10:11] neg_lo:[0,0,1] neg_hi:[0,0,1]
	v_pk_fma_f32 v[10:11], v[12:13], s[6:7], v[10:11] op_sel_hi:[1,0,1]
	s_nop 0
	v_mov_b32_e32 v21, v11
	v_pk_add_f32 v[6:7], v[6:7], v[20:21]
	s_nop 0
	v_mov_b32_e32 v11, v7
.LBB87_21:
	v_mov_b32_e32 v7, v11
	global_store_dwordx2 v[4:5], v[6:7], off
.LBB87_22:
	s_or_b64 exec, exec, s[10:11]
	v_add_u32_e32 v9, 16, v9
	v_mad_i64_i32 v[4:5], s[10:11], v9, s14, 0
	v_cmp_le_i32_e32 vcc, v9, v0
	v_lshl_add_u64 v[4:5], v[4:5], 3, s[8:9]
	s_and_b64 s[8:9], vcc, s[2:3]
	s_and_saveexec_b64 s[2:3], s[8:9]
	s_cbranch_execz .LBB87_26
; %bb.23:
	v_pk_mul_f32 v[10:11], v[18:19], s[20:21] op_sel:[0,1] op_sel_hi:[0,0]
	v_pk_fma_f32 v[6:7], v[16:17], s[20:21], v[10:11] op_sel_hi:[0,1,1] neg_lo:[0,0,1] neg_hi:[0,0,1]
	v_pk_fma_f32 v[10:11], v[16:17], s[20:21], v[10:11] op_sel_hi:[0,1,1]
	s_and_b64 vcc, exec, s[0:1]
	v_lshl_add_u64 v[0:1], v[0:1], 3, v[4:5]
	s_cbranch_vccnz .LBB87_25
; %bb.24:
	global_load_dwordx2 v[12:13], v[0:1], off
	s_mov_b32 s8, s7
	v_mov_b32_e32 v7, v11
	s_waitcnt vmcnt(0)
	v_pk_mul_f32 v[10:11], v[12:13], s[8:9] op_sel:[1,0] op_sel_hi:[0,0]
	v_pk_fma_f32 v[16:17], v[12:13], s[6:7], v[10:11] neg_lo:[0,0,1] neg_hi:[0,0,1]
	v_pk_fma_f32 v[10:11], v[12:13], s[6:7], v[10:11] op_sel_hi:[1,0,1]
	s_nop 0
	v_mov_b32_e32 v17, v11
	v_pk_add_f32 v[6:7], v[6:7], v[16:17]
	s_nop 0
	v_mov_b32_e32 v11, v7
.LBB87_25:
	v_mov_b32_e32 v7, v11
	global_store_dwordx2 v[0:1], v[6:7], off
.LBB87_26:
	s_or_b64 exec, exec, s[2:3]
	v_cmp_le_i32_e32 vcc, v9, v2
	s_and_b64 s[2:3], vcc, s[4:5]
	s_and_saveexec_b64 s[4:5], s[2:3]
	s_cbranch_execz .LBB87_30
; %bb.27:
	v_pk_mul_f32 v[6:7], v[14:15], s[20:21] op_sel:[0,1] op_sel_hi:[0,0]
	v_pk_fma_f32 v[0:1], v[8:9], s[20:21], v[6:7] op_sel_hi:[0,1,1] neg_lo:[0,0,1] neg_hi:[0,0,1]
	v_pk_fma_f32 v[6:7], v[8:9], s[20:21], v[6:7] op_sel_hi:[0,1,1]
	s_and_b64 vcc, exec, s[0:1]
	v_lshl_add_u64 v[2:3], v[2:3], 3, v[4:5]
	s_cbranch_vccnz .LBB87_29
; %bb.28:
	global_load_dwordx2 v[4:5], v[2:3], off
	s_mov_b32 s0, s7
	v_mov_b32_e32 v1, v7
	s_waitcnt vmcnt(0)
	v_pk_mul_f32 v[6:7], v[4:5], s[0:1] op_sel:[1,0] op_sel_hi:[0,0]
	v_pk_fma_f32 v[8:9], v[4:5], s[6:7], v[6:7] neg_lo:[0,0,1] neg_hi:[0,0,1]
	v_pk_fma_f32 v[4:5], v[4:5], s[6:7], v[6:7] op_sel_hi:[1,0,1]
	s_nop 0
	v_mov_b32_e32 v9, v5
	v_pk_add_f32 v[0:1], v[0:1], v[8:9]
	s_nop 0
	v_mov_b32_e32 v7, v1
.LBB87_29:
	v_mov_b32_e32 v1, v7
	global_store_dwordx2 v[2:3], v[0:1], off
.LBB87_30:
	s_endpgm
	.section	.rodata,"a",@progbits
	.p2align	6, 0x0
	.amdhsa_kernel _ZL29rocblas_internal_gemmt_kernelIiLi16ELi32ELi8ELc67ELc78ELc76ELb1ELb0E19rocblas_complex_numIfEPKS1_S3_PS1_EviT_T9_T10_S5_lS7_S5_lS6_T11_S5_li
		.amdhsa_group_segment_fixed_size 4096
		.amdhsa_private_segment_fixed_size 0
		.amdhsa_kernarg_size 100
		.amdhsa_user_sgpr_count 2
		.amdhsa_user_sgpr_dispatch_ptr 0
		.amdhsa_user_sgpr_queue_ptr 0
		.amdhsa_user_sgpr_kernarg_segment_ptr 1
		.amdhsa_user_sgpr_dispatch_id 0
		.amdhsa_user_sgpr_kernarg_preload_length 0
		.amdhsa_user_sgpr_kernarg_preload_offset 0
		.amdhsa_user_sgpr_private_segment_size 0
		.amdhsa_uses_dynamic_stack 0
		.amdhsa_enable_private_segment 0
		.amdhsa_system_sgpr_workgroup_id_x 1
		.amdhsa_system_sgpr_workgroup_id_y 1
		.amdhsa_system_sgpr_workgroup_id_z 1
		.amdhsa_system_sgpr_workgroup_info 0
		.amdhsa_system_vgpr_workitem_id 1
		.amdhsa_next_free_vgpr 54
		.amdhsa_next_free_sgpr 29
		.amdhsa_accum_offset 56
		.amdhsa_reserve_vcc 1
		.amdhsa_float_round_mode_32 0
		.amdhsa_float_round_mode_16_64 0
		.amdhsa_float_denorm_mode_32 3
		.amdhsa_float_denorm_mode_16_64 3
		.amdhsa_dx10_clamp 1
		.amdhsa_ieee_mode 1
		.amdhsa_fp16_overflow 0
		.amdhsa_tg_split 0
		.amdhsa_exception_fp_ieee_invalid_op 0
		.amdhsa_exception_fp_denorm_src 0
		.amdhsa_exception_fp_ieee_div_zero 0
		.amdhsa_exception_fp_ieee_overflow 0
		.amdhsa_exception_fp_ieee_underflow 0
		.amdhsa_exception_fp_ieee_inexact 0
		.amdhsa_exception_int_div_zero 0
	.end_amdhsa_kernel
	.section	.text._ZL29rocblas_internal_gemmt_kernelIiLi16ELi32ELi8ELc67ELc78ELc76ELb1ELb0E19rocblas_complex_numIfEPKS1_S3_PS1_EviT_T9_T10_S5_lS7_S5_lS6_T11_S5_li,"axG",@progbits,_ZL29rocblas_internal_gemmt_kernelIiLi16ELi32ELi8ELc67ELc78ELc76ELb1ELb0E19rocblas_complex_numIfEPKS1_S3_PS1_EviT_T9_T10_S5_lS7_S5_lS6_T11_S5_li,comdat
.Lfunc_end87:
	.size	_ZL29rocblas_internal_gemmt_kernelIiLi16ELi32ELi8ELc67ELc78ELc76ELb1ELb0E19rocblas_complex_numIfEPKS1_S3_PS1_EviT_T9_T10_S5_lS7_S5_lS6_T11_S5_li, .Lfunc_end87-_ZL29rocblas_internal_gemmt_kernelIiLi16ELi32ELi8ELc67ELc78ELc76ELb1ELb0E19rocblas_complex_numIfEPKS1_S3_PS1_EviT_T9_T10_S5_lS7_S5_lS6_T11_S5_li
                                        ; -- End function
	.set _ZL29rocblas_internal_gemmt_kernelIiLi16ELi32ELi8ELc67ELc78ELc76ELb1ELb0E19rocblas_complex_numIfEPKS1_S3_PS1_EviT_T9_T10_S5_lS7_S5_lS6_T11_S5_li.num_vgpr, 54
	.set _ZL29rocblas_internal_gemmt_kernelIiLi16ELi32ELi8ELc67ELc78ELc76ELb1ELb0E19rocblas_complex_numIfEPKS1_S3_PS1_EviT_T9_T10_S5_lS7_S5_lS6_T11_S5_li.num_agpr, 0
	.set _ZL29rocblas_internal_gemmt_kernelIiLi16ELi32ELi8ELc67ELc78ELc76ELb1ELb0E19rocblas_complex_numIfEPKS1_S3_PS1_EviT_T9_T10_S5_lS7_S5_lS6_T11_S5_li.numbered_sgpr, 29
	.set _ZL29rocblas_internal_gemmt_kernelIiLi16ELi32ELi8ELc67ELc78ELc76ELb1ELb0E19rocblas_complex_numIfEPKS1_S3_PS1_EviT_T9_T10_S5_lS7_S5_lS6_T11_S5_li.num_named_barrier, 0
	.set _ZL29rocblas_internal_gemmt_kernelIiLi16ELi32ELi8ELc67ELc78ELc76ELb1ELb0E19rocblas_complex_numIfEPKS1_S3_PS1_EviT_T9_T10_S5_lS7_S5_lS6_T11_S5_li.private_seg_size, 0
	.set _ZL29rocblas_internal_gemmt_kernelIiLi16ELi32ELi8ELc67ELc78ELc76ELb1ELb0E19rocblas_complex_numIfEPKS1_S3_PS1_EviT_T9_T10_S5_lS7_S5_lS6_T11_S5_li.uses_vcc, 1
	.set _ZL29rocblas_internal_gemmt_kernelIiLi16ELi32ELi8ELc67ELc78ELc76ELb1ELb0E19rocblas_complex_numIfEPKS1_S3_PS1_EviT_T9_T10_S5_lS7_S5_lS6_T11_S5_li.uses_flat_scratch, 0
	.set _ZL29rocblas_internal_gemmt_kernelIiLi16ELi32ELi8ELc67ELc78ELc76ELb1ELb0E19rocblas_complex_numIfEPKS1_S3_PS1_EviT_T9_T10_S5_lS7_S5_lS6_T11_S5_li.has_dyn_sized_stack, 0
	.set _ZL29rocblas_internal_gemmt_kernelIiLi16ELi32ELi8ELc67ELc78ELc76ELb1ELb0E19rocblas_complex_numIfEPKS1_S3_PS1_EviT_T9_T10_S5_lS7_S5_lS6_T11_S5_li.has_recursion, 0
	.set _ZL29rocblas_internal_gemmt_kernelIiLi16ELi32ELi8ELc67ELc78ELc76ELb1ELb0E19rocblas_complex_numIfEPKS1_S3_PS1_EviT_T9_T10_S5_lS7_S5_lS6_T11_S5_li.has_indirect_call, 0
	.section	.AMDGPU.csdata,"",@progbits
; Kernel info:
; codeLenInByte = 2500
; TotalNumSgprs: 35
; NumVgprs: 54
; NumAgprs: 0
; TotalNumVgprs: 54
; ScratchSize: 0
; MemoryBound: 0
; FloatMode: 240
; IeeeMode: 1
; LDSByteSize: 4096 bytes/workgroup (compile time only)
; SGPRBlocks: 4
; VGPRBlocks: 6
; NumSGPRsForWavesPerEU: 35
; NumVGPRsForWavesPerEU: 54
; AccumOffset: 56
; Occupancy: 8
; WaveLimiterHint : 0
; COMPUTE_PGM_RSRC2:SCRATCH_EN: 0
; COMPUTE_PGM_RSRC2:USER_SGPR: 2
; COMPUTE_PGM_RSRC2:TRAP_HANDLER: 0
; COMPUTE_PGM_RSRC2:TGID_X_EN: 1
; COMPUTE_PGM_RSRC2:TGID_Y_EN: 1
; COMPUTE_PGM_RSRC2:TGID_Z_EN: 1
; COMPUTE_PGM_RSRC2:TIDIG_COMP_CNT: 1
; COMPUTE_PGM_RSRC3_GFX90A:ACCUM_OFFSET: 13
; COMPUTE_PGM_RSRC3_GFX90A:TG_SPLIT: 0
	.section	.text._ZL29rocblas_internal_gemmt_kernelIiLi16ELi32ELi8ELc67ELc84ELc76ELb1ELb0E19rocblas_complex_numIfEPKS1_S3_PS1_EviT_T9_T10_S5_lS7_S5_lS6_T11_S5_li,"axG",@progbits,_ZL29rocblas_internal_gemmt_kernelIiLi16ELi32ELi8ELc67ELc84ELc76ELb1ELb0E19rocblas_complex_numIfEPKS1_S3_PS1_EviT_T9_T10_S5_lS7_S5_lS6_T11_S5_li,comdat
	.globl	_ZL29rocblas_internal_gemmt_kernelIiLi16ELi32ELi8ELc67ELc84ELc76ELb1ELb0E19rocblas_complex_numIfEPKS1_S3_PS1_EviT_T9_T10_S5_lS7_S5_lS6_T11_S5_li ; -- Begin function _ZL29rocblas_internal_gemmt_kernelIiLi16ELi32ELi8ELc67ELc84ELc76ELb1ELb0E19rocblas_complex_numIfEPKS1_S3_PS1_EviT_T9_T10_S5_lS7_S5_lS6_T11_S5_li
	.p2align	8
	.type	_ZL29rocblas_internal_gemmt_kernelIiLi16ELi32ELi8ELc67ELc84ELc76ELb1ELb0E19rocblas_complex_numIfEPKS1_S3_PS1_EviT_T9_T10_S5_lS7_S5_lS6_T11_S5_li,@function
_ZL29rocblas_internal_gemmt_kernelIiLi16ELi32ELi8ELc67ELc84ELc76ELb1ELb0E19rocblas_complex_numIfEPKS1_S3_PS1_EviT_T9_T10_S5_lS7_S5_lS6_T11_S5_li: ; @_ZL29rocblas_internal_gemmt_kernelIiLi16ELi32ELi8ELc67ELc84ELc76ELb1ELb0E19rocblas_complex_numIfEPKS1_S3_PS1_EviT_T9_T10_S5_lS7_S5_lS6_T11_S5_li
; %bb.0:
	s_load_dwordx4 s[8:11], s[0:1], 0x38
	s_load_dwordx4 s[12:15], s[0:1], 0x8
	s_waitcnt lgkmcnt(0)
	s_load_dwordx2 s[6:7], s[10:11], 0x0
	s_load_dwordx2 s[22:23], s[0:1], 0x0
	;; [unrolled: 1-line block ×3, first 2 shown]
	s_waitcnt lgkmcnt(0)
	s_and_b32 s5, s7, 0x7fffffff
	s_cmp_eq_u32 s5, 0
	v_cmp_eq_f32_e64 s[12:13], s6, 1.0
	s_cselect_b64 s[10:11], -1, 0
	s_and_b64 s[12:13], s[12:13], s[10:11]
	s_and_b64 vcc, exec, s[12:13]
	s_cbranch_vccnz .LBB88_2
; %bb.1:
	s_mov_b64 s[12:13], -1
	s_cbranch_execz .LBB88_3
	s_branch .LBB88_4
.LBB88_2:
	s_mov_b64 s[12:13], 0
.LBB88_3:
	s_cmp_lg_u32 s23, 0
	v_cmp_neq_f32_e64 s[16:17], s20, 0
	v_cmp_neq_f32_e64 s[18:19], s21, 0
	s_cselect_b64 s[12:13], -1, 0
	s_or_b64 s[16:17], s[16:17], s[18:19]
	s_and_b64 s[12:13], s[12:13], s[16:17]
.LBB88_4:
	s_andn2_b64 vcc, exec, s[12:13]
	s_cbranch_vccnz .LBB88_30
; %bb.5:
	s_lshl_b32 s24, s2, 5
	s_lshl_b32 s5, s3, 5
	v_cmp_eq_f32_e64 s[2:3], s20, 0
	v_cmp_eq_f32_e64 s[16:17], s21, 0
	s_load_dwordx2 s[12:13], s[0:1], 0x48
	s_and_b64 s[2:3], s[2:3], s[16:17]
	s_cmp_lt_i32 s23, 1
	s_cselect_b64 s[16:17], -1, 0
	s_or_b64 s[2:3], s[2:3], s[16:17]
	v_and_b32_e32 v17, 0x3ff, v0
	v_bfe_u32 v15, v0, 10, 10
	s_mov_b32 s25, 0
	v_mov_b32_e32 v24, 0
	s_and_b64 vcc, exec, s[2:3]
	v_mov_b32_e32 v26, 0
	v_mov_b32_e32 v20, 0
	;; [unrolled: 1-line block ×7, first 2 shown]
	s_cbranch_vccnz .LBB88_14
; %bb.6:
	v_lshl_add_u32 v1, v15, 4, v17
	v_and_b32_e32 v3, 31, v1
	v_lshrrev_b32_e32 v21, 5, v1
	v_lshrrev_b32_e32 v2, 3, v1
	v_or_b32_e32 v1, s24, v3
	s_load_dword s28, s[0:1], 0x18
	s_load_dword s26, s[0:1], 0x30
	s_load_dwordx4 s[16:19], s[0:1], 0x20
	v_and_b32_e32 v19, 7, v17
	v_cmp_gt_i32_e64 s[2:3], s22, v1
	v_lshlrev_b32_e32 v1, 3, v3
	v_lshl_or_b32 v23, v21, 8, v1
	v_lshlrev_b32_e32 v1, 3, v19
	v_add_u32_e32 v0, s5, v2
	v_lshl_or_b32 v1, v2, 6, v1
	v_mov_b32_e32 v2, 0x800
	v_lshl_add_u32 v28, v15, 6, v2
	v_add_u32_e32 v2, s24, v3
	s_waitcnt lgkmcnt(0)
	v_mad_i64_i32 v[2:3], s[28:29], s28, v2, 0
	s_mul_i32 s17, s17, s4
	s_mul_hi_u32 s28, s16, s4
	s_add_i32 s17, s28, s17
	s_mul_i32 s16, s16, s4
	s_lshl_b64 s[16:17], s[16:17], 3
	v_lshl_add_u64 v[2:3], v[2:3], 3, s[16:17]
	v_lshlrev_b32_e32 v8, 3, v21
	v_mov_b32_e32 v9, 0
	v_lshl_add_u64 v[2:3], v[2:3], 0, v[8:9]
	v_lshl_add_u64 v[2:3], s[14:15], 0, v[2:3]
	s_mul_i32 s9, s9, s4
	s_mul_hi_u32 s14, s8, s4
	v_lshl_add_u64 v[10:11], v[2:3], 0, 4
	s_add_i32 s9, s14, s9
	v_mad_i64_i32 v[2:3], s[14:15], s26, v19, 0
	s_mul_i32 s8, s8, s4
	v_lshlrev_b64 v[2:3], 3, v[2:3]
	v_add_u32_e32 v25, 0x800, v1
	v_ashrrev_i32_e32 v1, 31, v0
	v_lshl_add_u64 v[2:3], s[8:9], 3, v[2:3]
	s_ashr_i32 s27, s26, 31
	v_cmp_gt_i32_e32 vcc, s22, v0
	v_lshl_add_u64 v[0:1], v[0:1], 3, v[2:3]
	v_lshlrev_b32_e32 v27, 3, v17
	v_lshl_add_u64 v[12:13], s[18:19], 0, v[0:1]
	s_lshl_b64 s[8:9], s[26:27], 6
	s_xor_b64 s[14:15], s[2:3], -1
	v_mov_b32_e32 v14, 0
	v_mov_b32_e32 v8, 0
	;; [unrolled: 1-line block ×8, first 2 shown]
	s_branch .LBB88_8
.LBB88_7:                               ;   in Loop: Header=BB88_8 Depth=1
	s_or_b64 exec, exec, s[2:3]
	s_waitcnt vmcnt(0)
	ds_write_b64 v25, v[2:3]
	s_waitcnt lgkmcnt(0)
	s_barrier
	ds_read2_b64 v[30:33], v27 offset1:16
	ds_read_b128 v[34:37], v28
	ds_read_b128 v[38:41], v28 offset:16
	ds_read_b128 v[4:7], v28 offset:32
	;; [unrolled: 1-line block ×3, first 2 shown]
	ds_read2_b64 v[50:53], v27 offset0:32 offset1:48
	s_waitcnt lgkmcnt(4)
	v_mul_f32_e32 v42, v34, v31
	v_fmac_f32_e32 v42, v35, v30
	v_add_f32_e32 v26, v26, v42
	ds_read_b128 v[42:45], v28 offset:1024
	ds_read_b128 v[46:49], v28 offset:1040
	v_mul_f32_e32 v29, v35, v31
	v_fma_f32 v29, v34, v30, -v29
	v_add_f32_e32 v24, v24, v29
	v_mul_f32_e32 v29, v35, v33
	v_fma_f32 v29, v34, v32, -v29
	v_add_f32_e32 v20, v20, v29
	s_waitcnt lgkmcnt(1)
	v_mul_f32_e32 v29, v43, v31
	v_mul_f32_e32 v31, v42, v31
	v_fma_f32 v29, v42, v30, -v29
	v_fmac_f32_e32 v31, v43, v30
	v_mul_f32_e32 v30, v42, v33
	v_fmac_f32_e32 v30, v43, v32
	v_add_f32_e32 v14, v14, v30
	v_mul_f32_e32 v30, v36, v51
	v_mul_f32_e32 v34, v34, v33
	v_fmac_f32_e32 v30, v37, v50
	v_fmac_f32_e32 v34, v35, v32
	v_add_f32_e32 v26, v26, v30
	v_mul_f32_e32 v30, v36, v53
	v_add_f32_e32 v22, v22, v34
	v_add_f32_e32 v16, v16, v29
	v_mul_f32_e32 v29, v43, v33
	v_fmac_f32_e32 v30, v37, v52
	v_fma_f32 v29, v42, v32, -v29
	v_add_f32_e32 v22, v22, v30
	v_mul_f32_e32 v30, v44, v51
	v_add_f32_e32 v18, v18, v31
	v_add_f32_e32 v8, v8, v29
	v_mul_f32_e32 v29, v37, v51
	v_fmac_f32_e32 v30, v45, v50
	v_fma_f32 v29, v36, v50, -v29
	v_add_f32_e32 v18, v18, v30
	ds_read2_b64 v[30:33], v27 offset0:64 offset1:80
	v_add_f32_e32 v24, v24, v29
	v_mul_f32_e32 v29, v37, v53
	v_fma_f32 v29, v36, v52, -v29
	v_add_f32_e32 v20, v20, v29
	v_mul_f32_e32 v29, v45, v51
	v_mul_f32_e32 v34, v44, v53
	v_fma_f32 v29, v44, v50, -v29
	v_fmac_f32_e32 v34, v45, v52
	v_add_f32_e32 v16, v16, v29
	v_mul_f32_e32 v29, v45, v53
	v_add_f32_e32 v14, v14, v34
	s_waitcnt lgkmcnt(0)
	v_mul_f32_e32 v34, v38, v31
	v_fma_f32 v29, v44, v52, -v29
	v_fmac_f32_e32 v34, v39, v30
	v_add_f32_e32 v8, v8, v29
	v_mul_f32_e32 v29, v39, v31
	v_add_f32_e32 v26, v26, v34
	v_mul_f32_e32 v34, v38, v33
	v_fma_f32 v29, v38, v30, -v29
	v_fmac_f32_e32 v34, v39, v32
	v_add_f32_e32 v24, v24, v29
	v_mul_f32_e32 v29, v39, v33
	v_add_f32_e32 v22, v22, v34
	ds_read2_b64 v[34:37], v27 offset0:96 offset1:112
	v_fma_f32 v29, v38, v32, -v29
	v_add_f32_e32 v20, v20, v29
	v_mul_f32_e32 v29, v47, v31
	v_mul_f32_e32 v31, v46, v31
	v_fma_f32 v29, v46, v30, -v29
	v_fmac_f32_e32 v31, v47, v30
	v_mul_f32_e32 v30, v46, v33
	v_fmac_f32_e32 v30, v47, v32
	v_add_f32_e32 v14, v14, v30
	s_waitcnt lgkmcnt(0)
	v_mul_f32_e32 v30, v40, v35
	v_fmac_f32_e32 v30, v41, v34
	v_add_f32_e32 v16, v16, v29
	v_mul_f32_e32 v29, v47, v33
	v_add_f32_e32 v26, v26, v30
	v_mul_f32_e32 v30, v40, v37
	v_fma_f32 v29, v46, v32, -v29
	v_fmac_f32_e32 v30, v41, v36
	v_add_f32_e32 v8, v8, v29
	v_mul_f32_e32 v29, v41, v35
	v_add_f32_e32 v22, v22, v30
	v_mul_f32_e32 v30, v48, v35
	v_add_f32_e32 v18, v18, v31
	v_fma_f32 v29, v40, v34, -v29
	v_fmac_f32_e32 v30, v49, v34
	v_add_f32_e32 v24, v24, v29
	v_mul_f32_e32 v29, v41, v37
	v_add_f32_e32 v18, v18, v30
	ds_read2_b64 v[30:33], v27 offset0:128 offset1:144
	v_fma_f32 v29, v40, v36, -v29
	v_add_f32_e32 v20, v20, v29
	v_mul_f32_e32 v29, v49, v35
	v_fma_f32 v29, v48, v34, -v29
	v_mul_f32_e32 v34, v48, v37
	v_fmac_f32_e32 v34, v49, v36
	v_add_f32_e32 v14, v14, v34
	s_waitcnt lgkmcnt(0)
	v_mul_f32_e32 v34, v4, v31
	v_add_f32_e32 v16, v16, v29
	v_mul_f32_e32 v29, v49, v37
	v_fmac_f32_e32 v34, v5, v30
	v_fma_f32 v29, v48, v36, -v29
	v_add_f32_e32 v26, v26, v34
	ds_read_b128 v[34:37], v28 offset:1056
	ds_read_b128 v[38:41], v28 offset:1072
	v_add_f32_e32 v8, v8, v29
	v_mul_f32_e32 v29, v5, v31
	v_fma_f32 v29, v4, v30, -v29
	v_add_f32_e32 v24, v24, v29
	v_mul_f32_e32 v29, v5, v33
	v_fma_f32 v29, v4, v32, -v29
	v_mul_f32_e32 v4, v4, v33
	ds_read2_b64 v[42:45], v27 offset0:160 offset1:176
	v_fmac_f32_e32 v4, v5, v32
	v_add_f32_e32 v5, v20, v29
	s_waitcnt lgkmcnt(2)
	v_mul_f32_e32 v20, v35, v31
	v_fma_f32 v20, v34, v30, -v20
	v_add_f32_e32 v16, v16, v20
	v_mul_f32_e32 v20, v35, v33
	v_add_f32_e32 v4, v22, v4
	v_mul_f32_e32 v22, v34, v31
	v_fma_f32 v20, v34, v32, -v20
	v_fmac_f32_e32 v22, v35, v30
	v_add_f32_e32 v8, v8, v20
	s_waitcnt lgkmcnt(0)
	v_mul_f32_e32 v20, v7, v43
	v_add_f32_e32 v18, v18, v22
	v_mul_f32_e32 v22, v34, v33
	v_fma_f32 v20, v6, v42, -v20
	v_fmac_f32_e32 v22, v35, v32
	v_add_f32_e32 v20, v24, v20
	v_mul_f32_e32 v24, v7, v45
	v_add_f32_e32 v14, v14, v22
	v_mul_f32_e32 v22, v6, v43
	v_fma_f32 v24, v6, v44, -v24
	v_mul_f32_e32 v6, v6, v45
	v_fmac_f32_e32 v22, v7, v42
	v_fmac_f32_e32 v6, v7, v44
	v_add_f32_e32 v22, v26, v22
	v_add_f32_e32 v26, v4, v6
	v_mul_f32_e32 v4, v37, v43
	v_add_f32_e32 v24, v5, v24
	v_fma_f32 v4, v36, v42, -v4
	v_mul_f32_e32 v5, v36, v43
	v_fmac_f32_e32 v5, v37, v42
	v_add_f32_e32 v16, v16, v4
	v_mul_f32_e32 v4, v37, v45
	v_add_f32_e32 v18, v18, v5
	v_fma_f32 v29, v36, v44, -v4
	ds_read2_b64 v[4:7], v27 offset0:192 offset1:208
	v_mul_f32_e32 v30, v36, v45
	v_fmac_f32_e32 v30, v37, v44
	v_add_f32_e32 v8, v8, v29
	v_add_f32_e32 v14, v14, v30
	s_waitcnt lgkmcnt(0)
	v_mul_f32_e32 v29, v1, v5
	v_fma_f32 v29, v0, v4, -v29
	v_mul_f32_e32 v30, v0, v5
	v_fmac_f32_e32 v30, v1, v4
	v_add_f32_e32 v20, v20, v29
	v_mul_f32_e32 v29, v1, v7
	v_add_f32_e32 v22, v22, v30
	v_fma_f32 v29, v0, v6, -v29
	v_mul_f32_e32 v0, v0, v7
	ds_read2_b64 v[30:33], v27 offset0:224 offset1:240
	v_fmac_f32_e32 v0, v1, v6
	v_add_f32_e32 v1, v24, v29
	v_mul_f32_e32 v24, v39, v5
	v_fma_f32 v24, v38, v4, -v24
	v_mul_f32_e32 v5, v38, v5
	v_fmac_f32_e32 v5, v39, v4
	v_add_f32_e32 v4, v16, v24
	v_mul_f32_e32 v16, v39, v7
	v_fma_f32 v16, v38, v6, -v16
	v_mul_f32_e32 v7, v38, v7
	v_fmac_f32_e32 v7, v39, v6
	v_add_f32_e32 v6, v8, v16
	s_waitcnt lgkmcnt(0)
	v_mul_f32_e32 v8, v3, v31
	v_fma_f32 v8, v2, v30, -v8
	v_add_f32_e32 v24, v20, v8
	v_mul_f32_e32 v8, v3, v33
	v_add_f32_e32 v7, v14, v7
	v_mul_f32_e32 v14, v2, v31
	v_fma_f32 v8, v2, v32, -v8
	v_mul_f32_e32 v2, v2, v33
	v_add_f32_e32 v0, v26, v0
	v_fmac_f32_e32 v14, v3, v30
	v_fmac_f32_e32 v2, v3, v32
	v_add_f32_e32 v26, v22, v14
	v_add_f32_e32 v20, v1, v8
	v_add_f32_e32 v22, v0, v2
	v_mul_f32_e32 v0, v41, v31
	v_mul_f32_e32 v1, v40, v31
	v_add_f32_e32 v5, v18, v5
	v_fma_f32 v0, v40, v30, -v0
	v_fmac_f32_e32 v1, v41, v30
	v_add_f32_e32 v16, v4, v0
	v_add_f32_e32 v18, v5, v1
	v_mul_f32_e32 v0, v41, v33
	v_mul_f32_e32 v1, v40, v33
	v_fma_f32 v0, v40, v32, -v0
	v_fmac_f32_e32 v1, v41, v32
	s_add_i32 s25, s25, 8
	v_add_f32_e32 v8, v6, v0
	v_add_f32_e32 v14, v7, v1
	v_lshl_add_u64 v[10:11], v[10:11], 0, 64
	s_cmp_lt_i32 s25, s23
	v_lshl_add_u64 v[12:13], v[12:13], 0, s[8:9]
	s_barrier
	s_cbranch_scc0 .LBB88_14
.LBB88_8:                               ; =>This Inner Loop Header: Depth=1
	v_add_u32_e32 v0, s25, v21
	v_cmp_le_i32_e64 s[2:3], s23, v0
	s_or_b64 s[2:3], s[14:15], s[2:3]
	s_and_saveexec_b64 s[16:17], s[2:3]
	s_xor_b64 s[2:3], exec, s[16:17]
; %bb.9:                                ;   in Loop: Header=BB88_8 Depth=1
	ds_write_b32 v23, v9
; %bb.10:                               ;   in Loop: Header=BB88_8 Depth=1
	s_or_saveexec_b64 s[2:3], s[2:3]
	v_mov_b32_e32 v2, 0
	v_mov_b32_e32 v0, 0
	s_xor_b64 exec, exec, s[2:3]
	s_cbranch_execz .LBB88_12
; %bb.11:                               ;   in Loop: Header=BB88_8 Depth=1
	global_load_dwordx2 v[4:5], v[10:11], off offset:-4
	s_waitcnt vmcnt(0)
	v_xor_b32_e32 v0, 0x80000000, v5
	ds_write_b32 v23, v4
.LBB88_12:                              ;   in Loop: Header=BB88_8 Depth=1
	s_or_b64 exec, exec, s[2:3]
	ds_write_b32 v23, v0 offset:4
	v_add_u32_e32 v0, s25, v19
	v_cmp_gt_i32_e64 s[2:3], s23, v0
	s_and_b64 s[16:17], s[2:3], vcc
	v_mov_b32_e32 v3, 0
	s_and_saveexec_b64 s[2:3], s[16:17]
	s_cbranch_execz .LBB88_7
; %bb.13:                               ;   in Loop: Header=BB88_8 Depth=1
	global_load_dwordx2 v[2:3], v[12:13], off
	s_branch .LBB88_7
.LBB88_14:
	s_load_dwordx2 s[2:3], s[0:1], 0x58
	s_load_dword s14, s[0:1], 0x50
	v_add_u32_e32 v9, s5, v15
	v_add_u32_e32 v0, s24, v17
	v_cmp_le_i32_e32 vcc, v9, v0
	s_waitcnt lgkmcnt(0)
	s_mul_i32 s1, s3, s4
	s_mul_hi_u32 s3, s2, s4
	s_mul_i32 s0, s2, s4
	s_add_i32 s1, s3, s1
	s_lshl_b64 s[0:1], s[0:1], 3
	s_add_u32 s8, s12, s0
	s_addc_u32 s9, s13, s1
	v_cmp_neq_f32_e64 s[0:1], s6, 0
	s_xor_b64 s[4:5], s[10:11], -1
	v_mad_i64_i32 v[2:3], s[2:3], v9, s14, 0
	s_or_b64 s[0:1], s[0:1], s[4:5]
	v_lshl_add_u64 v[4:5], v[2:3], 3, s[8:9]
	v_cmp_gt_i32_e64 s[2:3], s22, v0
	v_cndmask_b32_e64 v2, 0, 1, s[0:1]
	s_and_b64 s[10:11], vcc, s[2:3]
	v_ashrrev_i32_e32 v1, 31, v0
	v_cmp_ne_u32_e64 s[0:1], 1, v2
	s_and_saveexec_b64 s[4:5], s[10:11]
	s_cbranch_execz .LBB88_18
; %bb.15:
	v_pk_mul_f32 v[6:7], v[26:27], s[20:21] op_sel:[0,1] op_sel_hi:[0,0]
	v_pk_fma_f32 v[2:3], v[24:25], s[20:21], v[6:7] op_sel_hi:[0,1,1] neg_lo:[0,0,1] neg_hi:[0,0,1]
	v_pk_fma_f32 v[10:11], v[24:25], s[20:21], v[6:7] op_sel_hi:[0,1,1]
	s_and_b64 vcc, exec, s[0:1]
	v_lshl_add_u64 v[6:7], v[0:1], 3, v[4:5]
	s_cbranch_vccnz .LBB88_17
; %bb.16:
	global_load_dwordx2 v[12:13], v[6:7], off
	s_mov_b32 s10, s7
	v_mov_b32_e32 v3, v11
	s_waitcnt vmcnt(0)
	v_pk_mul_f32 v[10:11], v[12:13], s[10:11] op_sel:[1,0] op_sel_hi:[0,0]
	v_pk_fma_f32 v[24:25], v[12:13], s[6:7], v[10:11] neg_lo:[0,0,1] neg_hi:[0,0,1]
	v_pk_fma_f32 v[10:11], v[12:13], s[6:7], v[10:11] op_sel_hi:[1,0,1]
	s_nop 0
	v_mov_b32_e32 v25, v11
	v_pk_add_f32 v[2:3], v[2:3], v[24:25]
	s_nop 0
	v_mov_b32_e32 v11, v3
.LBB88_17:
	v_mov_b32_e32 v3, v11
	global_store_dwordx2 v[6:7], v[2:3], off
.LBB88_18:
	s_or_b64 exec, exec, s[4:5]
	v_add_u32_e32 v2, 16, v0
	v_cmp_le_i32_e32 vcc, v9, v2
	v_cmp_gt_i32_e64 s[4:5], s22, v2
	s_and_b64 s[12:13], vcc, s[4:5]
	v_ashrrev_i32_e32 v3, 31, v2
	s_and_saveexec_b64 s[10:11], s[12:13]
	s_cbranch_execz .LBB88_22
; %bb.19:
	v_pk_mul_f32 v[10:11], v[22:23], s[20:21] op_sel:[0,1] op_sel_hi:[0,0]
	v_pk_fma_f32 v[6:7], v[20:21], s[20:21], v[10:11] op_sel_hi:[0,1,1] neg_lo:[0,0,1] neg_hi:[0,0,1]
	v_pk_fma_f32 v[10:11], v[20:21], s[20:21], v[10:11] op_sel_hi:[0,1,1]
	s_and_b64 vcc, exec, s[0:1]
	v_lshl_add_u64 v[4:5], v[2:3], 3, v[4:5]
	s_cbranch_vccnz .LBB88_21
; %bb.20:
	global_load_dwordx2 v[12:13], v[4:5], off
	s_mov_b32 s12, s7
	v_mov_b32_e32 v7, v11
	s_waitcnt vmcnt(0)
	v_pk_mul_f32 v[10:11], v[12:13], s[12:13] op_sel:[1,0] op_sel_hi:[0,0]
	v_pk_fma_f32 v[20:21], v[12:13], s[6:7], v[10:11] neg_lo:[0,0,1] neg_hi:[0,0,1]
	v_pk_fma_f32 v[10:11], v[12:13], s[6:7], v[10:11] op_sel_hi:[1,0,1]
	s_nop 0
	v_mov_b32_e32 v21, v11
	v_pk_add_f32 v[6:7], v[6:7], v[20:21]
	s_nop 0
	v_mov_b32_e32 v11, v7
.LBB88_21:
	v_mov_b32_e32 v7, v11
	global_store_dwordx2 v[4:5], v[6:7], off
.LBB88_22:
	s_or_b64 exec, exec, s[10:11]
	v_add_u32_e32 v9, 16, v9
	v_mad_i64_i32 v[4:5], s[10:11], v9, s14, 0
	v_cmp_le_i32_e32 vcc, v9, v0
	v_lshl_add_u64 v[4:5], v[4:5], 3, s[8:9]
	s_and_b64 s[8:9], vcc, s[2:3]
	s_and_saveexec_b64 s[2:3], s[8:9]
	s_cbranch_execz .LBB88_26
; %bb.23:
	v_pk_mul_f32 v[10:11], v[18:19], s[20:21] op_sel:[0,1] op_sel_hi:[0,0]
	v_pk_fma_f32 v[6:7], v[16:17], s[20:21], v[10:11] op_sel_hi:[0,1,1] neg_lo:[0,0,1] neg_hi:[0,0,1]
	v_pk_fma_f32 v[10:11], v[16:17], s[20:21], v[10:11] op_sel_hi:[0,1,1]
	s_and_b64 vcc, exec, s[0:1]
	v_lshl_add_u64 v[0:1], v[0:1], 3, v[4:5]
	s_cbranch_vccnz .LBB88_25
; %bb.24:
	global_load_dwordx2 v[12:13], v[0:1], off
	s_mov_b32 s8, s7
	v_mov_b32_e32 v7, v11
	s_waitcnt vmcnt(0)
	v_pk_mul_f32 v[10:11], v[12:13], s[8:9] op_sel:[1,0] op_sel_hi:[0,0]
	v_pk_fma_f32 v[16:17], v[12:13], s[6:7], v[10:11] neg_lo:[0,0,1] neg_hi:[0,0,1]
	v_pk_fma_f32 v[10:11], v[12:13], s[6:7], v[10:11] op_sel_hi:[1,0,1]
	s_nop 0
	v_mov_b32_e32 v17, v11
	v_pk_add_f32 v[6:7], v[6:7], v[16:17]
	s_nop 0
	v_mov_b32_e32 v11, v7
.LBB88_25:
	v_mov_b32_e32 v7, v11
	global_store_dwordx2 v[0:1], v[6:7], off
.LBB88_26:
	s_or_b64 exec, exec, s[2:3]
	v_cmp_le_i32_e32 vcc, v9, v2
	s_and_b64 s[2:3], vcc, s[4:5]
	s_and_saveexec_b64 s[4:5], s[2:3]
	s_cbranch_execz .LBB88_30
; %bb.27:
	v_pk_mul_f32 v[6:7], v[14:15], s[20:21] op_sel:[0,1] op_sel_hi:[0,0]
	v_pk_fma_f32 v[0:1], v[8:9], s[20:21], v[6:7] op_sel_hi:[0,1,1] neg_lo:[0,0,1] neg_hi:[0,0,1]
	v_pk_fma_f32 v[6:7], v[8:9], s[20:21], v[6:7] op_sel_hi:[0,1,1]
	s_and_b64 vcc, exec, s[0:1]
	v_lshl_add_u64 v[2:3], v[2:3], 3, v[4:5]
	s_cbranch_vccnz .LBB88_29
; %bb.28:
	global_load_dwordx2 v[4:5], v[2:3], off
	s_mov_b32 s0, s7
	v_mov_b32_e32 v1, v7
	s_waitcnt vmcnt(0)
	v_pk_mul_f32 v[6:7], v[4:5], s[0:1] op_sel:[1,0] op_sel_hi:[0,0]
	v_pk_fma_f32 v[8:9], v[4:5], s[6:7], v[6:7] neg_lo:[0,0,1] neg_hi:[0,0,1]
	v_pk_fma_f32 v[4:5], v[4:5], s[6:7], v[6:7] op_sel_hi:[1,0,1]
	s_nop 0
	v_mov_b32_e32 v9, v5
	v_pk_add_f32 v[0:1], v[0:1], v[8:9]
	s_nop 0
	v_mov_b32_e32 v7, v1
.LBB88_29:
	v_mov_b32_e32 v1, v7
	global_store_dwordx2 v[2:3], v[0:1], off
.LBB88_30:
	s_endpgm
	.section	.rodata,"a",@progbits
	.p2align	6, 0x0
	.amdhsa_kernel _ZL29rocblas_internal_gemmt_kernelIiLi16ELi32ELi8ELc67ELc84ELc76ELb1ELb0E19rocblas_complex_numIfEPKS1_S3_PS1_EviT_T9_T10_S5_lS7_S5_lS6_T11_S5_li
		.amdhsa_group_segment_fixed_size 4096
		.amdhsa_private_segment_fixed_size 0
		.amdhsa_kernarg_size 100
		.amdhsa_user_sgpr_count 2
		.amdhsa_user_sgpr_dispatch_ptr 0
		.amdhsa_user_sgpr_queue_ptr 0
		.amdhsa_user_sgpr_kernarg_segment_ptr 1
		.amdhsa_user_sgpr_dispatch_id 0
		.amdhsa_user_sgpr_kernarg_preload_length 0
		.amdhsa_user_sgpr_kernarg_preload_offset 0
		.amdhsa_user_sgpr_private_segment_size 0
		.amdhsa_uses_dynamic_stack 0
		.amdhsa_enable_private_segment 0
		.amdhsa_system_sgpr_workgroup_id_x 1
		.amdhsa_system_sgpr_workgroup_id_y 1
		.amdhsa_system_sgpr_workgroup_id_z 1
		.amdhsa_system_sgpr_workgroup_info 0
		.amdhsa_system_vgpr_workitem_id 1
		.amdhsa_next_free_vgpr 54
		.amdhsa_next_free_sgpr 30
		.amdhsa_accum_offset 56
		.amdhsa_reserve_vcc 1
		.amdhsa_float_round_mode_32 0
		.amdhsa_float_round_mode_16_64 0
		.amdhsa_float_denorm_mode_32 3
		.amdhsa_float_denorm_mode_16_64 3
		.amdhsa_dx10_clamp 1
		.amdhsa_ieee_mode 1
		.amdhsa_fp16_overflow 0
		.amdhsa_tg_split 0
		.amdhsa_exception_fp_ieee_invalid_op 0
		.amdhsa_exception_fp_denorm_src 0
		.amdhsa_exception_fp_ieee_div_zero 0
		.amdhsa_exception_fp_ieee_overflow 0
		.amdhsa_exception_fp_ieee_underflow 0
		.amdhsa_exception_fp_ieee_inexact 0
		.amdhsa_exception_int_div_zero 0
	.end_amdhsa_kernel
	.section	.text._ZL29rocblas_internal_gemmt_kernelIiLi16ELi32ELi8ELc67ELc84ELc76ELb1ELb0E19rocblas_complex_numIfEPKS1_S3_PS1_EviT_T9_T10_S5_lS7_S5_lS6_T11_S5_li,"axG",@progbits,_ZL29rocblas_internal_gemmt_kernelIiLi16ELi32ELi8ELc67ELc84ELc76ELb1ELb0E19rocblas_complex_numIfEPKS1_S3_PS1_EviT_T9_T10_S5_lS7_S5_lS6_T11_S5_li,comdat
.Lfunc_end88:
	.size	_ZL29rocblas_internal_gemmt_kernelIiLi16ELi32ELi8ELc67ELc84ELc76ELb1ELb0E19rocblas_complex_numIfEPKS1_S3_PS1_EviT_T9_T10_S5_lS7_S5_lS6_T11_S5_li, .Lfunc_end88-_ZL29rocblas_internal_gemmt_kernelIiLi16ELi32ELi8ELc67ELc84ELc76ELb1ELb0E19rocblas_complex_numIfEPKS1_S3_PS1_EviT_T9_T10_S5_lS7_S5_lS6_T11_S5_li
                                        ; -- End function
	.set _ZL29rocblas_internal_gemmt_kernelIiLi16ELi32ELi8ELc67ELc84ELc76ELb1ELb0E19rocblas_complex_numIfEPKS1_S3_PS1_EviT_T9_T10_S5_lS7_S5_lS6_T11_S5_li.num_vgpr, 54
	.set _ZL29rocblas_internal_gemmt_kernelIiLi16ELi32ELi8ELc67ELc84ELc76ELb1ELb0E19rocblas_complex_numIfEPKS1_S3_PS1_EviT_T9_T10_S5_lS7_S5_lS6_T11_S5_li.num_agpr, 0
	.set _ZL29rocblas_internal_gemmt_kernelIiLi16ELi32ELi8ELc67ELc84ELc76ELb1ELb0E19rocblas_complex_numIfEPKS1_S3_PS1_EviT_T9_T10_S5_lS7_S5_lS6_T11_S5_li.numbered_sgpr, 30
	.set _ZL29rocblas_internal_gemmt_kernelIiLi16ELi32ELi8ELc67ELc84ELc76ELb1ELb0E19rocblas_complex_numIfEPKS1_S3_PS1_EviT_T9_T10_S5_lS7_S5_lS6_T11_S5_li.num_named_barrier, 0
	.set _ZL29rocblas_internal_gemmt_kernelIiLi16ELi32ELi8ELc67ELc84ELc76ELb1ELb0E19rocblas_complex_numIfEPKS1_S3_PS1_EviT_T9_T10_S5_lS7_S5_lS6_T11_S5_li.private_seg_size, 0
	.set _ZL29rocblas_internal_gemmt_kernelIiLi16ELi32ELi8ELc67ELc84ELc76ELb1ELb0E19rocblas_complex_numIfEPKS1_S3_PS1_EviT_T9_T10_S5_lS7_S5_lS6_T11_S5_li.uses_vcc, 1
	.set _ZL29rocblas_internal_gemmt_kernelIiLi16ELi32ELi8ELc67ELc84ELc76ELb1ELb0E19rocblas_complex_numIfEPKS1_S3_PS1_EviT_T9_T10_S5_lS7_S5_lS6_T11_S5_li.uses_flat_scratch, 0
	.set _ZL29rocblas_internal_gemmt_kernelIiLi16ELi32ELi8ELc67ELc84ELc76ELb1ELb0E19rocblas_complex_numIfEPKS1_S3_PS1_EviT_T9_T10_S5_lS7_S5_lS6_T11_S5_li.has_dyn_sized_stack, 0
	.set _ZL29rocblas_internal_gemmt_kernelIiLi16ELi32ELi8ELc67ELc84ELc76ELb1ELb0E19rocblas_complex_numIfEPKS1_S3_PS1_EviT_T9_T10_S5_lS7_S5_lS6_T11_S5_li.has_recursion, 0
	.set _ZL29rocblas_internal_gemmt_kernelIiLi16ELi32ELi8ELc67ELc84ELc76ELb1ELb0E19rocblas_complex_numIfEPKS1_S3_PS1_EviT_T9_T10_S5_lS7_S5_lS6_T11_S5_li.has_indirect_call, 0
	.section	.AMDGPU.csdata,"",@progbits
; Kernel info:
; codeLenInByte = 2512
; TotalNumSgprs: 36
; NumVgprs: 54
; NumAgprs: 0
; TotalNumVgprs: 54
; ScratchSize: 0
; MemoryBound: 0
; FloatMode: 240
; IeeeMode: 1
; LDSByteSize: 4096 bytes/workgroup (compile time only)
; SGPRBlocks: 4
; VGPRBlocks: 6
; NumSGPRsForWavesPerEU: 36
; NumVGPRsForWavesPerEU: 54
; AccumOffset: 56
; Occupancy: 8
; WaveLimiterHint : 0
; COMPUTE_PGM_RSRC2:SCRATCH_EN: 0
; COMPUTE_PGM_RSRC2:USER_SGPR: 2
; COMPUTE_PGM_RSRC2:TRAP_HANDLER: 0
; COMPUTE_PGM_RSRC2:TGID_X_EN: 1
; COMPUTE_PGM_RSRC2:TGID_Y_EN: 1
; COMPUTE_PGM_RSRC2:TGID_Z_EN: 1
; COMPUTE_PGM_RSRC2:TIDIG_COMP_CNT: 1
; COMPUTE_PGM_RSRC3_GFX90A:ACCUM_OFFSET: 13
; COMPUTE_PGM_RSRC3_GFX90A:TG_SPLIT: 0
	.section	.text._ZL29rocblas_internal_gemmt_kernelIiLi16ELi32ELi8ELc67ELc67ELc76ELb1ELb1E19rocblas_complex_numIfEPKS1_S3_PS1_EviT_T9_T10_S5_lS7_S5_lS6_T11_S5_li,"axG",@progbits,_ZL29rocblas_internal_gemmt_kernelIiLi16ELi32ELi8ELc67ELc67ELc76ELb1ELb1E19rocblas_complex_numIfEPKS1_S3_PS1_EviT_T9_T10_S5_lS7_S5_lS6_T11_S5_li,comdat
	.globl	_ZL29rocblas_internal_gemmt_kernelIiLi16ELi32ELi8ELc67ELc67ELc76ELb1ELb1E19rocblas_complex_numIfEPKS1_S3_PS1_EviT_T9_T10_S5_lS7_S5_lS6_T11_S5_li ; -- Begin function _ZL29rocblas_internal_gemmt_kernelIiLi16ELi32ELi8ELc67ELc67ELc76ELb1ELb1E19rocblas_complex_numIfEPKS1_S3_PS1_EviT_T9_T10_S5_lS7_S5_lS6_T11_S5_li
	.p2align	8
	.type	_ZL29rocblas_internal_gemmt_kernelIiLi16ELi32ELi8ELc67ELc67ELc76ELb1ELb1E19rocblas_complex_numIfEPKS1_S3_PS1_EviT_T9_T10_S5_lS7_S5_lS6_T11_S5_li,@function
_ZL29rocblas_internal_gemmt_kernelIiLi16ELi32ELi8ELc67ELc67ELc76ELb1ELb1E19rocblas_complex_numIfEPKS1_S3_PS1_EviT_T9_T10_S5_lS7_S5_lS6_T11_S5_li: ; @_ZL29rocblas_internal_gemmt_kernelIiLi16ELi32ELi8ELc67ELc67ELc76ELb1ELb1E19rocblas_complex_numIfEPKS1_S3_PS1_EviT_T9_T10_S5_lS7_S5_lS6_T11_S5_li
; %bb.0:
	s_load_dwordx4 s[8:11], s[0:1], 0x38
	s_load_dwordx4 s[12:15], s[0:1], 0x8
	s_waitcnt lgkmcnt(0)
	s_load_dwordx2 s[6:7], s[10:11], 0x0
	s_load_dwordx2 s[22:23], s[0:1], 0x0
	;; [unrolled: 1-line block ×3, first 2 shown]
	s_waitcnt lgkmcnt(0)
	s_and_b32 s5, s7, 0x7fffffff
	s_cmp_eq_u32 s5, 0
	v_cmp_eq_f32_e64 s[12:13], s6, 1.0
	s_cselect_b64 s[10:11], -1, 0
	s_and_b64 s[12:13], s[12:13], s[10:11]
	s_and_b64 vcc, exec, s[12:13]
	s_cbranch_vccnz .LBB89_2
; %bb.1:
	s_mov_b64 s[12:13], -1
	s_cbranch_execz .LBB89_3
	s_branch .LBB89_4
.LBB89_2:
	s_mov_b64 s[12:13], 0
.LBB89_3:
	s_cmp_lg_u32 s23, 0
	v_cmp_neq_f32_e64 s[16:17], s20, 0
	v_cmp_neq_f32_e64 s[18:19], s21, 0
	s_cselect_b64 s[12:13], -1, 0
	s_or_b64 s[16:17], s[16:17], s[18:19]
	s_and_b64 s[12:13], s[12:13], s[16:17]
.LBB89_4:
	s_andn2_b64 vcc, exec, s[12:13]
	s_cbranch_vccnz .LBB89_32
; %bb.5:
	s_lshl_b32 s24, s2, 5
	s_lshl_b32 s5, s3, 5
	v_cmp_eq_f32_e64 s[2:3], s20, 0
	v_cmp_eq_f32_e64 s[16:17], s21, 0
	s_load_dwordx2 s[12:13], s[0:1], 0x48
	s_and_b64 s[2:3], s[2:3], s[16:17]
	s_cmp_lt_i32 s23, 1
	s_cselect_b64 s[16:17], -1, 0
	s_or_b64 s[2:3], s[2:3], s[16:17]
	v_and_b32_e32 v17, 0x3ff, v0
	v_bfe_u32 v15, v0, 10, 10
	s_mov_b32 s25, 0
	v_mov_b32_e32 v24, 0
	s_and_b64 vcc, exec, s[2:3]
	v_mov_b32_e32 v26, 0
	v_mov_b32_e32 v20, 0
	;; [unrolled: 1-line block ×7, first 2 shown]
	s_cbranch_vccnz .LBB89_16
; %bb.6:
	v_lshl_add_u32 v1, v15, 4, v17
	v_and_b32_e32 v3, 31, v1
	v_lshrrev_b32_e32 v21, 5, v1
	v_lshrrev_b32_e32 v2, 3, v1
	v_or_b32_e32 v1, s24, v3
	s_load_dword s28, s[0:1], 0x18
	s_load_dword s26, s[0:1], 0x30
	s_load_dwordx4 s[16:19], s[0:1], 0x20
	v_and_b32_e32 v19, 7, v17
	v_cmp_gt_i32_e32 vcc, s22, v1
	v_lshlrev_b32_e32 v1, 3, v3
	v_lshl_or_b32 v23, v21, 8, v1
	v_lshlrev_b32_e32 v1, 3, v19
	v_add_u32_e32 v0, s5, v2
	v_lshl_or_b32 v1, v2, 6, v1
	v_mov_b32_e32 v2, 0x800
	v_lshl_add_u32 v28, v15, 6, v2
	v_add_u32_e32 v2, s24, v3
	s_waitcnt lgkmcnt(0)
	v_mad_i64_i32 v[2:3], s[28:29], s28, v2, 0
	s_mul_i32 s17, s17, s4
	s_mul_hi_u32 s28, s16, s4
	s_add_i32 s17, s28, s17
	s_mul_i32 s16, s16, s4
	s_lshl_b64 s[16:17], s[16:17], 3
	v_lshl_add_u64 v[2:3], v[2:3], 3, s[16:17]
	v_lshlrev_b32_e32 v8, 3, v21
	v_mov_b32_e32 v9, 0
	v_lshl_add_u64 v[2:3], v[2:3], 0, v[8:9]
	v_lshl_add_u64 v[10:11], s[14:15], 0, v[2:3]
	s_mul_i32 s9, s9, s4
	s_mul_hi_u32 s14, s8, s4
	s_add_i32 s9, s14, s9
	v_mad_i64_i32 v[2:3], s[14:15], s26, v19, 0
	s_mul_i32 s8, s8, s4
	v_lshlrev_b64 v[2:3], 3, v[2:3]
	v_add_u32_e32 v25, 0x800, v1
	v_ashrrev_i32_e32 v1, 31, v0
	v_lshl_add_u64 v[2:3], s[8:9], 3, v[2:3]
	v_cmp_gt_i32_e64 s[2:3], s22, v0
	v_lshl_add_u64 v[0:1], v[0:1], 3, v[2:3]
	s_ashr_i32 s27, s26, 31
	v_lshl_add_u64 v[0:1], s[18:19], 0, v[0:1]
	v_lshlrev_b32_e32 v27, 3, v17
	v_lshl_add_u64 v[12:13], v[0:1], 0, 4
	s_lshl_b64 s[8:9], s[26:27], 6
	s_xor_b64 s[14:15], vcc, -1
	s_xor_b64 s[2:3], s[2:3], -1
	v_mov_b32_e32 v14, 0
	v_mov_b32_e32 v8, 0
	;; [unrolled: 1-line block ×8, first 2 shown]
	s_branch .LBB89_8
.LBB89_7:                               ;   in Loop: Header=BB89_8 Depth=1
	s_or_b64 exec, exec, s[16:17]
	ds_write_b32 v25, v0 offset:4
	s_waitcnt lgkmcnt(0)
	s_barrier
	ds_read2_b64 v[30:33], v27 offset1:16
	ds_read_b128 v[34:37], v28
	ds_read_b128 v[38:41], v28 offset:16
	ds_read_b128 v[4:7], v28 offset:32
	;; [unrolled: 1-line block ×3, first 2 shown]
	ds_read2_b64 v[50:53], v27 offset0:32 offset1:48
	s_waitcnt lgkmcnt(4)
	v_mul_f32_e32 v42, v34, v31
	v_fmac_f32_e32 v42, v35, v30
	v_add_f32_e32 v26, v26, v42
	ds_read_b128 v[42:45], v28 offset:1024
	ds_read_b128 v[46:49], v28 offset:1040
	v_mul_f32_e32 v29, v35, v31
	v_fma_f32 v29, v34, v30, -v29
	v_add_f32_e32 v24, v24, v29
	v_mul_f32_e32 v29, v35, v33
	v_fma_f32 v29, v34, v32, -v29
	v_add_f32_e32 v20, v20, v29
	s_waitcnt lgkmcnt(1)
	v_mul_f32_e32 v29, v43, v31
	v_mul_f32_e32 v31, v42, v31
	v_fma_f32 v29, v42, v30, -v29
	v_fmac_f32_e32 v31, v43, v30
	v_mul_f32_e32 v30, v42, v33
	v_fmac_f32_e32 v30, v43, v32
	v_add_f32_e32 v14, v14, v30
	v_mul_f32_e32 v30, v36, v51
	v_mul_f32_e32 v34, v34, v33
	v_fmac_f32_e32 v30, v37, v50
	v_fmac_f32_e32 v34, v35, v32
	v_add_f32_e32 v26, v26, v30
	v_mul_f32_e32 v30, v36, v53
	v_add_f32_e32 v22, v22, v34
	v_add_f32_e32 v16, v16, v29
	v_mul_f32_e32 v29, v43, v33
	v_fmac_f32_e32 v30, v37, v52
	v_fma_f32 v29, v42, v32, -v29
	v_add_f32_e32 v22, v22, v30
	v_mul_f32_e32 v30, v44, v51
	v_add_f32_e32 v18, v18, v31
	v_add_f32_e32 v8, v8, v29
	v_mul_f32_e32 v29, v37, v51
	v_fmac_f32_e32 v30, v45, v50
	v_fma_f32 v29, v36, v50, -v29
	v_add_f32_e32 v18, v18, v30
	ds_read2_b64 v[30:33], v27 offset0:64 offset1:80
	v_add_f32_e32 v24, v24, v29
	v_mul_f32_e32 v29, v37, v53
	v_fma_f32 v29, v36, v52, -v29
	v_add_f32_e32 v20, v20, v29
	v_mul_f32_e32 v29, v45, v51
	v_mul_f32_e32 v34, v44, v53
	v_fma_f32 v29, v44, v50, -v29
	v_fmac_f32_e32 v34, v45, v52
	v_add_f32_e32 v16, v16, v29
	v_mul_f32_e32 v29, v45, v53
	v_add_f32_e32 v14, v14, v34
	s_waitcnt lgkmcnt(0)
	v_mul_f32_e32 v34, v38, v31
	v_fma_f32 v29, v44, v52, -v29
	v_fmac_f32_e32 v34, v39, v30
	v_add_f32_e32 v8, v8, v29
	v_mul_f32_e32 v29, v39, v31
	v_add_f32_e32 v26, v26, v34
	v_mul_f32_e32 v34, v38, v33
	v_fma_f32 v29, v38, v30, -v29
	v_fmac_f32_e32 v34, v39, v32
	v_add_f32_e32 v24, v24, v29
	v_mul_f32_e32 v29, v39, v33
	v_add_f32_e32 v22, v22, v34
	ds_read2_b64 v[34:37], v27 offset0:96 offset1:112
	v_fma_f32 v29, v38, v32, -v29
	v_add_f32_e32 v20, v20, v29
	v_mul_f32_e32 v29, v47, v31
	v_mul_f32_e32 v31, v46, v31
	v_fma_f32 v29, v46, v30, -v29
	v_fmac_f32_e32 v31, v47, v30
	v_mul_f32_e32 v30, v46, v33
	v_fmac_f32_e32 v30, v47, v32
	v_add_f32_e32 v14, v14, v30
	s_waitcnt lgkmcnt(0)
	v_mul_f32_e32 v30, v40, v35
	v_fmac_f32_e32 v30, v41, v34
	v_add_f32_e32 v16, v16, v29
	v_mul_f32_e32 v29, v47, v33
	v_add_f32_e32 v26, v26, v30
	v_mul_f32_e32 v30, v40, v37
	v_fma_f32 v29, v46, v32, -v29
	v_fmac_f32_e32 v30, v41, v36
	v_add_f32_e32 v8, v8, v29
	v_mul_f32_e32 v29, v41, v35
	v_add_f32_e32 v22, v22, v30
	v_mul_f32_e32 v30, v48, v35
	v_add_f32_e32 v18, v18, v31
	v_fma_f32 v29, v40, v34, -v29
	v_fmac_f32_e32 v30, v49, v34
	v_add_f32_e32 v24, v24, v29
	v_mul_f32_e32 v29, v41, v37
	v_add_f32_e32 v18, v18, v30
	ds_read2_b64 v[30:33], v27 offset0:128 offset1:144
	v_fma_f32 v29, v40, v36, -v29
	v_add_f32_e32 v20, v20, v29
	v_mul_f32_e32 v29, v49, v35
	v_fma_f32 v29, v48, v34, -v29
	v_mul_f32_e32 v34, v48, v37
	v_fmac_f32_e32 v34, v49, v36
	v_add_f32_e32 v14, v14, v34
	s_waitcnt lgkmcnt(0)
	v_mul_f32_e32 v34, v4, v31
	v_add_f32_e32 v16, v16, v29
	v_mul_f32_e32 v29, v49, v37
	v_fmac_f32_e32 v34, v5, v30
	v_fma_f32 v29, v48, v36, -v29
	v_add_f32_e32 v26, v26, v34
	ds_read_b128 v[34:37], v28 offset:1056
	ds_read_b128 v[38:41], v28 offset:1072
	v_add_f32_e32 v8, v8, v29
	v_mul_f32_e32 v29, v5, v31
	v_fma_f32 v29, v4, v30, -v29
	v_add_f32_e32 v24, v24, v29
	v_mul_f32_e32 v29, v5, v33
	v_fma_f32 v29, v4, v32, -v29
	v_mul_f32_e32 v4, v4, v33
	ds_read2_b64 v[42:45], v27 offset0:160 offset1:176
	v_fmac_f32_e32 v4, v5, v32
	v_add_f32_e32 v5, v20, v29
	s_waitcnt lgkmcnt(2)
	v_mul_f32_e32 v20, v35, v31
	v_fma_f32 v20, v34, v30, -v20
	v_add_f32_e32 v16, v16, v20
	v_mul_f32_e32 v20, v35, v33
	v_add_f32_e32 v4, v22, v4
	v_mul_f32_e32 v22, v34, v31
	v_fma_f32 v20, v34, v32, -v20
	v_fmac_f32_e32 v22, v35, v30
	v_add_f32_e32 v8, v8, v20
	s_waitcnt lgkmcnt(0)
	v_mul_f32_e32 v20, v7, v43
	v_add_f32_e32 v18, v18, v22
	v_mul_f32_e32 v22, v34, v33
	v_fma_f32 v20, v6, v42, -v20
	v_fmac_f32_e32 v22, v35, v32
	v_add_f32_e32 v20, v24, v20
	v_mul_f32_e32 v24, v7, v45
	v_add_f32_e32 v14, v14, v22
	v_mul_f32_e32 v22, v6, v43
	v_fma_f32 v24, v6, v44, -v24
	v_mul_f32_e32 v6, v6, v45
	v_fmac_f32_e32 v22, v7, v42
	v_fmac_f32_e32 v6, v7, v44
	v_add_f32_e32 v22, v26, v22
	v_add_f32_e32 v26, v4, v6
	v_mul_f32_e32 v4, v37, v43
	v_add_f32_e32 v24, v5, v24
	v_fma_f32 v4, v36, v42, -v4
	v_mul_f32_e32 v5, v36, v43
	v_fmac_f32_e32 v5, v37, v42
	v_add_f32_e32 v16, v16, v4
	v_mul_f32_e32 v4, v37, v45
	v_add_f32_e32 v18, v18, v5
	v_fma_f32 v29, v36, v44, -v4
	ds_read2_b64 v[4:7], v27 offset0:192 offset1:208
	v_mul_f32_e32 v30, v36, v45
	v_fmac_f32_e32 v30, v37, v44
	v_add_f32_e32 v8, v8, v29
	v_add_f32_e32 v14, v14, v30
	s_waitcnt lgkmcnt(0)
	v_mul_f32_e32 v29, v1, v5
	v_fma_f32 v29, v0, v4, -v29
	v_mul_f32_e32 v30, v0, v5
	v_fmac_f32_e32 v30, v1, v4
	v_add_f32_e32 v20, v20, v29
	v_mul_f32_e32 v29, v1, v7
	v_add_f32_e32 v22, v22, v30
	v_fma_f32 v29, v0, v6, -v29
	v_mul_f32_e32 v0, v0, v7
	ds_read2_b64 v[30:33], v27 offset0:224 offset1:240
	v_fmac_f32_e32 v0, v1, v6
	v_add_f32_e32 v1, v24, v29
	v_mul_f32_e32 v24, v39, v5
	v_fma_f32 v24, v38, v4, -v24
	v_mul_f32_e32 v5, v38, v5
	v_fmac_f32_e32 v5, v39, v4
	v_add_f32_e32 v4, v16, v24
	v_mul_f32_e32 v16, v39, v7
	v_fma_f32 v16, v38, v6, -v16
	v_mul_f32_e32 v7, v38, v7
	v_fmac_f32_e32 v7, v39, v6
	v_add_f32_e32 v6, v8, v16
	s_waitcnt lgkmcnt(0)
	v_mul_f32_e32 v8, v3, v31
	v_fma_f32 v8, v2, v30, -v8
	v_add_f32_e32 v24, v20, v8
	v_mul_f32_e32 v8, v3, v33
	v_add_f32_e32 v7, v14, v7
	v_mul_f32_e32 v14, v2, v31
	v_fma_f32 v8, v2, v32, -v8
	v_mul_f32_e32 v2, v2, v33
	v_add_f32_e32 v0, v26, v0
	v_fmac_f32_e32 v14, v3, v30
	v_fmac_f32_e32 v2, v3, v32
	v_add_f32_e32 v26, v22, v14
	v_add_f32_e32 v20, v1, v8
	;; [unrolled: 1-line block ×3, first 2 shown]
	v_mul_f32_e32 v0, v41, v31
	v_mul_f32_e32 v1, v40, v31
	v_add_f32_e32 v5, v18, v5
	v_fma_f32 v0, v40, v30, -v0
	v_fmac_f32_e32 v1, v41, v30
	v_add_f32_e32 v16, v4, v0
	v_add_f32_e32 v18, v5, v1
	v_mul_f32_e32 v0, v41, v33
	v_mul_f32_e32 v1, v40, v33
	v_fma_f32 v0, v40, v32, -v0
	v_fmac_f32_e32 v1, v41, v32
	s_add_i32 s25, s25, 8
	v_add_f32_e32 v8, v6, v0
	v_add_f32_e32 v14, v7, v1
	v_lshl_add_u64 v[10:11], v[10:11], 0, 64
	s_cmp_lt_i32 s25, s23
	v_lshl_add_u64 v[12:13], v[12:13], 0, s[8:9]
	s_barrier
	s_cbranch_scc0 .LBB89_16
.LBB89_8:                               ; =>This Inner Loop Header: Depth=1
	v_add_u32_e32 v0, s25, v21
	v_cmp_le_i32_e32 vcc, s23, v0
	s_or_b64 s[16:17], s[14:15], vcc
	s_and_saveexec_b64 s[18:19], s[16:17]
	s_xor_b64 s[16:17], exec, s[18:19]
; %bb.9:                                ;   in Loop: Header=BB89_8 Depth=1
	ds_write_b32 v23, v9
; %bb.10:                               ;   in Loop: Header=BB89_8 Depth=1
	s_or_saveexec_b64 s[16:17], s[16:17]
	v_mov_b32_e32 v0, 0
	s_xor_b64 exec, exec, s[16:17]
	s_cbranch_execz .LBB89_12
; %bb.11:                               ;   in Loop: Header=BB89_8 Depth=1
	global_load_dwordx2 v[2:3], v[10:11], off
	s_waitcnt vmcnt(0)
	v_xor_b32_e32 v0, 0x80000000, v3
	ds_write_b32 v23, v2
.LBB89_12:                              ;   in Loop: Header=BB89_8 Depth=1
	s_or_b64 exec, exec, s[16:17]
	ds_write_b32 v23, v0 offset:4
	v_add_u32_e32 v0, s25, v19
	v_cmp_le_i32_e32 vcc, s23, v0
	s_or_b64 s[16:17], vcc, s[2:3]
	s_and_saveexec_b64 s[18:19], s[16:17]
	s_xor_b64 s[16:17], exec, s[18:19]
; %bb.13:                               ;   in Loop: Header=BB89_8 Depth=1
	ds_write_b32 v25, v9
; %bb.14:                               ;   in Loop: Header=BB89_8 Depth=1
	s_or_saveexec_b64 s[16:17], s[16:17]
	v_mov_b32_e32 v0, 0
	s_xor_b64 exec, exec, s[16:17]
	s_cbranch_execz .LBB89_7
; %bb.15:                               ;   in Loop: Header=BB89_8 Depth=1
	global_load_dwordx2 v[2:3], v[12:13], off offset:-4
	s_waitcnt vmcnt(0)
	v_xor_b32_e32 v0, 0x80000000, v3
	ds_write_b32 v25, v2
	s_branch .LBB89_7
.LBB89_16:
	s_load_dwordx2 s[2:3], s[0:1], 0x58
	s_load_dword s14, s[0:1], 0x50
	v_add_u32_e32 v9, s5, v15
	v_add_u32_e32 v0, s24, v17
	v_cmp_le_i32_e32 vcc, v9, v0
	s_waitcnt lgkmcnt(0)
	s_mul_i32 s1, s3, s4
	s_mul_hi_u32 s3, s2, s4
	s_mul_i32 s0, s2, s4
	s_add_i32 s1, s3, s1
	s_lshl_b64 s[0:1], s[0:1], 3
	s_add_u32 s8, s12, s0
	s_addc_u32 s9, s13, s1
	v_cmp_neq_f32_e64 s[0:1], s6, 0
	s_xor_b64 s[4:5], s[10:11], -1
	v_mad_i64_i32 v[2:3], s[2:3], v9, s14, 0
	s_or_b64 s[0:1], s[0:1], s[4:5]
	v_lshl_add_u64 v[4:5], v[2:3], 3, s[8:9]
	v_cmp_gt_i32_e64 s[2:3], s22, v0
	v_cndmask_b32_e64 v2, 0, 1, s[0:1]
	s_and_b64 s[10:11], vcc, s[2:3]
	v_ashrrev_i32_e32 v1, 31, v0
	v_cmp_ne_u32_e64 s[0:1], 1, v2
	s_and_saveexec_b64 s[4:5], s[10:11]
	s_cbranch_execz .LBB89_20
; %bb.17:
	v_pk_mul_f32 v[6:7], v[26:27], s[20:21] op_sel:[0,1] op_sel_hi:[0,0]
	v_pk_fma_f32 v[2:3], v[24:25], s[20:21], v[6:7] op_sel_hi:[0,1,1] neg_lo:[0,0,1] neg_hi:[0,0,1]
	v_pk_fma_f32 v[10:11], v[24:25], s[20:21], v[6:7] op_sel_hi:[0,1,1]
	s_and_b64 vcc, exec, s[0:1]
	v_lshl_add_u64 v[6:7], v[0:1], 3, v[4:5]
	s_cbranch_vccnz .LBB89_19
; %bb.18:
	global_load_dwordx2 v[12:13], v[6:7], off
	s_mov_b32 s10, s7
	v_mov_b32_e32 v3, v11
	s_waitcnt vmcnt(0)
	v_pk_mul_f32 v[10:11], v[12:13], s[10:11] op_sel:[1,0] op_sel_hi:[0,0]
	v_pk_fma_f32 v[24:25], v[12:13], s[6:7], v[10:11] neg_lo:[0,0,1] neg_hi:[0,0,1]
	v_pk_fma_f32 v[10:11], v[12:13], s[6:7], v[10:11] op_sel_hi:[1,0,1]
	s_nop 0
	v_mov_b32_e32 v25, v11
	v_pk_add_f32 v[2:3], v[2:3], v[24:25]
	s_nop 0
	v_mov_b32_e32 v11, v3
.LBB89_19:
	v_mov_b32_e32 v3, v11
	global_store_dwordx2 v[6:7], v[2:3], off
.LBB89_20:
	s_or_b64 exec, exec, s[4:5]
	v_add_u32_e32 v2, 16, v0
	v_cmp_le_i32_e32 vcc, v9, v2
	v_cmp_gt_i32_e64 s[4:5], s22, v2
	s_and_b64 s[12:13], vcc, s[4:5]
	v_ashrrev_i32_e32 v3, 31, v2
	s_and_saveexec_b64 s[10:11], s[12:13]
	s_cbranch_execz .LBB89_24
; %bb.21:
	v_pk_mul_f32 v[10:11], v[22:23], s[20:21] op_sel:[0,1] op_sel_hi:[0,0]
	v_pk_fma_f32 v[6:7], v[20:21], s[20:21], v[10:11] op_sel_hi:[0,1,1] neg_lo:[0,0,1] neg_hi:[0,0,1]
	v_pk_fma_f32 v[10:11], v[20:21], s[20:21], v[10:11] op_sel_hi:[0,1,1]
	s_and_b64 vcc, exec, s[0:1]
	v_lshl_add_u64 v[4:5], v[2:3], 3, v[4:5]
	s_cbranch_vccnz .LBB89_23
; %bb.22:
	global_load_dwordx2 v[12:13], v[4:5], off
	s_mov_b32 s12, s7
	v_mov_b32_e32 v7, v11
	s_waitcnt vmcnt(0)
	v_pk_mul_f32 v[10:11], v[12:13], s[12:13] op_sel:[1,0] op_sel_hi:[0,0]
	v_pk_fma_f32 v[20:21], v[12:13], s[6:7], v[10:11] neg_lo:[0,0,1] neg_hi:[0,0,1]
	v_pk_fma_f32 v[10:11], v[12:13], s[6:7], v[10:11] op_sel_hi:[1,0,1]
	s_nop 0
	v_mov_b32_e32 v21, v11
	v_pk_add_f32 v[6:7], v[6:7], v[20:21]
	s_nop 0
	v_mov_b32_e32 v11, v7
.LBB89_23:
	v_mov_b32_e32 v7, v11
	global_store_dwordx2 v[4:5], v[6:7], off
.LBB89_24:
	s_or_b64 exec, exec, s[10:11]
	v_add_u32_e32 v9, 16, v9
	v_mad_i64_i32 v[4:5], s[10:11], v9, s14, 0
	v_cmp_le_i32_e32 vcc, v9, v0
	v_lshl_add_u64 v[4:5], v[4:5], 3, s[8:9]
	s_and_b64 s[8:9], vcc, s[2:3]
	s_and_saveexec_b64 s[2:3], s[8:9]
	s_cbranch_execz .LBB89_28
; %bb.25:
	v_pk_mul_f32 v[10:11], v[18:19], s[20:21] op_sel:[0,1] op_sel_hi:[0,0]
	v_pk_fma_f32 v[6:7], v[16:17], s[20:21], v[10:11] op_sel_hi:[0,1,1] neg_lo:[0,0,1] neg_hi:[0,0,1]
	v_pk_fma_f32 v[10:11], v[16:17], s[20:21], v[10:11] op_sel_hi:[0,1,1]
	s_and_b64 vcc, exec, s[0:1]
	v_lshl_add_u64 v[0:1], v[0:1], 3, v[4:5]
	s_cbranch_vccnz .LBB89_27
; %bb.26:
	global_load_dwordx2 v[12:13], v[0:1], off
	s_mov_b32 s8, s7
	v_mov_b32_e32 v7, v11
	s_waitcnt vmcnt(0)
	v_pk_mul_f32 v[10:11], v[12:13], s[8:9] op_sel:[1,0] op_sel_hi:[0,0]
	v_pk_fma_f32 v[16:17], v[12:13], s[6:7], v[10:11] neg_lo:[0,0,1] neg_hi:[0,0,1]
	v_pk_fma_f32 v[10:11], v[12:13], s[6:7], v[10:11] op_sel_hi:[1,0,1]
	s_nop 0
	v_mov_b32_e32 v17, v11
	v_pk_add_f32 v[6:7], v[6:7], v[16:17]
	s_nop 0
	v_mov_b32_e32 v11, v7
.LBB89_27:
	v_mov_b32_e32 v7, v11
	global_store_dwordx2 v[0:1], v[6:7], off
.LBB89_28:
	s_or_b64 exec, exec, s[2:3]
	v_cmp_le_i32_e32 vcc, v9, v2
	s_and_b64 s[2:3], vcc, s[4:5]
	s_and_saveexec_b64 s[4:5], s[2:3]
	s_cbranch_execz .LBB89_32
; %bb.29:
	v_pk_mul_f32 v[6:7], v[14:15], s[20:21] op_sel:[0,1] op_sel_hi:[0,0]
	v_pk_fma_f32 v[0:1], v[8:9], s[20:21], v[6:7] op_sel_hi:[0,1,1] neg_lo:[0,0,1] neg_hi:[0,0,1]
	v_pk_fma_f32 v[6:7], v[8:9], s[20:21], v[6:7] op_sel_hi:[0,1,1]
	s_and_b64 vcc, exec, s[0:1]
	v_lshl_add_u64 v[2:3], v[2:3], 3, v[4:5]
	s_cbranch_vccnz .LBB89_31
; %bb.30:
	global_load_dwordx2 v[4:5], v[2:3], off
	s_mov_b32 s0, s7
	v_mov_b32_e32 v1, v7
	s_waitcnt vmcnt(0)
	v_pk_mul_f32 v[6:7], v[4:5], s[0:1] op_sel:[1,0] op_sel_hi:[0,0]
	v_pk_fma_f32 v[8:9], v[4:5], s[6:7], v[6:7] neg_lo:[0,0,1] neg_hi:[0,0,1]
	v_pk_fma_f32 v[4:5], v[4:5], s[6:7], v[6:7] op_sel_hi:[1,0,1]
	s_nop 0
	v_mov_b32_e32 v9, v5
	v_pk_add_f32 v[0:1], v[0:1], v[8:9]
	s_nop 0
	v_mov_b32_e32 v7, v1
.LBB89_31:
	v_mov_b32_e32 v1, v7
	global_store_dwordx2 v[2:3], v[0:1], off
.LBB89_32:
	s_endpgm
	.section	.rodata,"a",@progbits
	.p2align	6, 0x0
	.amdhsa_kernel _ZL29rocblas_internal_gemmt_kernelIiLi16ELi32ELi8ELc67ELc67ELc76ELb1ELb1E19rocblas_complex_numIfEPKS1_S3_PS1_EviT_T9_T10_S5_lS7_S5_lS6_T11_S5_li
		.amdhsa_group_segment_fixed_size 4096
		.amdhsa_private_segment_fixed_size 0
		.amdhsa_kernarg_size 100
		.amdhsa_user_sgpr_count 2
		.amdhsa_user_sgpr_dispatch_ptr 0
		.amdhsa_user_sgpr_queue_ptr 0
		.amdhsa_user_sgpr_kernarg_segment_ptr 1
		.amdhsa_user_sgpr_dispatch_id 0
		.amdhsa_user_sgpr_kernarg_preload_length 0
		.amdhsa_user_sgpr_kernarg_preload_offset 0
		.amdhsa_user_sgpr_private_segment_size 0
		.amdhsa_uses_dynamic_stack 0
		.amdhsa_enable_private_segment 0
		.amdhsa_system_sgpr_workgroup_id_x 1
		.amdhsa_system_sgpr_workgroup_id_y 1
		.amdhsa_system_sgpr_workgroup_id_z 1
		.amdhsa_system_sgpr_workgroup_info 0
		.amdhsa_system_vgpr_workitem_id 1
		.amdhsa_next_free_vgpr 54
		.amdhsa_next_free_sgpr 30
		.amdhsa_accum_offset 56
		.amdhsa_reserve_vcc 1
		.amdhsa_float_round_mode_32 0
		.amdhsa_float_round_mode_16_64 0
		.amdhsa_float_denorm_mode_32 3
		.amdhsa_float_denorm_mode_16_64 3
		.amdhsa_dx10_clamp 1
		.amdhsa_ieee_mode 1
		.amdhsa_fp16_overflow 0
		.amdhsa_tg_split 0
		.amdhsa_exception_fp_ieee_invalid_op 0
		.amdhsa_exception_fp_denorm_src 0
		.amdhsa_exception_fp_ieee_div_zero 0
		.amdhsa_exception_fp_ieee_overflow 0
		.amdhsa_exception_fp_ieee_underflow 0
		.amdhsa_exception_fp_ieee_inexact 0
		.amdhsa_exception_int_div_zero 0
	.end_amdhsa_kernel
	.section	.text._ZL29rocblas_internal_gemmt_kernelIiLi16ELi32ELi8ELc67ELc67ELc76ELb1ELb1E19rocblas_complex_numIfEPKS1_S3_PS1_EviT_T9_T10_S5_lS7_S5_lS6_T11_S5_li,"axG",@progbits,_ZL29rocblas_internal_gemmt_kernelIiLi16ELi32ELi8ELc67ELc67ELc76ELb1ELb1E19rocblas_complex_numIfEPKS1_S3_PS1_EviT_T9_T10_S5_lS7_S5_lS6_T11_S5_li,comdat
.Lfunc_end89:
	.size	_ZL29rocblas_internal_gemmt_kernelIiLi16ELi32ELi8ELc67ELc67ELc76ELb1ELb1E19rocblas_complex_numIfEPKS1_S3_PS1_EviT_T9_T10_S5_lS7_S5_lS6_T11_S5_li, .Lfunc_end89-_ZL29rocblas_internal_gemmt_kernelIiLi16ELi32ELi8ELc67ELc67ELc76ELb1ELb1E19rocblas_complex_numIfEPKS1_S3_PS1_EviT_T9_T10_S5_lS7_S5_lS6_T11_S5_li
                                        ; -- End function
	.set _ZL29rocblas_internal_gemmt_kernelIiLi16ELi32ELi8ELc67ELc67ELc76ELb1ELb1E19rocblas_complex_numIfEPKS1_S3_PS1_EviT_T9_T10_S5_lS7_S5_lS6_T11_S5_li.num_vgpr, 54
	.set _ZL29rocblas_internal_gemmt_kernelIiLi16ELi32ELi8ELc67ELc67ELc76ELb1ELb1E19rocblas_complex_numIfEPKS1_S3_PS1_EviT_T9_T10_S5_lS7_S5_lS6_T11_S5_li.num_agpr, 0
	.set _ZL29rocblas_internal_gemmt_kernelIiLi16ELi32ELi8ELc67ELc67ELc76ELb1ELb1E19rocblas_complex_numIfEPKS1_S3_PS1_EviT_T9_T10_S5_lS7_S5_lS6_T11_S5_li.numbered_sgpr, 30
	.set _ZL29rocblas_internal_gemmt_kernelIiLi16ELi32ELi8ELc67ELc67ELc76ELb1ELb1E19rocblas_complex_numIfEPKS1_S3_PS1_EviT_T9_T10_S5_lS7_S5_lS6_T11_S5_li.num_named_barrier, 0
	.set _ZL29rocblas_internal_gemmt_kernelIiLi16ELi32ELi8ELc67ELc67ELc76ELb1ELb1E19rocblas_complex_numIfEPKS1_S3_PS1_EviT_T9_T10_S5_lS7_S5_lS6_T11_S5_li.private_seg_size, 0
	.set _ZL29rocblas_internal_gemmt_kernelIiLi16ELi32ELi8ELc67ELc67ELc76ELb1ELb1E19rocblas_complex_numIfEPKS1_S3_PS1_EviT_T9_T10_S5_lS7_S5_lS6_T11_S5_li.uses_vcc, 1
	.set _ZL29rocblas_internal_gemmt_kernelIiLi16ELi32ELi8ELc67ELc67ELc76ELb1ELb1E19rocblas_complex_numIfEPKS1_S3_PS1_EviT_T9_T10_S5_lS7_S5_lS6_T11_S5_li.uses_flat_scratch, 0
	.set _ZL29rocblas_internal_gemmt_kernelIiLi16ELi32ELi8ELc67ELc67ELc76ELb1ELb1E19rocblas_complex_numIfEPKS1_S3_PS1_EviT_T9_T10_S5_lS7_S5_lS6_T11_S5_li.has_dyn_sized_stack, 0
	.set _ZL29rocblas_internal_gemmt_kernelIiLi16ELi32ELi8ELc67ELc67ELc76ELb1ELb1E19rocblas_complex_numIfEPKS1_S3_PS1_EviT_T9_T10_S5_lS7_S5_lS6_T11_S5_li.has_recursion, 0
	.set _ZL29rocblas_internal_gemmt_kernelIiLi16ELi32ELi8ELc67ELc67ELc76ELb1ELb1E19rocblas_complex_numIfEPKS1_S3_PS1_EviT_T9_T10_S5_lS7_S5_lS6_T11_S5_li.has_indirect_call, 0
	.section	.AMDGPU.csdata,"",@progbits
; Kernel info:
; codeLenInByte = 2540
; TotalNumSgprs: 36
; NumVgprs: 54
; NumAgprs: 0
; TotalNumVgprs: 54
; ScratchSize: 0
; MemoryBound: 0
; FloatMode: 240
; IeeeMode: 1
; LDSByteSize: 4096 bytes/workgroup (compile time only)
; SGPRBlocks: 4
; VGPRBlocks: 6
; NumSGPRsForWavesPerEU: 36
; NumVGPRsForWavesPerEU: 54
; AccumOffset: 56
; Occupancy: 8
; WaveLimiterHint : 0
; COMPUTE_PGM_RSRC2:SCRATCH_EN: 0
; COMPUTE_PGM_RSRC2:USER_SGPR: 2
; COMPUTE_PGM_RSRC2:TRAP_HANDLER: 0
; COMPUTE_PGM_RSRC2:TGID_X_EN: 1
; COMPUTE_PGM_RSRC2:TGID_Y_EN: 1
; COMPUTE_PGM_RSRC2:TGID_Z_EN: 1
; COMPUTE_PGM_RSRC2:TIDIG_COMP_CNT: 1
; COMPUTE_PGM_RSRC3_GFX90A:ACCUM_OFFSET: 13
; COMPUTE_PGM_RSRC3_GFX90A:TG_SPLIT: 0
	.section	.text._ZL29rocblas_internal_gemmt_kernelIiLi16ELi32ELi8ELc78ELc78ELc85ELb0ELb0E19rocblas_complex_numIfES1_PKS1_PS1_EviT_T9_T10_S5_lS7_S5_lS6_T11_S5_li,"axG",@progbits,_ZL29rocblas_internal_gemmt_kernelIiLi16ELi32ELi8ELc78ELc78ELc85ELb0ELb0E19rocblas_complex_numIfES1_PKS1_PS1_EviT_T9_T10_S5_lS7_S5_lS6_T11_S5_li,comdat
	.globl	_ZL29rocblas_internal_gemmt_kernelIiLi16ELi32ELi8ELc78ELc78ELc85ELb0ELb0E19rocblas_complex_numIfES1_PKS1_PS1_EviT_T9_T10_S5_lS7_S5_lS6_T11_S5_li ; -- Begin function _ZL29rocblas_internal_gemmt_kernelIiLi16ELi32ELi8ELc78ELc78ELc85ELb0ELb0E19rocblas_complex_numIfES1_PKS1_PS1_EviT_T9_T10_S5_lS7_S5_lS6_T11_S5_li
	.p2align	8
	.type	_ZL29rocblas_internal_gemmt_kernelIiLi16ELi32ELi8ELc78ELc78ELc85ELb0ELb0E19rocblas_complex_numIfES1_PKS1_PS1_EviT_T9_T10_S5_lS7_S5_lS6_T11_S5_li,@function
_ZL29rocblas_internal_gemmt_kernelIiLi16ELi32ELi8ELc78ELc78ELc85ELb0ELb0E19rocblas_complex_numIfES1_PKS1_PS1_EviT_T9_T10_S5_lS7_S5_lS6_T11_S5_li: ; @_ZL29rocblas_internal_gemmt_kernelIiLi16ELi32ELi8ELc78ELc78ELc85ELb0ELb0E19rocblas_complex_numIfES1_PKS1_PS1_EviT_T9_T10_S5_lS7_S5_lS6_T11_S5_li
; %bb.0:
	s_load_dwordx2 s[16:17], s[0:1], 0x40
	s_load_dwordx4 s[8:11], s[0:1], 0x0
	s_waitcnt lgkmcnt(0)
	s_and_b32 s5, s17, 0x7fffffff
	s_cmp_eq_u32 s5, 0
	v_cmp_eq_f32_e64 s[6:7], s16, 1.0
	s_cselect_b64 s[18:19], -1, 0
	s_and_b64 s[6:7], s[6:7], s[18:19]
	s_and_b64 vcc, exec, s[6:7]
	s_cbranch_vccnz .LBB90_2
; %bb.1:
	s_mov_b64 s[6:7], -1
	s_cbranch_execz .LBB90_3
	s_branch .LBB90_4
.LBB90_2:
	s_mov_b64 s[6:7], 0
.LBB90_3:
	s_cmp_lg_u32 s9, 0
	v_cmp_neq_f32_e64 s[12:13], s10, 0
	v_cmp_neq_f32_e64 s[14:15], s11, 0
	s_cselect_b64 s[6:7], -1, 0
	s_or_b64 s[12:13], s[12:13], s[14:15]
	s_and_b64 s[6:7], s[6:7], s[12:13]
.LBB90_4:
	s_andn2_b64 vcc, exec, s[6:7]
	s_cbranch_vccnz .LBB90_28
; %bb.5:
	s_lshl_b32 s20, s2, 5
	s_lshl_b32 s21, s3, 5
	v_cmp_eq_f32_e64 s[2:3], s10, 0
	v_cmp_eq_f32_e64 s[6:7], s11, 0
	s_and_b64 s[2:3], s[2:3], s[6:7]
	s_cmp_lt_i32 s9, 1
	s_cselect_b64 s[6:7], -1, 0
	s_or_b64 s[2:3], s[2:3], s[6:7]
	v_and_b32_e32 v13, 0x3ff, v0
	v_bfe_u32 v15, v0, 10, 10
	s_mov_b32 s5, 0
	v_mov_b32_e32 v24, 0
	s_and_b64 vcc, exec, s[2:3]
	v_mov_b32_e32 v26, 0
	v_mov_b32_e32 v20, 0
	;; [unrolled: 1-line block ×7, first 2 shown]
	s_cbranch_vccnz .LBB90_12
; %bb.6:
	s_load_dwordx2 s[6:7], s[0:1], 0x10
	s_load_dword s22, s[0:1], 0x18
	v_lshl_add_u32 v0, v15, 4, v13
	s_load_dwordx4 s[12:15], s[0:1], 0x20
	s_load_dword s28, s[0:1], 0x30
	s_load_dwordx2 s[24:25], s[0:1], 0x38
	v_lshrrev_b32_e32 v19, 5, v0
	v_and_b32_e32 v4, 31, v0
	s_waitcnt lgkmcnt(0)
	v_mad_i64_i32 v[2:3], s[26:27], v19, s22, 0
	s_mul_i32 s13, s13, s4
	s_mul_hi_u32 s26, s12, s4
	v_lshrrev_b32_e32 v1, 3, v0
	v_or_b32_e32 v0, s20, v4
	s_add_i32 s13, s26, s13
	s_mul_i32 s12, s12, s4
	v_cmp_gt_i32_e32 vcc, s8, v0
	v_lshlrev_b32_e32 v0, 3, v4
	s_lshl_b64 s[12:13], s[12:13], 3
	v_add_u32_e32 v4, s20, v4
	v_lshl_add_u64 v[2:3], v[2:3], 3, s[12:13]
	v_ashrrev_i32_e32 v5, 31, v4
	v_add_u32_e32 v6, s21, v1
	v_lshl_add_u64 v[2:3], v[4:5], 3, v[2:3]
	v_and_b32_e32 v17, 7, v13
	v_lshl_add_u64 v[8:9], s[6:7], 0, v[2:3]
	v_mad_i64_i32 v[2:3], s[6:7], s28, v6, 0
	v_lshl_or_b32 v21, v19, 8, v0
	v_lshlrev_b32_e32 v0, 3, v17
	s_mul_i32 s6, s25, s4
	s_mul_hi_u32 s7, s24, s4
	v_lshl_or_b32 v1, v1, 6, v0
	s_add_i32 s7, s7, s6
	s_mul_i32 s6, s24, s4
	v_add_u32_e32 v23, 0x800, v1
	v_mov_b32_e32 v1, 0x800
	s_lshl_b64 s[6:7], s[6:7], 3
	v_lshl_add_u32 v27, v15, 6, v1
	v_lshl_add_u64 v[2:3], v[2:3], 3, s[6:7]
	v_mov_b32_e32 v1, 0
	s_ashr_i32 s23, s22, 31
	v_lshl_add_u64 v[2:3], v[2:3], 0, v[0:1]
	v_cmp_gt_i32_e64 s[2:3], s8, v6
	v_lshlrev_b32_e32 v25, 3, v13
	s_lshl_b64 s[12:13], s[22:23], 6
	v_lshl_add_u64 v[10:11], s[14:15], 0, v[2:3]
	v_mov_b32_e32 v14, v1
	v_mov_b32_e32 v12, v1
	;; [unrolled: 1-line block ×8, first 2 shown]
	s_branch .LBB90_8
.LBB90_7:                               ;   in Loop: Header=BB90_8 Depth=1
	s_or_b64 exec, exec, s[6:7]
	s_waitcnt vmcnt(0)
	ds_write_b64 v23, v[0:1]
	s_waitcnt lgkmcnt(0)
	s_barrier
	ds_read2_b64 v[28:31], v25 offset1:16
	ds_read_b128 v[32:35], v27
	ds_read_b128 v[36:39], v27 offset:16
	ds_read_b128 v[4:7], v27 offset:32
	;; [unrolled: 1-line block ×3, first 2 shown]
	ds_read2_b64 v[48:51], v25 offset0:32 offset1:48
	s_waitcnt lgkmcnt(4)
	v_mul_f32_e32 v40, v33, v29
	v_fma_f32 v40, v32, v28, -v40
	v_mul_f32_e32 v41, v32, v29
	v_fmac_f32_e32 v41, v33, v28
	v_add_f32_e32 v24, v24, v40
	v_mul_f32_e32 v40, v33, v31
	v_add_f32_e32 v26, v26, v41
	v_fma_f32 v44, v32, v30, -v40
	ds_read_b128 v[40:43], v27 offset:1024
	v_mul_f32_e32 v32, v32, v31
	v_fmac_f32_e32 v32, v33, v30
	v_add_f32_e32 v20, v20, v44
	v_add_f32_e32 v22, v22, v32
	ds_read_b128 v[44:47], v27 offset:1040
	s_waitcnt lgkmcnt(1)
	v_mul_f32_e32 v32, v41, v29
	v_mul_f32_e32 v29, v40, v29
	v_fma_f32 v32, v40, v28, -v32
	v_fmac_f32_e32 v29, v41, v28
	v_mul_f32_e32 v28, v41, v31
	v_add_f32_e32 v18, v18, v29
	v_fma_f32 v28, v40, v30, -v28
	v_mul_f32_e32 v29, v40, v31
	v_fmac_f32_e32 v29, v41, v30
	v_add_f32_e32 v12, v12, v28
	v_mul_f32_e32 v28, v35, v49
	v_add_f32_e32 v14, v14, v29
	v_fma_f32 v28, v34, v48, -v28
	v_mul_f32_e32 v29, v34, v49
	v_fmac_f32_e32 v29, v35, v48
	v_add_f32_e32 v24, v24, v28
	;; [unrolled: 6-line block ×3, first 2 shown]
	v_mul_f32_e32 v28, v43, v49
	v_add_f32_e32 v16, v16, v32
	v_add_f32_e32 v22, v22, v29
	v_fma_f32 v28, v42, v48, -v28
	v_mul_f32_e32 v29, v42, v49
	v_fmac_f32_e32 v29, v43, v48
	v_add_f32_e32 v16, v16, v28
	v_mul_f32_e32 v28, v43, v51
	v_add_f32_e32 v18, v18, v29
	v_fma_f32 v32, v42, v50, -v28
	ds_read2_b64 v[28:31], v25 offset0:64 offset1:80
	v_mul_f32_e32 v33, v42, v51
	v_add_f32_e32 v12, v12, v32
	v_fmac_f32_e32 v33, v43, v50
	v_add_f32_e32 v14, v14, v33
	s_waitcnt lgkmcnt(0)
	v_mul_f32_e32 v32, v37, v29
	v_fma_f32 v32, v36, v28, -v32
	v_mul_f32_e32 v33, v36, v29
	v_add_f32_e32 v24, v24, v32
	v_mul_f32_e32 v32, v37, v31
	v_fmac_f32_e32 v33, v37, v28
	v_fma_f32 v32, v36, v30, -v32
	v_add_f32_e32 v26, v26, v33
	v_mul_f32_e32 v33, v36, v31
	v_add_f32_e32 v20, v20, v32
	v_mul_f32_e32 v32, v45, v29
	v_fmac_f32_e32 v33, v37, v30
	v_fma_f32 v32, v44, v28, -v32
	v_add_f32_e32 v22, v22, v33
	v_add_f32_e32 v16, v16, v32
	ds_read2_b64 v[32:35], v25 offset0:96 offset1:112
	v_mul_f32_e32 v29, v44, v29
	v_fmac_f32_e32 v29, v45, v28
	v_mul_f32_e32 v28, v45, v31
	v_add_f32_e32 v18, v18, v29
	v_fma_f32 v28, v44, v30, -v28
	v_mul_f32_e32 v29, v44, v31
	v_fmac_f32_e32 v29, v45, v30
	v_add_f32_e32 v12, v12, v28
	s_waitcnt lgkmcnt(0)
	v_mul_f32_e32 v28, v39, v33
	v_add_f32_e32 v14, v14, v29
	v_fma_f32 v28, v38, v32, -v28
	v_mul_f32_e32 v29, v38, v33
	v_fmac_f32_e32 v29, v39, v32
	v_add_f32_e32 v24, v24, v28
	v_mul_f32_e32 v28, v39, v35
	v_add_f32_e32 v26, v26, v29
	v_fma_f32 v28, v38, v34, -v28
	v_mul_f32_e32 v29, v38, v35
	v_fmac_f32_e32 v29, v39, v34
	v_add_f32_e32 v20, v20, v28
	;; [unrolled: 6-line block ×3, first 2 shown]
	v_mul_f32_e32 v28, v47, v35
	v_add_f32_e32 v18, v18, v29
	v_fma_f32 v32, v46, v34, -v28
	ds_read2_b64 v[28:31], v25 offset0:128 offset1:144
	v_mul_f32_e32 v33, v46, v35
	v_fmac_f32_e32 v33, v47, v34
	v_add_f32_e32 v12, v12, v32
	v_add_f32_e32 v14, v14, v33
	s_waitcnt lgkmcnt(0)
	v_mul_f32_e32 v32, v5, v29
	v_fma_f32 v32, v4, v28, -v32
	v_mul_f32_e32 v33, v4, v29
	v_fmac_f32_e32 v33, v5, v28
	v_add_f32_e32 v24, v24, v32
	v_mul_f32_e32 v32, v5, v31
	v_add_f32_e32 v26, v26, v33
	v_fma_f32 v36, v4, v30, -v32
	ds_read_b128 v[32:35], v27 offset:1056
	v_mul_f32_e32 v4, v4, v31
	ds_read2_b64 v[40:43], v25 offset0:160 offset1:176
	v_fmac_f32_e32 v4, v5, v30
	v_add_f32_e32 v5, v20, v36
	ds_read_b128 v[36:39], v27 offset:1072
	s_waitcnt lgkmcnt(2)
	v_mul_f32_e32 v20, v33, v29
	v_fma_f32 v20, v32, v28, -v20
	v_add_f32_e32 v16, v16, v20
	v_mul_f32_e32 v20, v33, v31
	v_add_f32_e32 v4, v22, v4
	v_mul_f32_e32 v22, v32, v29
	v_fma_f32 v20, v32, v30, -v20
	v_fmac_f32_e32 v22, v33, v28
	v_add_f32_e32 v12, v12, v20
	s_waitcnt lgkmcnt(1)
	v_mul_f32_e32 v20, v7, v41
	v_add_f32_e32 v18, v18, v22
	v_mul_f32_e32 v22, v32, v31
	v_fma_f32 v20, v6, v40, -v20
	v_fmac_f32_e32 v22, v33, v30
	v_add_f32_e32 v20, v24, v20
	v_mul_f32_e32 v24, v7, v43
	v_add_f32_e32 v14, v14, v22
	v_mul_f32_e32 v22, v6, v41
	v_fma_f32 v24, v6, v42, -v24
	v_mul_f32_e32 v6, v6, v43
	v_fmac_f32_e32 v22, v7, v40
	v_fmac_f32_e32 v6, v7, v42
	v_add_f32_e32 v22, v26, v22
	v_add_f32_e32 v26, v4, v6
	v_mul_f32_e32 v4, v35, v41
	v_add_f32_e32 v24, v5, v24
	v_fma_f32 v4, v34, v40, -v4
	v_mul_f32_e32 v5, v34, v41
	v_fmac_f32_e32 v5, v35, v40
	v_add_f32_e32 v16, v16, v4
	v_mul_f32_e32 v4, v35, v43
	v_add_f32_e32 v18, v18, v5
	v_fma_f32 v28, v34, v42, -v4
	ds_read2_b64 v[4:7], v25 offset0:192 offset1:208
	v_mul_f32_e32 v29, v34, v43
	v_add_f32_e32 v12, v12, v28
	v_fmac_f32_e32 v29, v35, v42
	v_add_f32_e32 v14, v14, v29
	s_waitcnt lgkmcnt(0)
	v_mul_f32_e32 v28, v1, v5
	v_fma_f32 v28, v0, v4, -v28
	v_mul_f32_e32 v29, v0, v5
	v_add_f32_e32 v20, v20, v28
	v_mul_f32_e32 v28, v1, v7
	v_fmac_f32_e32 v29, v1, v4
	v_fma_f32 v28, v0, v6, -v28
	v_mul_f32_e32 v0, v0, v7
	v_add_f32_e32 v22, v22, v29
	v_fmac_f32_e32 v0, v1, v6
	v_add_f32_e32 v1, v24, v28
	ds_read2_b64 v[28:31], v25 offset0:224 offset1:240
	v_mul_f32_e32 v24, v37, v5
	v_fma_f32 v24, v36, v4, -v24
	v_mul_f32_e32 v5, v36, v5
	v_fmac_f32_e32 v5, v37, v4
	v_add_f32_e32 v4, v16, v24
	v_mul_f32_e32 v16, v37, v7
	v_fma_f32 v16, v36, v6, -v16
	v_mul_f32_e32 v7, v36, v7
	v_fmac_f32_e32 v7, v37, v6
	v_add_f32_e32 v6, v12, v16
	s_waitcnt lgkmcnt(0)
	v_mul_f32_e32 v12, v3, v29
	v_fma_f32 v12, v2, v28, -v12
	v_add_f32_e32 v24, v20, v12
	v_mul_f32_e32 v12, v3, v31
	v_add_f32_e32 v7, v14, v7
	v_mul_f32_e32 v14, v2, v29
	v_fma_f32 v12, v2, v30, -v12
	v_mul_f32_e32 v2, v2, v31
	v_add_f32_e32 v0, v26, v0
	v_fmac_f32_e32 v14, v3, v28
	v_fmac_f32_e32 v2, v3, v30
	v_add_f32_e32 v26, v22, v14
	v_add_f32_e32 v20, v1, v12
	;; [unrolled: 1-line block ×3, first 2 shown]
	v_mul_f32_e32 v0, v39, v29
	v_mul_f32_e32 v1, v38, v29
	v_add_f32_e32 v5, v18, v5
	v_fma_f32 v0, v38, v28, -v0
	v_fmac_f32_e32 v1, v39, v28
	v_add_f32_e32 v16, v4, v0
	v_add_f32_e32 v18, v5, v1
	v_mul_f32_e32 v0, v39, v31
	v_mul_f32_e32 v1, v38, v31
	v_fma_f32 v0, v38, v30, -v0
	v_fmac_f32_e32 v1, v39, v30
	s_add_i32 s5, s5, 8
	v_add_f32_e32 v12, v6, v0
	v_add_f32_e32 v14, v7, v1
	v_lshl_add_u64 v[8:9], v[8:9], 0, s[12:13]
	s_cmp_lt_i32 s5, s9
	v_lshl_add_u64 v[10:11], v[10:11], 0, 64
	s_barrier
	s_cbranch_scc0 .LBB90_12
.LBB90_8:                               ; =>This Inner Loop Header: Depth=1
	v_add_u32_e32 v0, s5, v19
	v_cmp_gt_i32_e64 s[6:7], s9, v0
	s_and_b64 s[14:15], vcc, s[6:7]
	v_mov_b32_e32 v0, 0
	v_mov_b32_e32 v1, 0
	s_and_saveexec_b64 s[6:7], s[14:15]
	s_cbranch_execz .LBB90_10
; %bb.9:                                ;   in Loop: Header=BB90_8 Depth=1
	global_load_dwordx2 v[0:1], v[8:9], off
.LBB90_10:                              ;   in Loop: Header=BB90_8 Depth=1
	s_or_b64 exec, exec, s[6:7]
	s_waitcnt vmcnt(0)
	ds_write_b64 v21, v[0:1]
	v_add_u32_e32 v0, s5, v17
	v_cmp_gt_i32_e64 s[6:7], s9, v0
	s_and_b64 s[14:15], s[6:7], s[2:3]
	v_mov_b32_e32 v0, 0
	v_mov_b32_e32 v1, 0
	s_and_saveexec_b64 s[6:7], s[14:15]
	s_cbranch_execz .LBB90_7
; %bb.11:                               ;   in Loop: Header=BB90_8 Depth=1
	global_load_dwordx2 v[0:1], v[10:11], off
	s_branch .LBB90_7
.LBB90_12:
	s_load_dwordx2 s[2:3], s[0:1], 0x58
	s_load_dwordx2 s[6:7], s[0:1], 0x48
	s_load_dword s9, s[0:1], 0x50
	v_add_u32_e32 v10, s21, v15
	v_add_u32_e32 v0, s20, v13
	s_waitcnt lgkmcnt(0)
	s_mul_i32 s1, s3, s4
	s_mul_hi_u32 s3, s2, s4
	s_mul_i32 s0, s2, s4
	s_add_i32 s1, s3, s1
	s_lshl_b64 s[0:1], s[0:1], 3
	s_add_u32 s4, s6, s0
	s_addc_u32 s5, s7, s1
	v_cmp_neq_f32_e64 s[0:1], s16, 0
	s_xor_b64 s[6:7], s[18:19], -1
	v_mad_i64_i32 v[2:3], s[12:13], v10, s9, 0
	s_or_b64 s[0:1], s[0:1], s[6:7]
	v_cmp_gt_i32_e64 s[2:3], s8, v10
	v_lshl_add_u64 v[4:5], v[2:3], 3, s[4:5]
	v_cmp_le_i32_e32 vcc, v0, v10
	v_cndmask_b32_e64 v2, 0, 1, s[0:1]
	s_and_b64 s[12:13], s[2:3], vcc
	v_ashrrev_i32_e32 v1, 31, v0
	v_cmp_ne_u32_e64 s[0:1], 1, v2
	s_and_saveexec_b64 s[6:7], s[12:13]
	s_cbranch_execz .LBB90_16
; %bb.13:
	v_pk_mul_f32 v[6:7], v[26:27], s[10:11] op_sel:[0,1] op_sel_hi:[0,0]
	v_pk_fma_f32 v[2:3], v[24:25], s[10:11], v[6:7] op_sel_hi:[0,1,1] neg_lo:[0,0,1] neg_hi:[0,0,1]
	v_pk_fma_f32 v[8:9], v[24:25], s[10:11], v[6:7] op_sel_hi:[0,1,1]
	s_and_b64 vcc, exec, s[0:1]
	v_lshl_add_u64 v[6:7], v[0:1], 3, v[4:5]
	s_cbranch_vccnz .LBB90_15
; %bb.14:
	global_load_dwordx2 v[24:25], v[6:7], off
	s_mov_b32 s12, s17
	v_mov_b32_e32 v3, v9
	s_waitcnt vmcnt(0)
	v_pk_mul_f32 v[8:9], v[24:25], s[12:13] op_sel:[1,0] op_sel_hi:[0,0]
	v_pk_fma_f32 v[26:27], v[24:25], s[16:17], v[8:9] neg_lo:[0,0,1] neg_hi:[0,0,1]
	v_pk_fma_f32 v[8:9], v[24:25], s[16:17], v[8:9] op_sel_hi:[1,0,1]
	s_nop 0
	v_mov_b32_e32 v27, v9
	v_pk_add_f32 v[2:3], v[2:3], v[26:27]
	s_nop 0
	v_mov_b32_e32 v9, v3
.LBB90_15:
	v_mov_b32_e32 v3, v9
	global_store_dwordx2 v[6:7], v[2:3], off
.LBB90_16:
	s_or_b64 exec, exec, s[6:7]
	v_add_u32_e32 v2, 16, v0
	v_cmp_le_i32_e32 vcc, v2, v10
	s_and_b64 s[6:7], s[2:3], vcc
	v_ashrrev_i32_e32 v3, 31, v2
	s_and_saveexec_b64 s[2:3], s[6:7]
	s_cbranch_execz .LBB90_20
; %bb.17:
	v_pk_mul_f32 v[8:9], v[22:23], s[10:11] op_sel:[0,1] op_sel_hi:[0,0]
	v_pk_fma_f32 v[6:7], v[20:21], s[10:11], v[8:9] op_sel_hi:[0,1,1] neg_lo:[0,0,1] neg_hi:[0,0,1]
	v_pk_fma_f32 v[8:9], v[20:21], s[10:11], v[8:9] op_sel_hi:[0,1,1]
	s_and_b64 vcc, exec, s[0:1]
	v_lshl_add_u64 v[4:5], v[2:3], 3, v[4:5]
	s_cbranch_vccnz .LBB90_19
; %bb.18:
	global_load_dwordx2 v[20:21], v[4:5], off
	s_mov_b32 s6, s17
	v_mov_b32_e32 v7, v9
	s_waitcnt vmcnt(0)
	v_pk_mul_f32 v[8:9], v[20:21], s[6:7] op_sel:[1,0] op_sel_hi:[0,0]
	v_pk_fma_f32 v[22:23], v[20:21], s[16:17], v[8:9] neg_lo:[0,0,1] neg_hi:[0,0,1]
	v_pk_fma_f32 v[8:9], v[20:21], s[16:17], v[8:9] op_sel_hi:[1,0,1]
	s_nop 0
	v_mov_b32_e32 v23, v9
	v_pk_add_f32 v[6:7], v[6:7], v[22:23]
	s_nop 0
	v_mov_b32_e32 v9, v7
.LBB90_19:
	v_mov_b32_e32 v7, v9
	global_store_dwordx2 v[4:5], v[6:7], off
.LBB90_20:
	s_or_b64 exec, exec, s[2:3]
	v_add_u32_e32 v10, 16, v10
	v_cmp_gt_i32_e64 s[2:3], s8, v10
	v_mad_i64_i32 v[4:5], s[6:7], v10, s9, 0
	v_cmp_le_i32_e32 vcc, v0, v10
	v_lshl_add_u64 v[4:5], v[4:5], 3, s[4:5]
	s_and_b64 s[6:7], s[2:3], vcc
	s_and_saveexec_b64 s[4:5], s[6:7]
	s_cbranch_execz .LBB90_24
; %bb.21:
	v_pk_mul_f32 v[8:9], v[18:19], s[10:11] op_sel:[0,1] op_sel_hi:[0,0]
	v_pk_fma_f32 v[6:7], v[16:17], s[10:11], v[8:9] op_sel_hi:[0,1,1] neg_lo:[0,0,1] neg_hi:[0,0,1]
	v_pk_fma_f32 v[8:9], v[16:17], s[10:11], v[8:9] op_sel_hi:[0,1,1]
	s_and_b64 vcc, exec, s[0:1]
	v_lshl_add_u64 v[0:1], v[0:1], 3, v[4:5]
	s_cbranch_vccnz .LBB90_23
; %bb.22:
	global_load_dwordx2 v[16:17], v[0:1], off
	s_mov_b32 s6, s17
	v_mov_b32_e32 v7, v9
	s_waitcnt vmcnt(0)
	v_pk_mul_f32 v[8:9], v[16:17], s[6:7] op_sel:[1,0] op_sel_hi:[0,0]
	v_pk_fma_f32 v[18:19], v[16:17], s[16:17], v[8:9] neg_lo:[0,0,1] neg_hi:[0,0,1]
	v_pk_fma_f32 v[8:9], v[16:17], s[16:17], v[8:9] op_sel_hi:[1,0,1]
	s_nop 0
	v_mov_b32_e32 v19, v9
	v_pk_add_f32 v[6:7], v[6:7], v[18:19]
	s_nop 0
	v_mov_b32_e32 v9, v7
.LBB90_23:
	v_mov_b32_e32 v7, v9
	global_store_dwordx2 v[0:1], v[6:7], off
.LBB90_24:
	s_or_b64 exec, exec, s[4:5]
	v_cmp_le_i32_e32 vcc, v2, v10
	s_and_b64 s[2:3], s[2:3], vcc
	s_and_saveexec_b64 s[4:5], s[2:3]
	s_cbranch_execz .LBB90_28
; %bb.25:
	v_pk_mul_f32 v[6:7], v[14:15], s[10:11] op_sel:[0,1] op_sel_hi:[0,0]
	v_pk_fma_f32 v[0:1], v[12:13], s[10:11], v[6:7] op_sel_hi:[0,1,1] neg_lo:[0,0,1] neg_hi:[0,0,1]
	v_pk_fma_f32 v[6:7], v[12:13], s[10:11], v[6:7] op_sel_hi:[0,1,1]
	s_and_b64 vcc, exec, s[0:1]
	v_lshl_add_u64 v[2:3], v[2:3], 3, v[4:5]
	s_cbranch_vccnz .LBB90_27
; %bb.26:
	global_load_dwordx2 v[4:5], v[2:3], off
	s_mov_b32 s0, s17
	v_mov_b32_e32 v1, v7
	s_waitcnt vmcnt(0)
	v_pk_mul_f32 v[6:7], v[4:5], s[0:1] op_sel:[1,0] op_sel_hi:[0,0]
	v_pk_fma_f32 v[8:9], v[4:5], s[16:17], v[6:7] neg_lo:[0,0,1] neg_hi:[0,0,1]
	v_pk_fma_f32 v[4:5], v[4:5], s[16:17], v[6:7] op_sel_hi:[1,0,1]
	s_nop 0
	v_mov_b32_e32 v9, v5
	v_pk_add_f32 v[0:1], v[0:1], v[8:9]
	s_nop 0
	v_mov_b32_e32 v7, v1
.LBB90_27:
	v_mov_b32_e32 v1, v7
	global_store_dwordx2 v[2:3], v[0:1], off
.LBB90_28:
	s_endpgm
	.section	.rodata,"a",@progbits
	.p2align	6, 0x0
	.amdhsa_kernel _ZL29rocblas_internal_gemmt_kernelIiLi16ELi32ELi8ELc78ELc78ELc85ELb0ELb0E19rocblas_complex_numIfES1_PKS1_PS1_EviT_T9_T10_S5_lS7_S5_lS6_T11_S5_li
		.amdhsa_group_segment_fixed_size 4096
		.amdhsa_private_segment_fixed_size 0
		.amdhsa_kernarg_size 100
		.amdhsa_user_sgpr_count 2
		.amdhsa_user_sgpr_dispatch_ptr 0
		.amdhsa_user_sgpr_queue_ptr 0
		.amdhsa_user_sgpr_kernarg_segment_ptr 1
		.amdhsa_user_sgpr_dispatch_id 0
		.amdhsa_user_sgpr_kernarg_preload_length 0
		.amdhsa_user_sgpr_kernarg_preload_offset 0
		.amdhsa_user_sgpr_private_segment_size 0
		.amdhsa_uses_dynamic_stack 0
		.amdhsa_enable_private_segment 0
		.amdhsa_system_sgpr_workgroup_id_x 1
		.amdhsa_system_sgpr_workgroup_id_y 1
		.amdhsa_system_sgpr_workgroup_id_z 1
		.amdhsa_system_sgpr_workgroup_info 0
		.amdhsa_system_vgpr_workitem_id 1
		.amdhsa_next_free_vgpr 52
		.amdhsa_next_free_sgpr 29
		.amdhsa_accum_offset 52
		.amdhsa_reserve_vcc 1
		.amdhsa_float_round_mode_32 0
		.amdhsa_float_round_mode_16_64 0
		.amdhsa_float_denorm_mode_32 3
		.amdhsa_float_denorm_mode_16_64 3
		.amdhsa_dx10_clamp 1
		.amdhsa_ieee_mode 1
		.amdhsa_fp16_overflow 0
		.amdhsa_tg_split 0
		.amdhsa_exception_fp_ieee_invalid_op 0
		.amdhsa_exception_fp_denorm_src 0
		.amdhsa_exception_fp_ieee_div_zero 0
		.amdhsa_exception_fp_ieee_overflow 0
		.amdhsa_exception_fp_ieee_underflow 0
		.amdhsa_exception_fp_ieee_inexact 0
		.amdhsa_exception_int_div_zero 0
	.end_amdhsa_kernel
	.section	.text._ZL29rocblas_internal_gemmt_kernelIiLi16ELi32ELi8ELc78ELc78ELc85ELb0ELb0E19rocblas_complex_numIfES1_PKS1_PS1_EviT_T9_T10_S5_lS7_S5_lS6_T11_S5_li,"axG",@progbits,_ZL29rocblas_internal_gemmt_kernelIiLi16ELi32ELi8ELc78ELc78ELc85ELb0ELb0E19rocblas_complex_numIfES1_PKS1_PS1_EviT_T9_T10_S5_lS7_S5_lS6_T11_S5_li,comdat
.Lfunc_end90:
	.size	_ZL29rocblas_internal_gemmt_kernelIiLi16ELi32ELi8ELc78ELc78ELc85ELb0ELb0E19rocblas_complex_numIfES1_PKS1_PS1_EviT_T9_T10_S5_lS7_S5_lS6_T11_S5_li, .Lfunc_end90-_ZL29rocblas_internal_gemmt_kernelIiLi16ELi32ELi8ELc78ELc78ELc85ELb0ELb0E19rocblas_complex_numIfES1_PKS1_PS1_EviT_T9_T10_S5_lS7_S5_lS6_T11_S5_li
                                        ; -- End function
	.set _ZL29rocblas_internal_gemmt_kernelIiLi16ELi32ELi8ELc78ELc78ELc85ELb0ELb0E19rocblas_complex_numIfES1_PKS1_PS1_EviT_T9_T10_S5_lS7_S5_lS6_T11_S5_li.num_vgpr, 52
	.set _ZL29rocblas_internal_gemmt_kernelIiLi16ELi32ELi8ELc78ELc78ELc85ELb0ELb0E19rocblas_complex_numIfES1_PKS1_PS1_EviT_T9_T10_S5_lS7_S5_lS6_T11_S5_li.num_agpr, 0
	.set _ZL29rocblas_internal_gemmt_kernelIiLi16ELi32ELi8ELc78ELc78ELc85ELb0ELb0E19rocblas_complex_numIfES1_PKS1_PS1_EviT_T9_T10_S5_lS7_S5_lS6_T11_S5_li.numbered_sgpr, 29
	.set _ZL29rocblas_internal_gemmt_kernelIiLi16ELi32ELi8ELc78ELc78ELc85ELb0ELb0E19rocblas_complex_numIfES1_PKS1_PS1_EviT_T9_T10_S5_lS7_S5_lS6_T11_S5_li.num_named_barrier, 0
	.set _ZL29rocblas_internal_gemmt_kernelIiLi16ELi32ELi8ELc78ELc78ELc85ELb0ELb0E19rocblas_complex_numIfES1_PKS1_PS1_EviT_T9_T10_S5_lS7_S5_lS6_T11_S5_li.private_seg_size, 0
	.set _ZL29rocblas_internal_gemmt_kernelIiLi16ELi32ELi8ELc78ELc78ELc85ELb0ELb0E19rocblas_complex_numIfES1_PKS1_PS1_EviT_T9_T10_S5_lS7_S5_lS6_T11_S5_li.uses_vcc, 1
	.set _ZL29rocblas_internal_gemmt_kernelIiLi16ELi32ELi8ELc78ELc78ELc85ELb0ELb0E19rocblas_complex_numIfES1_PKS1_PS1_EviT_T9_T10_S5_lS7_S5_lS6_T11_S5_li.uses_flat_scratch, 0
	.set _ZL29rocblas_internal_gemmt_kernelIiLi16ELi32ELi8ELc78ELc78ELc85ELb0ELb0E19rocblas_complex_numIfES1_PKS1_PS1_EviT_T9_T10_S5_lS7_S5_lS6_T11_S5_li.has_dyn_sized_stack, 0
	.set _ZL29rocblas_internal_gemmt_kernelIiLi16ELi32ELi8ELc78ELc78ELc85ELb0ELb0E19rocblas_complex_numIfES1_PKS1_PS1_EviT_T9_T10_S5_lS7_S5_lS6_T11_S5_li.has_recursion, 0
	.set _ZL29rocblas_internal_gemmt_kernelIiLi16ELi32ELi8ELc78ELc78ELc85ELb0ELb0E19rocblas_complex_numIfES1_PKS1_PS1_EviT_T9_T10_S5_lS7_S5_lS6_T11_S5_li.has_indirect_call, 0
	.section	.AMDGPU.csdata,"",@progbits
; Kernel info:
; codeLenInByte = 2448
; TotalNumSgprs: 35
; NumVgprs: 52
; NumAgprs: 0
; TotalNumVgprs: 52
; ScratchSize: 0
; MemoryBound: 0
; FloatMode: 240
; IeeeMode: 1
; LDSByteSize: 4096 bytes/workgroup (compile time only)
; SGPRBlocks: 4
; VGPRBlocks: 6
; NumSGPRsForWavesPerEU: 35
; NumVGPRsForWavesPerEU: 52
; AccumOffset: 52
; Occupancy: 8
; WaveLimiterHint : 0
; COMPUTE_PGM_RSRC2:SCRATCH_EN: 0
; COMPUTE_PGM_RSRC2:USER_SGPR: 2
; COMPUTE_PGM_RSRC2:TRAP_HANDLER: 0
; COMPUTE_PGM_RSRC2:TGID_X_EN: 1
; COMPUTE_PGM_RSRC2:TGID_Y_EN: 1
; COMPUTE_PGM_RSRC2:TGID_Z_EN: 1
; COMPUTE_PGM_RSRC2:TIDIG_COMP_CNT: 1
; COMPUTE_PGM_RSRC3_GFX90A:ACCUM_OFFSET: 12
; COMPUTE_PGM_RSRC3_GFX90A:TG_SPLIT: 0
	.section	.text._ZL29rocblas_internal_gemmt_kernelIiLi16ELi32ELi8ELc78ELc84ELc85ELb0ELb0E19rocblas_complex_numIfES1_PKS1_PS1_EviT_T9_T10_S5_lS7_S5_lS6_T11_S5_li,"axG",@progbits,_ZL29rocblas_internal_gemmt_kernelIiLi16ELi32ELi8ELc78ELc84ELc85ELb0ELb0E19rocblas_complex_numIfES1_PKS1_PS1_EviT_T9_T10_S5_lS7_S5_lS6_T11_S5_li,comdat
	.globl	_ZL29rocblas_internal_gemmt_kernelIiLi16ELi32ELi8ELc78ELc84ELc85ELb0ELb0E19rocblas_complex_numIfES1_PKS1_PS1_EviT_T9_T10_S5_lS7_S5_lS6_T11_S5_li ; -- Begin function _ZL29rocblas_internal_gemmt_kernelIiLi16ELi32ELi8ELc78ELc84ELc85ELb0ELb0E19rocblas_complex_numIfES1_PKS1_PS1_EviT_T9_T10_S5_lS7_S5_lS6_T11_S5_li
	.p2align	8
	.type	_ZL29rocblas_internal_gemmt_kernelIiLi16ELi32ELi8ELc78ELc84ELc85ELb0ELb0E19rocblas_complex_numIfES1_PKS1_PS1_EviT_T9_T10_S5_lS7_S5_lS6_T11_S5_li,@function
_ZL29rocblas_internal_gemmt_kernelIiLi16ELi32ELi8ELc78ELc84ELc85ELb0ELb0E19rocblas_complex_numIfES1_PKS1_PS1_EviT_T9_T10_S5_lS7_S5_lS6_T11_S5_li: ; @_ZL29rocblas_internal_gemmt_kernelIiLi16ELi32ELi8ELc78ELc84ELc85ELb0ELb0E19rocblas_complex_numIfES1_PKS1_PS1_EviT_T9_T10_S5_lS7_S5_lS6_T11_S5_li
; %bb.0:
	s_load_dwordx2 s[16:17], s[0:1], 0x40
	s_load_dwordx4 s[8:11], s[0:1], 0x0
	s_waitcnt lgkmcnt(0)
	s_and_b32 s5, s17, 0x7fffffff
	s_cmp_eq_u32 s5, 0
	v_cmp_eq_f32_e64 s[6:7], s16, 1.0
	s_cselect_b64 s[18:19], -1, 0
	s_and_b64 s[6:7], s[6:7], s[18:19]
	s_and_b64 vcc, exec, s[6:7]
	s_cbranch_vccnz .LBB91_2
; %bb.1:
	s_mov_b64 s[6:7], -1
	s_cbranch_execz .LBB91_3
	s_branch .LBB91_4
.LBB91_2:
	s_mov_b64 s[6:7], 0
.LBB91_3:
	s_cmp_lg_u32 s9, 0
	v_cmp_neq_f32_e64 s[12:13], s10, 0
	v_cmp_neq_f32_e64 s[14:15], s11, 0
	s_cselect_b64 s[6:7], -1, 0
	s_or_b64 s[12:13], s[12:13], s[14:15]
	s_and_b64 s[6:7], s[6:7], s[12:13]
.LBB91_4:
	s_andn2_b64 vcc, exec, s[6:7]
	s_cbranch_vccnz .LBB91_28
; %bb.5:
	s_lshl_b32 s20, s2, 5
	s_lshl_b32 s21, s3, 5
	v_cmp_eq_f32_e64 s[2:3], s10, 0
	v_cmp_eq_f32_e64 s[6:7], s11, 0
	s_and_b64 s[2:3], s[2:3], s[6:7]
	s_cmp_lt_i32 s9, 1
	s_cselect_b64 s[6:7], -1, 0
	s_or_b64 s[2:3], s[2:3], s[6:7]
	v_and_b32_e32 v13, 0x3ff, v0
	v_bfe_u32 v15, v0, 10, 10
	s_mov_b32 s5, 0
	v_mov_b32_e32 v24, 0
	s_and_b64 vcc, exec, s[2:3]
	v_mov_b32_e32 v26, 0
	v_mov_b32_e32 v20, 0
	;; [unrolled: 1-line block ×7, first 2 shown]
	s_cbranch_vccnz .LBB91_12
; %bb.6:
	v_lshl_add_u32 v1, v15, 4, v13
	v_and_b32_e32 v4, 31, v1
	v_lshrrev_b32_e32 v19, 5, v1
	v_lshrrev_b32_e32 v2, 3, v1
	v_or_b32_e32 v1, s20, v4
	s_load_dwordx2 s[6:7], s[0:1], 0x10
	s_load_dword s22, s[0:1], 0x18
	s_load_dwordx4 s[12:15], s[0:1], 0x20
	s_load_dword s24, s[0:1], 0x30
	v_and_b32_e32 v17, 7, v13
	v_cmp_gt_i32_e32 vcc, s8, v1
	v_lshlrev_b32_e32 v1, 3, v4
	v_lshl_or_b32 v21, v19, 8, v1
	v_lshlrev_b32_e32 v1, 3, v17
	v_add_u32_e32 v0, s21, v2
	v_lshl_or_b32 v1, v2, 6, v1
	v_mov_b32_e32 v2, 0x800
	v_lshl_add_u32 v27, v15, 6, v2
	s_waitcnt lgkmcnt(0)
	v_mad_i64_i32 v[2:3], s[28:29], v19, s22, 0
	s_load_dwordx2 s[26:27], s[0:1], 0x38
	s_mul_i32 s13, s13, s4
	s_mul_hi_u32 s28, s12, s4
	s_add_i32 s13, s28, s13
	s_mul_i32 s12, s12, s4
	s_lshl_b64 s[12:13], s[12:13], 3
	v_add_u32_e32 v4, s20, v4
	v_lshl_add_u64 v[2:3], v[2:3], 3, s[12:13]
	v_ashrrev_i32_e32 v5, 31, v4
	s_ashr_i32 s23, s22, 31
	v_lshl_add_u64 v[2:3], v[4:5], 3, v[2:3]
	v_lshl_add_u64 v[8:9], s[6:7], 0, v[2:3]
	s_lshl_b64 s[12:13], s[22:23], 6
	s_waitcnt lgkmcnt(0)
	s_mul_i32 s6, s27, s4
	s_mul_hi_u32 s7, s26, s4
	v_mad_i64_i32 v[2:3], s[22:23], s24, v17, 0
	s_add_i32 s7, s7, s6
	s_mul_i32 s6, s26, s4
	v_lshlrev_b64 v[2:3], 3, v[2:3]
	v_add_u32_e32 v23, 0x800, v1
	v_ashrrev_i32_e32 v1, 31, v0
	v_lshl_add_u64 v[2:3], s[6:7], 3, v[2:3]
	s_ashr_i32 s25, s24, 31
	v_cmp_gt_i32_e64 s[2:3], s8, v0
	v_lshl_add_u64 v[0:1], v[0:1], 3, v[2:3]
	v_lshlrev_b32_e32 v25, 3, v13
	v_lshl_add_u64 v[10:11], s[14:15], 0, v[0:1]
	s_lshl_b64 s[14:15], s[24:25], 6
	v_mov_b32_e32 v12, 0
	v_mov_b32_e32 v14, 0
	;; [unrolled: 1-line block ×8, first 2 shown]
	s_branch .LBB91_8
.LBB91_7:                               ;   in Loop: Header=BB91_8 Depth=1
	s_or_b64 exec, exec, s[6:7]
	s_waitcnt vmcnt(0)
	ds_write_b64 v23, v[0:1]
	s_waitcnt lgkmcnt(0)
	s_barrier
	ds_read2_b64 v[28:31], v25 offset1:16
	ds_read_b128 v[32:35], v27
	ds_read_b128 v[36:39], v27 offset:16
	ds_read_b128 v[4:7], v27 offset:32
	;; [unrolled: 1-line block ×3, first 2 shown]
	ds_read2_b64 v[48:51], v25 offset0:32 offset1:48
	s_waitcnt lgkmcnt(4)
	v_mul_f32_e32 v40, v33, v29
	v_fma_f32 v40, v32, v28, -v40
	v_mul_f32_e32 v41, v32, v29
	v_fmac_f32_e32 v41, v33, v28
	v_add_f32_e32 v24, v24, v40
	v_mul_f32_e32 v40, v33, v31
	v_add_f32_e32 v26, v26, v41
	v_fma_f32 v44, v32, v30, -v40
	ds_read_b128 v[40:43], v27 offset:1024
	v_mul_f32_e32 v32, v32, v31
	v_fmac_f32_e32 v32, v33, v30
	v_add_f32_e32 v20, v20, v44
	v_add_f32_e32 v22, v22, v32
	ds_read_b128 v[44:47], v27 offset:1040
	s_waitcnt lgkmcnt(1)
	v_mul_f32_e32 v32, v41, v29
	v_mul_f32_e32 v29, v40, v29
	v_fma_f32 v32, v40, v28, -v32
	v_fmac_f32_e32 v29, v41, v28
	v_mul_f32_e32 v28, v41, v31
	v_add_f32_e32 v18, v18, v29
	v_fma_f32 v28, v40, v30, -v28
	v_mul_f32_e32 v29, v40, v31
	v_fmac_f32_e32 v29, v41, v30
	v_add_f32_e32 v14, v14, v28
	v_mul_f32_e32 v28, v35, v49
	v_add_f32_e32 v12, v12, v29
	v_fma_f32 v28, v34, v48, -v28
	v_mul_f32_e32 v29, v34, v49
	v_fmac_f32_e32 v29, v35, v48
	v_add_f32_e32 v24, v24, v28
	;; [unrolled: 6-line block ×3, first 2 shown]
	v_mul_f32_e32 v28, v43, v49
	v_add_f32_e32 v16, v16, v32
	v_add_f32_e32 v22, v22, v29
	v_fma_f32 v28, v42, v48, -v28
	v_mul_f32_e32 v29, v42, v49
	v_fmac_f32_e32 v29, v43, v48
	v_add_f32_e32 v16, v16, v28
	v_mul_f32_e32 v28, v43, v51
	v_add_f32_e32 v18, v18, v29
	v_fma_f32 v32, v42, v50, -v28
	ds_read2_b64 v[28:31], v25 offset0:64 offset1:80
	v_mul_f32_e32 v33, v42, v51
	v_add_f32_e32 v14, v14, v32
	v_fmac_f32_e32 v33, v43, v50
	v_add_f32_e32 v12, v12, v33
	s_waitcnt lgkmcnt(0)
	v_mul_f32_e32 v32, v37, v29
	v_fma_f32 v32, v36, v28, -v32
	v_mul_f32_e32 v33, v36, v29
	v_add_f32_e32 v24, v24, v32
	v_mul_f32_e32 v32, v37, v31
	v_fmac_f32_e32 v33, v37, v28
	v_fma_f32 v32, v36, v30, -v32
	v_add_f32_e32 v26, v26, v33
	v_mul_f32_e32 v33, v36, v31
	v_add_f32_e32 v20, v20, v32
	v_mul_f32_e32 v32, v45, v29
	v_fmac_f32_e32 v33, v37, v30
	v_fma_f32 v32, v44, v28, -v32
	v_add_f32_e32 v22, v22, v33
	v_add_f32_e32 v16, v16, v32
	ds_read2_b64 v[32:35], v25 offset0:96 offset1:112
	v_mul_f32_e32 v29, v44, v29
	v_fmac_f32_e32 v29, v45, v28
	v_mul_f32_e32 v28, v45, v31
	v_add_f32_e32 v18, v18, v29
	v_fma_f32 v28, v44, v30, -v28
	v_mul_f32_e32 v29, v44, v31
	v_fmac_f32_e32 v29, v45, v30
	v_add_f32_e32 v14, v14, v28
	s_waitcnt lgkmcnt(0)
	v_mul_f32_e32 v28, v39, v33
	v_add_f32_e32 v12, v12, v29
	v_fma_f32 v28, v38, v32, -v28
	v_mul_f32_e32 v29, v38, v33
	v_fmac_f32_e32 v29, v39, v32
	v_add_f32_e32 v24, v24, v28
	v_mul_f32_e32 v28, v39, v35
	v_add_f32_e32 v26, v26, v29
	v_fma_f32 v28, v38, v34, -v28
	v_mul_f32_e32 v29, v38, v35
	v_fmac_f32_e32 v29, v39, v34
	v_add_f32_e32 v20, v20, v28
	;; [unrolled: 6-line block ×3, first 2 shown]
	v_mul_f32_e32 v28, v47, v35
	v_add_f32_e32 v18, v18, v29
	v_fma_f32 v32, v46, v34, -v28
	ds_read2_b64 v[28:31], v25 offset0:128 offset1:144
	v_mul_f32_e32 v33, v46, v35
	v_fmac_f32_e32 v33, v47, v34
	v_add_f32_e32 v14, v14, v32
	v_add_f32_e32 v12, v12, v33
	s_waitcnt lgkmcnt(0)
	v_mul_f32_e32 v32, v5, v29
	v_fma_f32 v32, v4, v28, -v32
	v_mul_f32_e32 v33, v4, v29
	v_fmac_f32_e32 v33, v5, v28
	v_add_f32_e32 v24, v24, v32
	v_mul_f32_e32 v32, v5, v31
	v_add_f32_e32 v26, v26, v33
	v_fma_f32 v36, v4, v30, -v32
	ds_read_b128 v[32:35], v27 offset:1056
	v_mul_f32_e32 v4, v4, v31
	ds_read2_b64 v[40:43], v25 offset0:160 offset1:176
	v_fmac_f32_e32 v4, v5, v30
	v_add_f32_e32 v5, v20, v36
	ds_read_b128 v[36:39], v27 offset:1072
	s_waitcnt lgkmcnt(2)
	v_mul_f32_e32 v20, v33, v29
	v_fma_f32 v20, v32, v28, -v20
	v_add_f32_e32 v16, v16, v20
	v_mul_f32_e32 v20, v33, v31
	v_add_f32_e32 v4, v22, v4
	v_mul_f32_e32 v22, v32, v29
	v_fma_f32 v20, v32, v30, -v20
	v_fmac_f32_e32 v22, v33, v28
	v_add_f32_e32 v14, v14, v20
	s_waitcnt lgkmcnt(1)
	v_mul_f32_e32 v20, v7, v41
	v_add_f32_e32 v18, v18, v22
	v_mul_f32_e32 v22, v32, v31
	v_fma_f32 v20, v6, v40, -v20
	v_fmac_f32_e32 v22, v33, v30
	v_add_f32_e32 v20, v24, v20
	v_mul_f32_e32 v24, v7, v43
	v_add_f32_e32 v12, v12, v22
	v_mul_f32_e32 v22, v6, v41
	v_fma_f32 v24, v6, v42, -v24
	v_mul_f32_e32 v6, v6, v43
	v_fmac_f32_e32 v22, v7, v40
	v_fmac_f32_e32 v6, v7, v42
	v_add_f32_e32 v22, v26, v22
	v_add_f32_e32 v26, v4, v6
	v_mul_f32_e32 v4, v35, v41
	v_add_f32_e32 v24, v5, v24
	v_fma_f32 v4, v34, v40, -v4
	v_mul_f32_e32 v5, v34, v41
	v_fmac_f32_e32 v5, v35, v40
	v_add_f32_e32 v16, v16, v4
	v_mul_f32_e32 v4, v35, v43
	v_add_f32_e32 v18, v18, v5
	v_fma_f32 v28, v34, v42, -v4
	ds_read2_b64 v[4:7], v25 offset0:192 offset1:208
	v_mul_f32_e32 v29, v34, v43
	v_add_f32_e32 v14, v14, v28
	v_fmac_f32_e32 v29, v35, v42
	v_add_f32_e32 v12, v12, v29
	s_waitcnt lgkmcnt(0)
	v_mul_f32_e32 v28, v1, v5
	v_fma_f32 v28, v0, v4, -v28
	v_mul_f32_e32 v29, v0, v5
	v_add_f32_e32 v20, v20, v28
	v_mul_f32_e32 v28, v1, v7
	v_fmac_f32_e32 v29, v1, v4
	v_fma_f32 v28, v0, v6, -v28
	v_mul_f32_e32 v0, v0, v7
	v_add_f32_e32 v22, v22, v29
	v_fmac_f32_e32 v0, v1, v6
	v_add_f32_e32 v1, v24, v28
	ds_read2_b64 v[28:31], v25 offset0:224 offset1:240
	v_mul_f32_e32 v24, v37, v5
	v_fma_f32 v24, v36, v4, -v24
	v_mul_f32_e32 v5, v36, v5
	v_fmac_f32_e32 v5, v37, v4
	v_add_f32_e32 v4, v16, v24
	v_mul_f32_e32 v16, v37, v7
	v_mul_f32_e32 v7, v36, v7
	v_fmac_f32_e32 v7, v37, v6
	v_add_f32_e32 v7, v12, v7
	s_waitcnt lgkmcnt(0)
	v_mul_f32_e32 v12, v3, v29
	v_fma_f32 v12, v2, v28, -v12
	v_fma_f32 v16, v36, v6, -v16
	v_add_f32_e32 v24, v20, v12
	v_mul_f32_e32 v12, v3, v31
	v_add_f32_e32 v6, v14, v16
	v_mul_f32_e32 v14, v2, v29
	v_fma_f32 v12, v2, v30, -v12
	v_mul_f32_e32 v2, v2, v31
	v_add_f32_e32 v0, v26, v0
	v_fmac_f32_e32 v14, v3, v28
	v_fmac_f32_e32 v2, v3, v30
	v_add_f32_e32 v26, v22, v14
	v_add_f32_e32 v20, v1, v12
	;; [unrolled: 1-line block ×3, first 2 shown]
	v_mul_f32_e32 v0, v39, v29
	v_mul_f32_e32 v1, v38, v29
	v_add_f32_e32 v5, v18, v5
	v_fma_f32 v0, v38, v28, -v0
	v_fmac_f32_e32 v1, v39, v28
	v_add_f32_e32 v16, v4, v0
	v_add_f32_e32 v18, v5, v1
	v_mul_f32_e32 v0, v39, v31
	v_mul_f32_e32 v1, v38, v31
	v_fma_f32 v0, v38, v30, -v0
	v_fmac_f32_e32 v1, v39, v30
	s_add_i32 s5, s5, 8
	v_add_f32_e32 v14, v6, v0
	v_add_f32_e32 v12, v7, v1
	v_lshl_add_u64 v[8:9], v[8:9], 0, s[12:13]
	s_cmp_lt_i32 s5, s9
	v_lshl_add_u64 v[10:11], v[10:11], 0, s[14:15]
	s_barrier
	s_cbranch_scc0 .LBB91_12
.LBB91_8:                               ; =>This Inner Loop Header: Depth=1
	v_add_u32_e32 v0, s5, v19
	v_cmp_gt_i32_e64 s[6:7], s9, v0
	s_and_b64 s[22:23], vcc, s[6:7]
	v_mov_b32_e32 v0, 0
	v_mov_b32_e32 v1, 0
	s_and_saveexec_b64 s[6:7], s[22:23]
	s_cbranch_execz .LBB91_10
; %bb.9:                                ;   in Loop: Header=BB91_8 Depth=1
	global_load_dwordx2 v[0:1], v[8:9], off
.LBB91_10:                              ;   in Loop: Header=BB91_8 Depth=1
	s_or_b64 exec, exec, s[6:7]
	s_waitcnt vmcnt(0)
	ds_write_b64 v21, v[0:1]
	v_add_u32_e32 v0, s5, v17
	v_cmp_gt_i32_e64 s[6:7], s9, v0
	s_and_b64 s[22:23], s[6:7], s[2:3]
	v_mov_b32_e32 v0, 0
	v_mov_b32_e32 v1, 0
	s_and_saveexec_b64 s[6:7], s[22:23]
	s_cbranch_execz .LBB91_7
; %bb.11:                               ;   in Loop: Header=BB91_8 Depth=1
	global_load_dwordx2 v[0:1], v[10:11], off
	s_branch .LBB91_7
.LBB91_12:
	s_load_dwordx2 s[2:3], s[0:1], 0x58
	s_load_dwordx2 s[6:7], s[0:1], 0x48
	s_load_dword s9, s[0:1], 0x50
	v_add_u32_e32 v10, s21, v15
	v_add_u32_e32 v0, s20, v13
	s_waitcnt lgkmcnt(0)
	s_mul_i32 s1, s3, s4
	s_mul_hi_u32 s3, s2, s4
	s_mul_i32 s0, s2, s4
	s_add_i32 s1, s3, s1
	s_lshl_b64 s[0:1], s[0:1], 3
	s_add_u32 s4, s6, s0
	s_addc_u32 s5, s7, s1
	v_cmp_neq_f32_e64 s[0:1], s16, 0
	s_xor_b64 s[6:7], s[18:19], -1
	v_mad_i64_i32 v[2:3], s[12:13], v10, s9, 0
	s_or_b64 s[0:1], s[0:1], s[6:7]
	v_cmp_gt_i32_e64 s[2:3], s8, v10
	v_lshl_add_u64 v[4:5], v[2:3], 3, s[4:5]
	v_cmp_le_i32_e32 vcc, v0, v10
	v_cndmask_b32_e64 v2, 0, 1, s[0:1]
	s_and_b64 s[12:13], s[2:3], vcc
	v_ashrrev_i32_e32 v1, 31, v0
	v_cmp_ne_u32_e64 s[0:1], 1, v2
	s_and_saveexec_b64 s[6:7], s[12:13]
	s_cbranch_execz .LBB91_16
; %bb.13:
	v_pk_mul_f32 v[6:7], v[26:27], s[10:11] op_sel:[0,1] op_sel_hi:[0,0]
	v_pk_fma_f32 v[2:3], v[24:25], s[10:11], v[6:7] op_sel_hi:[0,1,1] neg_lo:[0,0,1] neg_hi:[0,0,1]
	v_pk_fma_f32 v[8:9], v[24:25], s[10:11], v[6:7] op_sel_hi:[0,1,1]
	s_and_b64 vcc, exec, s[0:1]
	v_lshl_add_u64 v[6:7], v[0:1], 3, v[4:5]
	s_cbranch_vccnz .LBB91_15
; %bb.14:
	global_load_dwordx2 v[24:25], v[6:7], off
	s_mov_b32 s12, s17
	v_mov_b32_e32 v3, v9
	s_waitcnt vmcnt(0)
	v_pk_mul_f32 v[8:9], v[24:25], s[12:13] op_sel:[1,0] op_sel_hi:[0,0]
	v_pk_fma_f32 v[26:27], v[24:25], s[16:17], v[8:9] neg_lo:[0,0,1] neg_hi:[0,0,1]
	v_pk_fma_f32 v[8:9], v[24:25], s[16:17], v[8:9] op_sel_hi:[1,0,1]
	s_nop 0
	v_mov_b32_e32 v27, v9
	v_pk_add_f32 v[2:3], v[2:3], v[26:27]
	s_nop 0
	v_mov_b32_e32 v9, v3
.LBB91_15:
	v_mov_b32_e32 v3, v9
	global_store_dwordx2 v[6:7], v[2:3], off
.LBB91_16:
	s_or_b64 exec, exec, s[6:7]
	v_add_u32_e32 v2, 16, v0
	v_cmp_le_i32_e32 vcc, v2, v10
	s_and_b64 s[6:7], s[2:3], vcc
	v_ashrrev_i32_e32 v3, 31, v2
	s_and_saveexec_b64 s[2:3], s[6:7]
	s_cbranch_execz .LBB91_20
; %bb.17:
	v_pk_mul_f32 v[8:9], v[22:23], s[10:11] op_sel:[0,1] op_sel_hi:[0,0]
	v_pk_fma_f32 v[6:7], v[20:21], s[10:11], v[8:9] op_sel_hi:[0,1,1] neg_lo:[0,0,1] neg_hi:[0,0,1]
	v_pk_fma_f32 v[8:9], v[20:21], s[10:11], v[8:9] op_sel_hi:[0,1,1]
	s_and_b64 vcc, exec, s[0:1]
	v_lshl_add_u64 v[4:5], v[2:3], 3, v[4:5]
	s_cbranch_vccnz .LBB91_19
; %bb.18:
	global_load_dwordx2 v[20:21], v[4:5], off
	s_mov_b32 s6, s17
	v_mov_b32_e32 v7, v9
	s_waitcnt vmcnt(0)
	v_pk_mul_f32 v[8:9], v[20:21], s[6:7] op_sel:[1,0] op_sel_hi:[0,0]
	v_pk_fma_f32 v[22:23], v[20:21], s[16:17], v[8:9] neg_lo:[0,0,1] neg_hi:[0,0,1]
	v_pk_fma_f32 v[8:9], v[20:21], s[16:17], v[8:9] op_sel_hi:[1,0,1]
	s_nop 0
	v_mov_b32_e32 v23, v9
	v_pk_add_f32 v[6:7], v[6:7], v[22:23]
	s_nop 0
	v_mov_b32_e32 v9, v7
.LBB91_19:
	v_mov_b32_e32 v7, v9
	global_store_dwordx2 v[4:5], v[6:7], off
.LBB91_20:
	s_or_b64 exec, exec, s[2:3]
	v_add_u32_e32 v10, 16, v10
	v_cmp_gt_i32_e64 s[2:3], s8, v10
	v_mad_i64_i32 v[4:5], s[6:7], v10, s9, 0
	v_cmp_le_i32_e32 vcc, v0, v10
	v_lshl_add_u64 v[4:5], v[4:5], 3, s[4:5]
	s_and_b64 s[6:7], s[2:3], vcc
	s_and_saveexec_b64 s[4:5], s[6:7]
	s_cbranch_execz .LBB91_24
; %bb.21:
	v_pk_mul_f32 v[8:9], v[18:19], s[10:11] op_sel:[0,1] op_sel_hi:[0,0]
	v_pk_fma_f32 v[6:7], v[16:17], s[10:11], v[8:9] op_sel_hi:[0,1,1] neg_lo:[0,0,1] neg_hi:[0,0,1]
	v_pk_fma_f32 v[8:9], v[16:17], s[10:11], v[8:9] op_sel_hi:[0,1,1]
	s_and_b64 vcc, exec, s[0:1]
	v_lshl_add_u64 v[0:1], v[0:1], 3, v[4:5]
	s_cbranch_vccnz .LBB91_23
; %bb.22:
	global_load_dwordx2 v[16:17], v[0:1], off
	s_mov_b32 s6, s17
	v_mov_b32_e32 v7, v9
	s_waitcnt vmcnt(0)
	v_pk_mul_f32 v[8:9], v[16:17], s[6:7] op_sel:[1,0] op_sel_hi:[0,0]
	v_pk_fma_f32 v[18:19], v[16:17], s[16:17], v[8:9] neg_lo:[0,0,1] neg_hi:[0,0,1]
	v_pk_fma_f32 v[8:9], v[16:17], s[16:17], v[8:9] op_sel_hi:[1,0,1]
	s_nop 0
	v_mov_b32_e32 v19, v9
	v_pk_add_f32 v[6:7], v[6:7], v[18:19]
	s_nop 0
	v_mov_b32_e32 v9, v7
.LBB91_23:
	v_mov_b32_e32 v7, v9
	global_store_dwordx2 v[0:1], v[6:7], off
.LBB91_24:
	s_or_b64 exec, exec, s[4:5]
	v_cmp_le_i32_e32 vcc, v2, v10
	s_and_b64 s[2:3], s[2:3], vcc
	s_and_saveexec_b64 s[4:5], s[2:3]
	s_cbranch_execz .LBB91_28
; %bb.25:
	v_pk_mul_f32 v[6:7], v[12:13], s[10:11] op_sel:[0,1] op_sel_hi:[0,0]
	v_pk_fma_f32 v[0:1], v[14:15], s[10:11], v[6:7] op_sel_hi:[0,1,1] neg_lo:[0,0,1] neg_hi:[0,0,1]
	v_pk_fma_f32 v[6:7], v[14:15], s[10:11], v[6:7] op_sel_hi:[0,1,1]
	s_and_b64 vcc, exec, s[0:1]
	v_lshl_add_u64 v[2:3], v[2:3], 3, v[4:5]
	s_cbranch_vccnz .LBB91_27
; %bb.26:
	global_load_dwordx2 v[4:5], v[2:3], off
	s_mov_b32 s0, s17
	v_mov_b32_e32 v1, v7
	s_waitcnt vmcnt(0)
	v_pk_mul_f32 v[6:7], v[4:5], s[0:1] op_sel:[1,0] op_sel_hi:[0,0]
	v_pk_fma_f32 v[8:9], v[4:5], s[16:17], v[6:7] neg_lo:[0,0,1] neg_hi:[0,0,1]
	v_pk_fma_f32 v[4:5], v[4:5], s[16:17], v[6:7] op_sel_hi:[1,0,1]
	s_nop 0
	v_mov_b32_e32 v9, v5
	v_pk_add_f32 v[0:1], v[0:1], v[8:9]
	s_nop 0
	v_mov_b32_e32 v7, v1
.LBB91_27:
	v_mov_b32_e32 v1, v7
	global_store_dwordx2 v[2:3], v[0:1], off
.LBB91_28:
	s_endpgm
	.section	.rodata,"a",@progbits
	.p2align	6, 0x0
	.amdhsa_kernel _ZL29rocblas_internal_gemmt_kernelIiLi16ELi32ELi8ELc78ELc84ELc85ELb0ELb0E19rocblas_complex_numIfES1_PKS1_PS1_EviT_T9_T10_S5_lS7_S5_lS6_T11_S5_li
		.amdhsa_group_segment_fixed_size 4096
		.amdhsa_private_segment_fixed_size 0
		.amdhsa_kernarg_size 100
		.amdhsa_user_sgpr_count 2
		.amdhsa_user_sgpr_dispatch_ptr 0
		.amdhsa_user_sgpr_queue_ptr 0
		.amdhsa_user_sgpr_kernarg_segment_ptr 1
		.amdhsa_user_sgpr_dispatch_id 0
		.amdhsa_user_sgpr_kernarg_preload_length 0
		.amdhsa_user_sgpr_kernarg_preload_offset 0
		.amdhsa_user_sgpr_private_segment_size 0
		.amdhsa_uses_dynamic_stack 0
		.amdhsa_enable_private_segment 0
		.amdhsa_system_sgpr_workgroup_id_x 1
		.amdhsa_system_sgpr_workgroup_id_y 1
		.amdhsa_system_sgpr_workgroup_id_z 1
		.amdhsa_system_sgpr_workgroup_info 0
		.amdhsa_system_vgpr_workitem_id 1
		.amdhsa_next_free_vgpr 52
		.amdhsa_next_free_sgpr 30
		.amdhsa_accum_offset 52
		.amdhsa_reserve_vcc 1
		.amdhsa_float_round_mode_32 0
		.amdhsa_float_round_mode_16_64 0
		.amdhsa_float_denorm_mode_32 3
		.amdhsa_float_denorm_mode_16_64 3
		.amdhsa_dx10_clamp 1
		.amdhsa_ieee_mode 1
		.amdhsa_fp16_overflow 0
		.amdhsa_tg_split 0
		.amdhsa_exception_fp_ieee_invalid_op 0
		.amdhsa_exception_fp_denorm_src 0
		.amdhsa_exception_fp_ieee_div_zero 0
		.amdhsa_exception_fp_ieee_overflow 0
		.amdhsa_exception_fp_ieee_underflow 0
		.amdhsa_exception_fp_ieee_inexact 0
		.amdhsa_exception_int_div_zero 0
	.end_amdhsa_kernel
	.section	.text._ZL29rocblas_internal_gemmt_kernelIiLi16ELi32ELi8ELc78ELc84ELc85ELb0ELb0E19rocblas_complex_numIfES1_PKS1_PS1_EviT_T9_T10_S5_lS7_S5_lS6_T11_S5_li,"axG",@progbits,_ZL29rocblas_internal_gemmt_kernelIiLi16ELi32ELi8ELc78ELc84ELc85ELb0ELb0E19rocblas_complex_numIfES1_PKS1_PS1_EviT_T9_T10_S5_lS7_S5_lS6_T11_S5_li,comdat
.Lfunc_end91:
	.size	_ZL29rocblas_internal_gemmt_kernelIiLi16ELi32ELi8ELc78ELc84ELc85ELb0ELb0E19rocblas_complex_numIfES1_PKS1_PS1_EviT_T9_T10_S5_lS7_S5_lS6_T11_S5_li, .Lfunc_end91-_ZL29rocblas_internal_gemmt_kernelIiLi16ELi32ELi8ELc78ELc84ELc85ELb0ELb0E19rocblas_complex_numIfES1_PKS1_PS1_EviT_T9_T10_S5_lS7_S5_lS6_T11_S5_li
                                        ; -- End function
	.set _ZL29rocblas_internal_gemmt_kernelIiLi16ELi32ELi8ELc78ELc84ELc85ELb0ELb0E19rocblas_complex_numIfES1_PKS1_PS1_EviT_T9_T10_S5_lS7_S5_lS6_T11_S5_li.num_vgpr, 52
	.set _ZL29rocblas_internal_gemmt_kernelIiLi16ELi32ELi8ELc78ELc84ELc85ELb0ELb0E19rocblas_complex_numIfES1_PKS1_PS1_EviT_T9_T10_S5_lS7_S5_lS6_T11_S5_li.num_agpr, 0
	.set _ZL29rocblas_internal_gemmt_kernelIiLi16ELi32ELi8ELc78ELc84ELc85ELb0ELb0E19rocblas_complex_numIfES1_PKS1_PS1_EviT_T9_T10_S5_lS7_S5_lS6_T11_S5_li.numbered_sgpr, 30
	.set _ZL29rocblas_internal_gemmt_kernelIiLi16ELi32ELi8ELc78ELc84ELc85ELb0ELb0E19rocblas_complex_numIfES1_PKS1_PS1_EviT_T9_T10_S5_lS7_S5_lS6_T11_S5_li.num_named_barrier, 0
	.set _ZL29rocblas_internal_gemmt_kernelIiLi16ELi32ELi8ELc78ELc84ELc85ELb0ELb0E19rocblas_complex_numIfES1_PKS1_PS1_EviT_T9_T10_S5_lS7_S5_lS6_T11_S5_li.private_seg_size, 0
	.set _ZL29rocblas_internal_gemmt_kernelIiLi16ELi32ELi8ELc78ELc84ELc85ELb0ELb0E19rocblas_complex_numIfES1_PKS1_PS1_EviT_T9_T10_S5_lS7_S5_lS6_T11_S5_li.uses_vcc, 1
	.set _ZL29rocblas_internal_gemmt_kernelIiLi16ELi32ELi8ELc78ELc84ELc85ELb0ELb0E19rocblas_complex_numIfES1_PKS1_PS1_EviT_T9_T10_S5_lS7_S5_lS6_T11_S5_li.uses_flat_scratch, 0
	.set _ZL29rocblas_internal_gemmt_kernelIiLi16ELi32ELi8ELc78ELc84ELc85ELb0ELb0E19rocblas_complex_numIfES1_PKS1_PS1_EviT_T9_T10_S5_lS7_S5_lS6_T11_S5_li.has_dyn_sized_stack, 0
	.set _ZL29rocblas_internal_gemmt_kernelIiLi16ELi32ELi8ELc78ELc84ELc85ELb0ELb0E19rocblas_complex_numIfES1_PKS1_PS1_EviT_T9_T10_S5_lS7_S5_lS6_T11_S5_li.has_recursion, 0
	.set _ZL29rocblas_internal_gemmt_kernelIiLi16ELi32ELi8ELc78ELc84ELc85ELb0ELb0E19rocblas_complex_numIfES1_PKS1_PS1_EviT_T9_T10_S5_lS7_S5_lS6_T11_S5_li.has_indirect_call, 0
	.section	.AMDGPU.csdata,"",@progbits
; Kernel info:
; codeLenInByte = 2464
; TotalNumSgprs: 36
; NumVgprs: 52
; NumAgprs: 0
; TotalNumVgprs: 52
; ScratchSize: 0
; MemoryBound: 0
; FloatMode: 240
; IeeeMode: 1
; LDSByteSize: 4096 bytes/workgroup (compile time only)
; SGPRBlocks: 4
; VGPRBlocks: 6
; NumSGPRsForWavesPerEU: 36
; NumVGPRsForWavesPerEU: 52
; AccumOffset: 52
; Occupancy: 8
; WaveLimiterHint : 0
; COMPUTE_PGM_RSRC2:SCRATCH_EN: 0
; COMPUTE_PGM_RSRC2:USER_SGPR: 2
; COMPUTE_PGM_RSRC2:TRAP_HANDLER: 0
; COMPUTE_PGM_RSRC2:TGID_X_EN: 1
; COMPUTE_PGM_RSRC2:TGID_Y_EN: 1
; COMPUTE_PGM_RSRC2:TGID_Z_EN: 1
; COMPUTE_PGM_RSRC2:TIDIG_COMP_CNT: 1
; COMPUTE_PGM_RSRC3_GFX90A:ACCUM_OFFSET: 12
; COMPUTE_PGM_RSRC3_GFX90A:TG_SPLIT: 0
	.section	.text._ZL29rocblas_internal_gemmt_kernelIiLi16ELi32ELi8ELc78ELc67ELc85ELb0ELb1E19rocblas_complex_numIfES1_PKS1_PS1_EviT_T9_T10_S5_lS7_S5_lS6_T11_S5_li,"axG",@progbits,_ZL29rocblas_internal_gemmt_kernelIiLi16ELi32ELi8ELc78ELc67ELc85ELb0ELb1E19rocblas_complex_numIfES1_PKS1_PS1_EviT_T9_T10_S5_lS7_S5_lS6_T11_S5_li,comdat
	.globl	_ZL29rocblas_internal_gemmt_kernelIiLi16ELi32ELi8ELc78ELc67ELc85ELb0ELb1E19rocblas_complex_numIfES1_PKS1_PS1_EviT_T9_T10_S5_lS7_S5_lS6_T11_S5_li ; -- Begin function _ZL29rocblas_internal_gemmt_kernelIiLi16ELi32ELi8ELc78ELc67ELc85ELb0ELb1E19rocblas_complex_numIfES1_PKS1_PS1_EviT_T9_T10_S5_lS7_S5_lS6_T11_S5_li
	.p2align	8
	.type	_ZL29rocblas_internal_gemmt_kernelIiLi16ELi32ELi8ELc78ELc67ELc85ELb0ELb1E19rocblas_complex_numIfES1_PKS1_PS1_EviT_T9_T10_S5_lS7_S5_lS6_T11_S5_li,@function
_ZL29rocblas_internal_gemmt_kernelIiLi16ELi32ELi8ELc78ELc67ELc85ELb0ELb1E19rocblas_complex_numIfES1_PKS1_PS1_EviT_T9_T10_S5_lS7_S5_lS6_T11_S5_li: ; @_ZL29rocblas_internal_gemmt_kernelIiLi16ELi32ELi8ELc78ELc67ELc85ELb0ELb1E19rocblas_complex_numIfES1_PKS1_PS1_EviT_T9_T10_S5_lS7_S5_lS6_T11_S5_li
; %bb.0:
	s_load_dwordx2 s[6:7], s[0:1], 0x40
	s_load_dwordx4 s[8:11], s[0:1], 0x0
	s_waitcnt lgkmcnt(0)
	s_and_b32 s5, s7, 0x7fffffff
	s_cmp_eq_u32 s5, 0
	v_cmp_eq_f32_e64 s[12:13], s6, 1.0
	s_cselect_b64 s[16:17], -1, 0
	s_and_b64 s[12:13], s[12:13], s[16:17]
	s_and_b64 vcc, exec, s[12:13]
	s_cbranch_vccnz .LBB92_2
; %bb.1:
	s_mov_b64 s[12:13], -1
	s_cbranch_execz .LBB92_3
	s_branch .LBB92_4
.LBB92_2:
	s_mov_b64 s[12:13], 0
.LBB92_3:
	s_cmp_lg_u32 s9, 0
	v_cmp_neq_f32_e64 s[14:15], s10, 0
	v_cmp_neq_f32_e64 s[18:19], s11, 0
	s_cselect_b64 s[12:13], -1, 0
	s_or_b64 s[14:15], s[14:15], s[18:19]
	s_and_b64 s[12:13], s[12:13], s[14:15]
.LBB92_4:
	s_andn2_b64 vcc, exec, s[12:13]
	s_cbranch_vccnz .LBB92_30
; %bb.5:
	s_lshl_b32 s20, s2, 5
	s_lshl_b32 s21, s3, 5
	v_cmp_eq_f32_e64 s[2:3], s10, 0
	v_cmp_eq_f32_e64 s[12:13], s11, 0
	s_and_b64 s[2:3], s[2:3], s[12:13]
	s_cmp_lt_i32 s9, 1
	s_cselect_b64 s[12:13], -1, 0
	s_or_b64 s[2:3], s[2:3], s[12:13]
	v_and_b32_e32 v13, 0x3ff, v0
	v_bfe_u32 v15, v0, 10, 10
	s_mov_b32 s5, 0
	v_mov_b32_e32 v24, 0
	s_and_b64 vcc, exec, s[2:3]
	v_mov_b32_e32 v26, 0
	v_mov_b32_e32 v20, 0
	;; [unrolled: 1-line block ×7, first 2 shown]
	s_cbranch_vccnz .LBB92_14
; %bb.6:
	v_lshl_add_u32 v1, v15, 4, v13
	v_and_b32_e32 v4, 31, v1
	v_lshrrev_b32_e32 v19, 5, v1
	v_lshrrev_b32_e32 v2, 3, v1
	v_or_b32_e32 v1, s20, v4
	s_load_dwordx2 s[18:19], s[0:1], 0x10
	s_load_dword s22, s[0:1], 0x18
	s_load_dwordx4 s[12:15], s[0:1], 0x20
	s_load_dword s24, s[0:1], 0x30
	v_and_b32_e32 v17, 7, v13
	v_cmp_gt_i32_e32 vcc, s8, v1
	v_lshlrev_b32_e32 v1, 3, v4
	v_lshl_or_b32 v21, v19, 8, v1
	v_lshlrev_b32_e32 v1, 3, v17
	v_add_u32_e32 v0, s21, v2
	v_lshl_or_b32 v1, v2, 6, v1
	v_mov_b32_e32 v2, 0x800
	v_lshl_add_u32 v27, v15, 6, v2
	s_waitcnt lgkmcnt(0)
	v_mad_i64_i32 v[2:3], s[28:29], v19, s22, 0
	s_load_dwordx2 s[26:27], s[0:1], 0x38
	s_mul_i32 s13, s13, s4
	s_mul_hi_u32 s28, s12, s4
	s_add_i32 s13, s28, s13
	s_mul_i32 s12, s12, s4
	s_lshl_b64 s[12:13], s[12:13], 3
	v_add_u32_e32 v4, s20, v4
	v_lshl_add_u64 v[2:3], v[2:3], 3, s[12:13]
	v_ashrrev_i32_e32 v5, 31, v4
	s_ashr_i32 s23, s22, 31
	v_lshl_add_u64 v[2:3], v[4:5], 3, v[2:3]
	v_lshl_add_u64 v[8:9], s[18:19], 0, v[2:3]
	s_lshl_b64 s[12:13], s[22:23], 6
	s_waitcnt lgkmcnt(0)
	s_mul_i32 s18, s27, s4
	s_mul_hi_u32 s19, s26, s4
	v_mad_i64_i32 v[2:3], s[22:23], s24, v17, 0
	s_add_i32 s19, s19, s18
	s_mul_i32 s18, s26, s4
	v_lshlrev_b64 v[2:3], 3, v[2:3]
	v_add_u32_e32 v23, 0x800, v1
	v_ashrrev_i32_e32 v1, 31, v0
	v_lshl_add_u64 v[2:3], s[18:19], 3, v[2:3]
	v_cmp_gt_i32_e64 s[2:3], s8, v0
	v_lshl_add_u64 v[0:1], v[0:1], 3, v[2:3]
	s_ashr_i32 s25, s24, 31
	v_lshl_add_u64 v[0:1], s[14:15], 0, v[0:1]
	v_lshlrev_b32_e32 v25, 3, v13
	v_lshl_add_u64 v[10:11], v[0:1], 0, 4
	s_lshl_b64 s[14:15], s[24:25], 6
	v_mov_b32_e32 v28, 0
	s_xor_b64 s[18:19], s[2:3], -1
	v_mov_b32_e32 v14, 0
	v_mov_b32_e32 v12, 0
	;; [unrolled: 1-line block ×8, first 2 shown]
	s_branch .LBB92_8
.LBB92_7:                               ;   in Loop: Header=BB92_8 Depth=1
	s_or_b64 exec, exec, s[2:3]
	ds_write_b32 v23, v0 offset:4
	s_waitcnt lgkmcnt(0)
	s_barrier
	ds_read2_b64 v[30:33], v25 offset1:16
	ds_read_b128 v[34:37], v27
	ds_read_b128 v[38:41], v27 offset:16
	ds_read_b128 v[4:7], v27 offset:32
	;; [unrolled: 1-line block ×3, first 2 shown]
	ds_read2_b64 v[50:53], v25 offset0:32 offset1:48
	s_waitcnt lgkmcnt(4)
	v_mul_f32_e32 v42, v34, v31
	v_fmac_f32_e32 v42, v35, v30
	v_add_f32_e32 v26, v26, v42
	ds_read_b128 v[42:45], v27 offset:1024
	ds_read_b128 v[46:49], v27 offset:1040
	v_mul_f32_e32 v29, v35, v31
	v_fma_f32 v29, v34, v30, -v29
	v_add_f32_e32 v24, v24, v29
	v_mul_f32_e32 v29, v35, v33
	v_fma_f32 v29, v34, v32, -v29
	v_add_f32_e32 v20, v20, v29
	s_waitcnt lgkmcnt(1)
	v_mul_f32_e32 v29, v43, v31
	v_mul_f32_e32 v31, v42, v31
	v_fma_f32 v29, v42, v30, -v29
	v_fmac_f32_e32 v31, v43, v30
	v_mul_f32_e32 v30, v42, v33
	v_fmac_f32_e32 v30, v43, v32
	v_add_f32_e32 v14, v14, v30
	v_mul_f32_e32 v30, v36, v51
	v_mul_f32_e32 v34, v34, v33
	v_fmac_f32_e32 v30, v37, v50
	v_fmac_f32_e32 v34, v35, v32
	v_add_f32_e32 v26, v26, v30
	v_mul_f32_e32 v30, v36, v53
	v_add_f32_e32 v22, v22, v34
	v_add_f32_e32 v16, v16, v29
	v_mul_f32_e32 v29, v43, v33
	v_fmac_f32_e32 v30, v37, v52
	v_fma_f32 v29, v42, v32, -v29
	v_add_f32_e32 v22, v22, v30
	v_mul_f32_e32 v30, v44, v51
	v_add_f32_e32 v18, v18, v31
	v_add_f32_e32 v12, v12, v29
	v_mul_f32_e32 v29, v37, v51
	v_fmac_f32_e32 v30, v45, v50
	v_fma_f32 v29, v36, v50, -v29
	v_add_f32_e32 v18, v18, v30
	ds_read2_b64 v[30:33], v25 offset0:64 offset1:80
	v_add_f32_e32 v24, v24, v29
	v_mul_f32_e32 v29, v37, v53
	v_fma_f32 v29, v36, v52, -v29
	v_add_f32_e32 v20, v20, v29
	v_mul_f32_e32 v29, v45, v51
	v_mul_f32_e32 v34, v44, v53
	v_fma_f32 v29, v44, v50, -v29
	v_fmac_f32_e32 v34, v45, v52
	v_add_f32_e32 v16, v16, v29
	v_mul_f32_e32 v29, v45, v53
	v_add_f32_e32 v14, v14, v34
	s_waitcnt lgkmcnt(0)
	v_mul_f32_e32 v34, v38, v31
	v_fma_f32 v29, v44, v52, -v29
	v_fmac_f32_e32 v34, v39, v30
	v_add_f32_e32 v12, v12, v29
	v_mul_f32_e32 v29, v39, v31
	v_add_f32_e32 v26, v26, v34
	v_mul_f32_e32 v34, v38, v33
	v_fma_f32 v29, v38, v30, -v29
	v_fmac_f32_e32 v34, v39, v32
	v_add_f32_e32 v24, v24, v29
	v_mul_f32_e32 v29, v39, v33
	v_add_f32_e32 v22, v22, v34
	ds_read2_b64 v[34:37], v25 offset0:96 offset1:112
	v_fma_f32 v29, v38, v32, -v29
	v_add_f32_e32 v20, v20, v29
	v_mul_f32_e32 v29, v47, v31
	v_mul_f32_e32 v31, v46, v31
	v_fma_f32 v29, v46, v30, -v29
	v_fmac_f32_e32 v31, v47, v30
	v_mul_f32_e32 v30, v46, v33
	v_fmac_f32_e32 v30, v47, v32
	v_add_f32_e32 v14, v14, v30
	s_waitcnt lgkmcnt(0)
	v_mul_f32_e32 v30, v40, v35
	v_fmac_f32_e32 v30, v41, v34
	v_add_f32_e32 v16, v16, v29
	v_mul_f32_e32 v29, v47, v33
	v_add_f32_e32 v26, v26, v30
	v_mul_f32_e32 v30, v40, v37
	v_fma_f32 v29, v46, v32, -v29
	v_fmac_f32_e32 v30, v41, v36
	v_add_f32_e32 v12, v12, v29
	v_mul_f32_e32 v29, v41, v35
	v_add_f32_e32 v22, v22, v30
	v_mul_f32_e32 v30, v48, v35
	v_add_f32_e32 v18, v18, v31
	v_fma_f32 v29, v40, v34, -v29
	v_fmac_f32_e32 v30, v49, v34
	v_add_f32_e32 v24, v24, v29
	v_mul_f32_e32 v29, v41, v37
	v_add_f32_e32 v18, v18, v30
	ds_read2_b64 v[30:33], v25 offset0:128 offset1:144
	v_fma_f32 v29, v40, v36, -v29
	v_add_f32_e32 v20, v20, v29
	v_mul_f32_e32 v29, v49, v35
	v_fma_f32 v29, v48, v34, -v29
	v_mul_f32_e32 v34, v48, v37
	v_fmac_f32_e32 v34, v49, v36
	v_add_f32_e32 v14, v14, v34
	s_waitcnt lgkmcnt(0)
	v_mul_f32_e32 v34, v4, v31
	v_add_f32_e32 v16, v16, v29
	v_mul_f32_e32 v29, v49, v37
	v_fmac_f32_e32 v34, v5, v30
	v_fma_f32 v29, v48, v36, -v29
	v_add_f32_e32 v26, v26, v34
	ds_read_b128 v[34:37], v27 offset:1056
	ds_read_b128 v[38:41], v27 offset:1072
	v_add_f32_e32 v12, v12, v29
	v_mul_f32_e32 v29, v5, v31
	v_fma_f32 v29, v4, v30, -v29
	v_add_f32_e32 v24, v24, v29
	v_mul_f32_e32 v29, v5, v33
	v_fma_f32 v29, v4, v32, -v29
	v_mul_f32_e32 v4, v4, v33
	ds_read2_b64 v[42:45], v25 offset0:160 offset1:176
	v_fmac_f32_e32 v4, v5, v32
	v_add_f32_e32 v5, v20, v29
	s_waitcnt lgkmcnt(2)
	v_mul_f32_e32 v20, v35, v31
	v_fma_f32 v20, v34, v30, -v20
	v_add_f32_e32 v16, v16, v20
	v_mul_f32_e32 v20, v35, v33
	v_add_f32_e32 v4, v22, v4
	v_mul_f32_e32 v22, v34, v31
	v_fma_f32 v20, v34, v32, -v20
	v_fmac_f32_e32 v22, v35, v30
	v_add_f32_e32 v12, v12, v20
	s_waitcnt lgkmcnt(0)
	v_mul_f32_e32 v20, v7, v43
	v_add_f32_e32 v18, v18, v22
	v_mul_f32_e32 v22, v34, v33
	v_fma_f32 v20, v6, v42, -v20
	v_fmac_f32_e32 v22, v35, v32
	v_add_f32_e32 v20, v24, v20
	v_mul_f32_e32 v24, v7, v45
	v_add_f32_e32 v14, v14, v22
	v_mul_f32_e32 v22, v6, v43
	v_fma_f32 v24, v6, v44, -v24
	v_mul_f32_e32 v6, v6, v45
	v_fmac_f32_e32 v22, v7, v42
	v_fmac_f32_e32 v6, v7, v44
	v_add_f32_e32 v22, v26, v22
	v_add_f32_e32 v26, v4, v6
	v_mul_f32_e32 v4, v37, v43
	v_add_f32_e32 v24, v5, v24
	v_fma_f32 v4, v36, v42, -v4
	v_mul_f32_e32 v5, v36, v43
	v_fmac_f32_e32 v5, v37, v42
	v_add_f32_e32 v16, v16, v4
	v_mul_f32_e32 v4, v37, v45
	v_add_f32_e32 v18, v18, v5
	v_fma_f32 v29, v36, v44, -v4
	ds_read2_b64 v[4:7], v25 offset0:192 offset1:208
	v_mul_f32_e32 v30, v36, v45
	v_fmac_f32_e32 v30, v37, v44
	v_add_f32_e32 v12, v12, v29
	v_add_f32_e32 v14, v14, v30
	s_waitcnt lgkmcnt(0)
	v_mul_f32_e32 v29, v1, v5
	v_fma_f32 v29, v0, v4, -v29
	v_mul_f32_e32 v30, v0, v5
	v_fmac_f32_e32 v30, v1, v4
	v_add_f32_e32 v20, v20, v29
	v_mul_f32_e32 v29, v1, v7
	v_add_f32_e32 v22, v22, v30
	v_fma_f32 v29, v0, v6, -v29
	v_mul_f32_e32 v0, v0, v7
	ds_read2_b64 v[30:33], v25 offset0:224 offset1:240
	v_fmac_f32_e32 v0, v1, v6
	v_add_f32_e32 v1, v24, v29
	v_mul_f32_e32 v24, v39, v5
	v_fma_f32 v24, v38, v4, -v24
	v_mul_f32_e32 v5, v38, v5
	v_fmac_f32_e32 v5, v39, v4
	v_add_f32_e32 v4, v16, v24
	v_mul_f32_e32 v16, v39, v7
	v_fma_f32 v16, v38, v6, -v16
	v_mul_f32_e32 v7, v38, v7
	v_fmac_f32_e32 v7, v39, v6
	v_add_f32_e32 v6, v12, v16
	s_waitcnt lgkmcnt(0)
	v_mul_f32_e32 v12, v3, v31
	v_fma_f32 v12, v2, v30, -v12
	v_add_f32_e32 v24, v20, v12
	v_mul_f32_e32 v12, v3, v33
	v_add_f32_e32 v7, v14, v7
	v_mul_f32_e32 v14, v2, v31
	v_fma_f32 v12, v2, v32, -v12
	v_mul_f32_e32 v2, v2, v33
	v_add_f32_e32 v0, v26, v0
	v_fmac_f32_e32 v14, v3, v30
	v_fmac_f32_e32 v2, v3, v32
	v_add_f32_e32 v26, v22, v14
	v_add_f32_e32 v20, v1, v12
	;; [unrolled: 1-line block ×3, first 2 shown]
	v_mul_f32_e32 v0, v41, v31
	v_mul_f32_e32 v1, v40, v31
	v_add_f32_e32 v5, v18, v5
	v_fma_f32 v0, v40, v30, -v0
	v_fmac_f32_e32 v1, v41, v30
	v_add_f32_e32 v16, v4, v0
	v_add_f32_e32 v18, v5, v1
	v_mul_f32_e32 v0, v41, v33
	v_mul_f32_e32 v1, v40, v33
	v_fma_f32 v0, v40, v32, -v0
	v_fmac_f32_e32 v1, v41, v32
	s_add_i32 s5, s5, 8
	v_add_f32_e32 v12, v6, v0
	v_add_f32_e32 v14, v7, v1
	v_lshl_add_u64 v[8:9], v[8:9], 0, s[12:13]
	s_cmp_lt_i32 s5, s9
	v_lshl_add_u64 v[10:11], v[10:11], 0, s[14:15]
	s_barrier
	s_cbranch_scc0 .LBB92_14
.LBB92_8:                               ; =>This Inner Loop Header: Depth=1
	v_add_u32_e32 v0, s5, v19
	v_cmp_gt_i32_e64 s[2:3], s9, v0
	s_and_b64 s[22:23], vcc, s[2:3]
	v_mov_b32_e32 v0, 0
	v_mov_b32_e32 v1, 0
	s_and_saveexec_b64 s[2:3], s[22:23]
	s_cbranch_execz .LBB92_10
; %bb.9:                                ;   in Loop: Header=BB92_8 Depth=1
	global_load_dwordx2 v[0:1], v[8:9], off
.LBB92_10:                              ;   in Loop: Header=BB92_8 Depth=1
	s_or_b64 exec, exec, s[2:3]
	s_waitcnt vmcnt(0)
	ds_write_b64 v21, v[0:1]
	v_add_u32_e32 v0, s5, v17
	v_cmp_le_i32_e64 s[2:3], s9, v0
	s_or_b64 s[2:3], s[2:3], s[18:19]
	s_and_saveexec_b64 s[22:23], s[2:3]
	s_xor_b64 s[2:3], exec, s[22:23]
; %bb.11:                               ;   in Loop: Header=BB92_8 Depth=1
	ds_write_b32 v23, v28
; %bb.12:                               ;   in Loop: Header=BB92_8 Depth=1
	s_or_saveexec_b64 s[2:3], s[2:3]
	v_mov_b32_e32 v0, 0
	s_xor_b64 exec, exec, s[2:3]
	s_cbranch_execz .LBB92_7
; %bb.13:                               ;   in Loop: Header=BB92_8 Depth=1
	global_load_dwordx2 v[2:3], v[10:11], off offset:-4
	s_waitcnt vmcnt(0)
	v_xor_b32_e32 v0, 0x80000000, v3
	ds_write_b32 v23, v2
	s_branch .LBB92_7
.LBB92_14:
	s_load_dwordx2 s[2:3], s[0:1], 0x58
	s_load_dwordx2 s[12:13], s[0:1], 0x48
	s_load_dword s9, s[0:1], 0x50
	v_add_u32_e32 v10, s21, v15
	v_add_u32_e32 v0, s20, v13
	s_waitcnt lgkmcnt(0)
	s_mul_i32 s1, s3, s4
	s_mul_hi_u32 s3, s2, s4
	s_mul_i32 s0, s2, s4
	s_add_i32 s1, s3, s1
	s_lshl_b64 s[0:1], s[0:1], 3
	s_add_u32 s4, s12, s0
	s_addc_u32 s5, s13, s1
	v_cmp_neq_f32_e64 s[0:1], s6, 0
	s_xor_b64 s[12:13], s[16:17], -1
	v_mad_i64_i32 v[2:3], s[14:15], v10, s9, 0
	s_or_b64 s[0:1], s[0:1], s[12:13]
	v_cmp_gt_i32_e64 s[2:3], s8, v10
	v_lshl_add_u64 v[4:5], v[2:3], 3, s[4:5]
	v_cmp_le_i32_e32 vcc, v0, v10
	v_cndmask_b32_e64 v2, 0, 1, s[0:1]
	s_and_b64 s[14:15], s[2:3], vcc
	v_ashrrev_i32_e32 v1, 31, v0
	v_cmp_ne_u32_e64 s[0:1], 1, v2
	s_and_saveexec_b64 s[12:13], s[14:15]
	s_cbranch_execz .LBB92_18
; %bb.15:
	v_pk_mul_f32 v[6:7], v[26:27], s[10:11] op_sel:[0,1] op_sel_hi:[0,0]
	v_pk_fma_f32 v[2:3], v[24:25], s[10:11], v[6:7] op_sel_hi:[0,1,1] neg_lo:[0,0,1] neg_hi:[0,0,1]
	v_pk_fma_f32 v[8:9], v[24:25], s[10:11], v[6:7] op_sel_hi:[0,1,1]
	s_and_b64 vcc, exec, s[0:1]
	v_lshl_add_u64 v[6:7], v[0:1], 3, v[4:5]
	s_cbranch_vccnz .LBB92_17
; %bb.16:
	global_load_dwordx2 v[24:25], v[6:7], off
	s_mov_b32 s14, s7
	v_mov_b32_e32 v3, v9
	s_waitcnt vmcnt(0)
	v_pk_mul_f32 v[8:9], v[24:25], s[14:15] op_sel:[1,0] op_sel_hi:[0,0]
	v_pk_fma_f32 v[26:27], v[24:25], s[6:7], v[8:9] neg_lo:[0,0,1] neg_hi:[0,0,1]
	v_pk_fma_f32 v[8:9], v[24:25], s[6:7], v[8:9] op_sel_hi:[1,0,1]
	s_nop 0
	v_mov_b32_e32 v27, v9
	v_pk_add_f32 v[2:3], v[2:3], v[26:27]
	s_nop 0
	v_mov_b32_e32 v9, v3
.LBB92_17:
	v_mov_b32_e32 v3, v9
	global_store_dwordx2 v[6:7], v[2:3], off
.LBB92_18:
	s_or_b64 exec, exec, s[12:13]
	v_add_u32_e32 v2, 16, v0
	v_cmp_le_i32_e32 vcc, v2, v10
	s_and_b64 s[12:13], s[2:3], vcc
	v_ashrrev_i32_e32 v3, 31, v2
	s_and_saveexec_b64 s[2:3], s[12:13]
	s_cbranch_execz .LBB92_22
; %bb.19:
	v_pk_mul_f32 v[8:9], v[22:23], s[10:11] op_sel:[0,1] op_sel_hi:[0,0]
	v_pk_fma_f32 v[6:7], v[20:21], s[10:11], v[8:9] op_sel_hi:[0,1,1] neg_lo:[0,0,1] neg_hi:[0,0,1]
	v_pk_fma_f32 v[8:9], v[20:21], s[10:11], v[8:9] op_sel_hi:[0,1,1]
	s_and_b64 vcc, exec, s[0:1]
	v_lshl_add_u64 v[4:5], v[2:3], 3, v[4:5]
	s_cbranch_vccnz .LBB92_21
; %bb.20:
	global_load_dwordx2 v[20:21], v[4:5], off
	s_mov_b32 s12, s7
	v_mov_b32_e32 v7, v9
	s_waitcnt vmcnt(0)
	v_pk_mul_f32 v[8:9], v[20:21], s[12:13] op_sel:[1,0] op_sel_hi:[0,0]
	v_pk_fma_f32 v[22:23], v[20:21], s[6:7], v[8:9] neg_lo:[0,0,1] neg_hi:[0,0,1]
	v_pk_fma_f32 v[8:9], v[20:21], s[6:7], v[8:9] op_sel_hi:[1,0,1]
	s_nop 0
	v_mov_b32_e32 v23, v9
	v_pk_add_f32 v[6:7], v[6:7], v[22:23]
	s_nop 0
	v_mov_b32_e32 v9, v7
.LBB92_21:
	v_mov_b32_e32 v7, v9
	global_store_dwordx2 v[4:5], v[6:7], off
.LBB92_22:
	s_or_b64 exec, exec, s[2:3]
	v_add_u32_e32 v10, 16, v10
	v_cmp_gt_i32_e64 s[2:3], s8, v10
	v_mad_i64_i32 v[4:5], s[8:9], v10, s9, 0
	v_cmp_le_i32_e32 vcc, v0, v10
	v_lshl_add_u64 v[4:5], v[4:5], 3, s[4:5]
	s_and_b64 s[8:9], s[2:3], vcc
	s_and_saveexec_b64 s[4:5], s[8:9]
	s_cbranch_execz .LBB92_26
; %bb.23:
	v_pk_mul_f32 v[8:9], v[18:19], s[10:11] op_sel:[0,1] op_sel_hi:[0,0]
	v_pk_fma_f32 v[6:7], v[16:17], s[10:11], v[8:9] op_sel_hi:[0,1,1] neg_lo:[0,0,1] neg_hi:[0,0,1]
	v_pk_fma_f32 v[8:9], v[16:17], s[10:11], v[8:9] op_sel_hi:[0,1,1]
	s_and_b64 vcc, exec, s[0:1]
	v_lshl_add_u64 v[0:1], v[0:1], 3, v[4:5]
	s_cbranch_vccnz .LBB92_25
; %bb.24:
	global_load_dwordx2 v[16:17], v[0:1], off
	s_mov_b32 s8, s7
	v_mov_b32_e32 v7, v9
	s_waitcnt vmcnt(0)
	v_pk_mul_f32 v[8:9], v[16:17], s[8:9] op_sel:[1,0] op_sel_hi:[0,0]
	v_pk_fma_f32 v[18:19], v[16:17], s[6:7], v[8:9] neg_lo:[0,0,1] neg_hi:[0,0,1]
	v_pk_fma_f32 v[8:9], v[16:17], s[6:7], v[8:9] op_sel_hi:[1,0,1]
	s_nop 0
	v_mov_b32_e32 v19, v9
	v_pk_add_f32 v[6:7], v[6:7], v[18:19]
	s_nop 0
	v_mov_b32_e32 v9, v7
.LBB92_25:
	v_mov_b32_e32 v7, v9
	global_store_dwordx2 v[0:1], v[6:7], off
.LBB92_26:
	s_or_b64 exec, exec, s[4:5]
	v_cmp_le_i32_e32 vcc, v2, v10
	s_and_b64 s[2:3], s[2:3], vcc
	s_and_saveexec_b64 s[4:5], s[2:3]
	s_cbranch_execz .LBB92_30
; %bb.27:
	v_pk_mul_f32 v[6:7], v[14:15], s[10:11] op_sel:[0,1] op_sel_hi:[0,0]
	v_pk_fma_f32 v[0:1], v[12:13], s[10:11], v[6:7] op_sel_hi:[0,1,1] neg_lo:[0,0,1] neg_hi:[0,0,1]
	v_pk_fma_f32 v[6:7], v[12:13], s[10:11], v[6:7] op_sel_hi:[0,1,1]
	s_and_b64 vcc, exec, s[0:1]
	v_lshl_add_u64 v[2:3], v[2:3], 3, v[4:5]
	s_cbranch_vccnz .LBB92_29
; %bb.28:
	global_load_dwordx2 v[4:5], v[2:3], off
	s_mov_b32 s0, s7
	v_mov_b32_e32 v1, v7
	s_waitcnt vmcnt(0)
	v_pk_mul_f32 v[6:7], v[4:5], s[0:1] op_sel:[1,0] op_sel_hi:[0,0]
	v_pk_fma_f32 v[8:9], v[4:5], s[6:7], v[6:7] neg_lo:[0,0,1] neg_hi:[0,0,1]
	v_pk_fma_f32 v[4:5], v[4:5], s[6:7], v[6:7] op_sel_hi:[1,0,1]
	s_nop 0
	v_mov_b32_e32 v9, v5
	v_pk_add_f32 v[0:1], v[0:1], v[8:9]
	s_nop 0
	v_mov_b32_e32 v7, v1
.LBB92_29:
	v_mov_b32_e32 v1, v7
	global_store_dwordx2 v[2:3], v[0:1], off
.LBB92_30:
	s_endpgm
	.section	.rodata,"a",@progbits
	.p2align	6, 0x0
	.amdhsa_kernel _ZL29rocblas_internal_gemmt_kernelIiLi16ELi32ELi8ELc78ELc67ELc85ELb0ELb1E19rocblas_complex_numIfES1_PKS1_PS1_EviT_T9_T10_S5_lS7_S5_lS6_T11_S5_li
		.amdhsa_group_segment_fixed_size 4096
		.amdhsa_private_segment_fixed_size 0
		.amdhsa_kernarg_size 100
		.amdhsa_user_sgpr_count 2
		.amdhsa_user_sgpr_dispatch_ptr 0
		.amdhsa_user_sgpr_queue_ptr 0
		.amdhsa_user_sgpr_kernarg_segment_ptr 1
		.amdhsa_user_sgpr_dispatch_id 0
		.amdhsa_user_sgpr_kernarg_preload_length 0
		.amdhsa_user_sgpr_kernarg_preload_offset 0
		.amdhsa_user_sgpr_private_segment_size 0
		.amdhsa_uses_dynamic_stack 0
		.amdhsa_enable_private_segment 0
		.amdhsa_system_sgpr_workgroup_id_x 1
		.amdhsa_system_sgpr_workgroup_id_y 1
		.amdhsa_system_sgpr_workgroup_id_z 1
		.amdhsa_system_sgpr_workgroup_info 0
		.amdhsa_system_vgpr_workitem_id 1
		.amdhsa_next_free_vgpr 54
		.amdhsa_next_free_sgpr 30
		.amdhsa_accum_offset 56
		.amdhsa_reserve_vcc 1
		.amdhsa_float_round_mode_32 0
		.amdhsa_float_round_mode_16_64 0
		.amdhsa_float_denorm_mode_32 3
		.amdhsa_float_denorm_mode_16_64 3
		.amdhsa_dx10_clamp 1
		.amdhsa_ieee_mode 1
		.amdhsa_fp16_overflow 0
		.amdhsa_tg_split 0
		.amdhsa_exception_fp_ieee_invalid_op 0
		.amdhsa_exception_fp_denorm_src 0
		.amdhsa_exception_fp_ieee_div_zero 0
		.amdhsa_exception_fp_ieee_overflow 0
		.amdhsa_exception_fp_ieee_underflow 0
		.amdhsa_exception_fp_ieee_inexact 0
		.amdhsa_exception_int_div_zero 0
	.end_amdhsa_kernel
	.section	.text._ZL29rocblas_internal_gemmt_kernelIiLi16ELi32ELi8ELc78ELc67ELc85ELb0ELb1E19rocblas_complex_numIfES1_PKS1_PS1_EviT_T9_T10_S5_lS7_S5_lS6_T11_S5_li,"axG",@progbits,_ZL29rocblas_internal_gemmt_kernelIiLi16ELi32ELi8ELc78ELc67ELc85ELb0ELb1E19rocblas_complex_numIfES1_PKS1_PS1_EviT_T9_T10_S5_lS7_S5_lS6_T11_S5_li,comdat
.Lfunc_end92:
	.size	_ZL29rocblas_internal_gemmt_kernelIiLi16ELi32ELi8ELc78ELc67ELc85ELb0ELb1E19rocblas_complex_numIfES1_PKS1_PS1_EviT_T9_T10_S5_lS7_S5_lS6_T11_S5_li, .Lfunc_end92-_ZL29rocblas_internal_gemmt_kernelIiLi16ELi32ELi8ELc78ELc67ELc85ELb0ELb1E19rocblas_complex_numIfES1_PKS1_PS1_EviT_T9_T10_S5_lS7_S5_lS6_T11_S5_li
                                        ; -- End function
	.set _ZL29rocblas_internal_gemmt_kernelIiLi16ELi32ELi8ELc78ELc67ELc85ELb0ELb1E19rocblas_complex_numIfES1_PKS1_PS1_EviT_T9_T10_S5_lS7_S5_lS6_T11_S5_li.num_vgpr, 54
	.set _ZL29rocblas_internal_gemmt_kernelIiLi16ELi32ELi8ELc78ELc67ELc85ELb0ELb1E19rocblas_complex_numIfES1_PKS1_PS1_EviT_T9_T10_S5_lS7_S5_lS6_T11_S5_li.num_agpr, 0
	.set _ZL29rocblas_internal_gemmt_kernelIiLi16ELi32ELi8ELc78ELc67ELc85ELb0ELb1E19rocblas_complex_numIfES1_PKS1_PS1_EviT_T9_T10_S5_lS7_S5_lS6_T11_S5_li.numbered_sgpr, 30
	.set _ZL29rocblas_internal_gemmt_kernelIiLi16ELi32ELi8ELc78ELc67ELc85ELb0ELb1E19rocblas_complex_numIfES1_PKS1_PS1_EviT_T9_T10_S5_lS7_S5_lS6_T11_S5_li.num_named_barrier, 0
	.set _ZL29rocblas_internal_gemmt_kernelIiLi16ELi32ELi8ELc78ELc67ELc85ELb0ELb1E19rocblas_complex_numIfES1_PKS1_PS1_EviT_T9_T10_S5_lS7_S5_lS6_T11_S5_li.private_seg_size, 0
	.set _ZL29rocblas_internal_gemmt_kernelIiLi16ELi32ELi8ELc78ELc67ELc85ELb0ELb1E19rocblas_complex_numIfES1_PKS1_PS1_EviT_T9_T10_S5_lS7_S5_lS6_T11_S5_li.uses_vcc, 1
	.set _ZL29rocblas_internal_gemmt_kernelIiLi16ELi32ELi8ELc78ELc67ELc85ELb0ELb1E19rocblas_complex_numIfES1_PKS1_PS1_EviT_T9_T10_S5_lS7_S5_lS6_T11_S5_li.uses_flat_scratch, 0
	.set _ZL29rocblas_internal_gemmt_kernelIiLi16ELi32ELi8ELc78ELc67ELc85ELb0ELb1E19rocblas_complex_numIfES1_PKS1_PS1_EviT_T9_T10_S5_lS7_S5_lS6_T11_S5_li.has_dyn_sized_stack, 0
	.set _ZL29rocblas_internal_gemmt_kernelIiLi16ELi32ELi8ELc78ELc67ELc85ELb0ELb1E19rocblas_complex_numIfES1_PKS1_PS1_EviT_T9_T10_S5_lS7_S5_lS6_T11_S5_li.has_recursion, 0
	.set _ZL29rocblas_internal_gemmt_kernelIiLi16ELi32ELi8ELc78ELc67ELc85ELb0ELb1E19rocblas_complex_numIfES1_PKS1_PS1_EviT_T9_T10_S5_lS7_S5_lS6_T11_S5_li.has_indirect_call, 0
	.section	.AMDGPU.csdata,"",@progbits
; Kernel info:
; codeLenInByte = 2512
; TotalNumSgprs: 36
; NumVgprs: 54
; NumAgprs: 0
; TotalNumVgprs: 54
; ScratchSize: 0
; MemoryBound: 0
; FloatMode: 240
; IeeeMode: 1
; LDSByteSize: 4096 bytes/workgroup (compile time only)
; SGPRBlocks: 4
; VGPRBlocks: 6
; NumSGPRsForWavesPerEU: 36
; NumVGPRsForWavesPerEU: 54
; AccumOffset: 56
; Occupancy: 8
; WaveLimiterHint : 0
; COMPUTE_PGM_RSRC2:SCRATCH_EN: 0
; COMPUTE_PGM_RSRC2:USER_SGPR: 2
; COMPUTE_PGM_RSRC2:TRAP_HANDLER: 0
; COMPUTE_PGM_RSRC2:TGID_X_EN: 1
; COMPUTE_PGM_RSRC2:TGID_Y_EN: 1
; COMPUTE_PGM_RSRC2:TGID_Z_EN: 1
; COMPUTE_PGM_RSRC2:TIDIG_COMP_CNT: 1
; COMPUTE_PGM_RSRC3_GFX90A:ACCUM_OFFSET: 13
; COMPUTE_PGM_RSRC3_GFX90A:TG_SPLIT: 0
	.section	.text._ZL29rocblas_internal_gemmt_kernelIiLi16ELi32ELi8ELc84ELc78ELc85ELb0ELb0E19rocblas_complex_numIfES1_PKS1_PS1_EviT_T9_T10_S5_lS7_S5_lS6_T11_S5_li,"axG",@progbits,_ZL29rocblas_internal_gemmt_kernelIiLi16ELi32ELi8ELc84ELc78ELc85ELb0ELb0E19rocblas_complex_numIfES1_PKS1_PS1_EviT_T9_T10_S5_lS7_S5_lS6_T11_S5_li,comdat
	.globl	_ZL29rocblas_internal_gemmt_kernelIiLi16ELi32ELi8ELc84ELc78ELc85ELb0ELb0E19rocblas_complex_numIfES1_PKS1_PS1_EviT_T9_T10_S5_lS7_S5_lS6_T11_S5_li ; -- Begin function _ZL29rocblas_internal_gemmt_kernelIiLi16ELi32ELi8ELc84ELc78ELc85ELb0ELb0E19rocblas_complex_numIfES1_PKS1_PS1_EviT_T9_T10_S5_lS7_S5_lS6_T11_S5_li
	.p2align	8
	.type	_ZL29rocblas_internal_gemmt_kernelIiLi16ELi32ELi8ELc84ELc78ELc85ELb0ELb0E19rocblas_complex_numIfES1_PKS1_PS1_EviT_T9_T10_S5_lS7_S5_lS6_T11_S5_li,@function
_ZL29rocblas_internal_gemmt_kernelIiLi16ELi32ELi8ELc84ELc78ELc85ELb0ELb0E19rocblas_complex_numIfES1_PKS1_PS1_EviT_T9_T10_S5_lS7_S5_lS6_T11_S5_li: ; @_ZL29rocblas_internal_gemmt_kernelIiLi16ELi32ELi8ELc84ELc78ELc85ELb0ELb0E19rocblas_complex_numIfES1_PKS1_PS1_EviT_T9_T10_S5_lS7_S5_lS6_T11_S5_li
; %bb.0:
	s_load_dwordx2 s[16:17], s[0:1], 0x40
	s_load_dwordx4 s[8:11], s[0:1], 0x0
	s_waitcnt lgkmcnt(0)
	s_and_b32 s5, s17, 0x7fffffff
	s_cmp_eq_u32 s5, 0
	v_cmp_eq_f32_e64 s[6:7], s16, 1.0
	s_cselect_b64 s[18:19], -1, 0
	s_and_b64 s[6:7], s[6:7], s[18:19]
	s_and_b64 vcc, exec, s[6:7]
	s_cbranch_vccnz .LBB93_2
; %bb.1:
	s_mov_b64 s[6:7], -1
	s_cbranch_execz .LBB93_3
	s_branch .LBB93_4
.LBB93_2:
	s_mov_b64 s[6:7], 0
.LBB93_3:
	s_cmp_lg_u32 s9, 0
	v_cmp_neq_f32_e64 s[12:13], s10, 0
	v_cmp_neq_f32_e64 s[14:15], s11, 0
	s_cselect_b64 s[6:7], -1, 0
	s_or_b64 s[12:13], s[12:13], s[14:15]
	s_and_b64 s[6:7], s[6:7], s[12:13]
.LBB93_4:
	s_andn2_b64 vcc, exec, s[6:7]
	s_cbranch_vccnz .LBB93_28
; %bb.5:
	s_lshl_b32 s20, s2, 5
	s_lshl_b32 s21, s3, 5
	v_cmp_eq_f32_e64 s[2:3], s10, 0
	v_cmp_eq_f32_e64 s[6:7], s11, 0
	s_and_b64 s[2:3], s[2:3], s[6:7]
	s_cmp_lt_i32 s9, 1
	s_cselect_b64 s[6:7], -1, 0
	s_or_b64 s[2:3], s[2:3], s[6:7]
	v_and_b32_e32 v13, 0x3ff, v0
	v_bfe_u32 v15, v0, 10, 10
	s_mov_b32 s5, 0
	v_mov_b32_e32 v24, 0
	s_and_b64 vcc, exec, s[2:3]
	v_mov_b32_e32 v26, 0
	v_mov_b32_e32 v20, 0
	;; [unrolled: 1-line block ×7, first 2 shown]
	s_cbranch_vccnz .LBB93_12
; %bb.6:
	v_lshl_add_u32 v0, v15, 4, v13
	v_and_b32_e32 v2, 31, v0
	v_lshrrev_b32_e32 v19, 5, v0
	v_lshrrev_b32_e32 v1, 3, v0
	v_or_b32_e32 v0, s20, v2
	v_and_b32_e32 v17, 7, v13
	v_cmp_gt_i32_e32 vcc, s8, v0
	v_lshlrev_b32_e32 v0, 3, v2
	v_lshl_or_b32 v21, v19, 8, v0
	v_lshlrev_b32_e32 v0, 3, v17
	v_add_u32_e32 v6, s21, v1
	v_lshl_or_b32 v1, v1, 6, v0
	s_load_dwordx2 s[6:7], s[0:1], 0x10
	s_load_dword s24, s[0:1], 0x18
	s_load_dwordx4 s[12:15], s[0:1], 0x20
	s_load_dword s26, s[0:1], 0x30
	s_load_dwordx2 s[22:23], s[0:1], 0x38
	v_add_u32_e32 v23, 0x800, v1
	v_mov_b32_e32 v1, 0x800
	v_lshl_add_u32 v27, v15, 6, v1
	v_add_u32_e32 v1, s20, v2
	s_waitcnt lgkmcnt(0)
	v_mad_i64_i32 v[2:3], s[24:25], s24, v1, 0
	s_mul_i32 s13, s13, s4
	s_mul_hi_u32 s24, s12, s4
	s_add_i32 s13, s24, s13
	s_mul_i32 s12, s12, s4
	s_lshl_b64 s[12:13], s[12:13], 3
	v_lshl_add_u64 v[2:3], v[2:3], 3, s[12:13]
	v_lshlrev_b32_e32 v4, 3, v19
	v_mov_b32_e32 v5, 0
	v_lshl_add_u64 v[2:3], v[2:3], 0, v[4:5]
	v_lshl_add_u64 v[8:9], s[6:7], 0, v[2:3]
	v_mad_i64_i32 v[2:3], s[6:7], s26, v6, 0
	s_mul_i32 s6, s23, s4
	s_mul_hi_u32 s7, s22, s4
	s_add_i32 s7, s7, s6
	s_mul_i32 s6, s22, s4
	s_lshl_b64 s[6:7], s[6:7], 3
	v_lshl_add_u64 v[2:3], v[2:3], 3, s[6:7]
	v_mov_b32_e32 v1, v5
	v_lshl_add_u64 v[0:1], v[2:3], 0, v[0:1]
	v_cmp_gt_i32_e64 s[2:3], s8, v6
	v_lshlrev_b32_e32 v25, 3, v13
	v_lshl_add_u64 v[10:11], s[14:15], 0, v[0:1]
	v_mov_b32_e32 v14, v5
	v_mov_b32_e32 v12, v5
	;; [unrolled: 1-line block ×8, first 2 shown]
	s_branch .LBB93_8
.LBB93_7:                               ;   in Loop: Header=BB93_8 Depth=1
	s_or_b64 exec, exec, s[6:7]
	s_waitcnt vmcnt(0)
	ds_write_b64 v23, v[0:1]
	s_waitcnt lgkmcnt(0)
	s_barrier
	ds_read2_b64 v[28:31], v25 offset1:16
	ds_read_b128 v[32:35], v27
	ds_read_b128 v[36:39], v27 offset:16
	ds_read_b128 v[4:7], v27 offset:32
	;; [unrolled: 1-line block ×3, first 2 shown]
	ds_read2_b64 v[48:51], v25 offset0:32 offset1:48
	s_waitcnt lgkmcnt(4)
	v_mul_f32_e32 v40, v33, v29
	v_fma_f32 v40, v32, v28, -v40
	v_mul_f32_e32 v41, v32, v29
	v_fmac_f32_e32 v41, v33, v28
	v_add_f32_e32 v24, v24, v40
	v_mul_f32_e32 v40, v33, v31
	v_add_f32_e32 v26, v26, v41
	v_fma_f32 v44, v32, v30, -v40
	ds_read_b128 v[40:43], v27 offset:1024
	v_mul_f32_e32 v32, v32, v31
	v_fmac_f32_e32 v32, v33, v30
	v_add_f32_e32 v20, v20, v44
	v_add_f32_e32 v22, v22, v32
	ds_read_b128 v[44:47], v27 offset:1040
	s_waitcnt lgkmcnt(1)
	v_mul_f32_e32 v32, v41, v29
	v_mul_f32_e32 v29, v40, v29
	v_fma_f32 v32, v40, v28, -v32
	v_fmac_f32_e32 v29, v41, v28
	v_mul_f32_e32 v28, v41, v31
	v_add_f32_e32 v18, v18, v29
	v_fma_f32 v28, v40, v30, -v28
	v_mul_f32_e32 v29, v40, v31
	v_fmac_f32_e32 v29, v41, v30
	v_add_f32_e32 v12, v12, v28
	v_mul_f32_e32 v28, v35, v49
	v_add_f32_e32 v14, v14, v29
	v_fma_f32 v28, v34, v48, -v28
	v_mul_f32_e32 v29, v34, v49
	v_fmac_f32_e32 v29, v35, v48
	v_add_f32_e32 v24, v24, v28
	;; [unrolled: 6-line block ×3, first 2 shown]
	v_mul_f32_e32 v28, v43, v49
	v_add_f32_e32 v16, v16, v32
	v_add_f32_e32 v22, v22, v29
	v_fma_f32 v28, v42, v48, -v28
	v_mul_f32_e32 v29, v42, v49
	v_fmac_f32_e32 v29, v43, v48
	v_add_f32_e32 v16, v16, v28
	v_mul_f32_e32 v28, v43, v51
	v_add_f32_e32 v18, v18, v29
	v_fma_f32 v32, v42, v50, -v28
	ds_read2_b64 v[28:31], v25 offset0:64 offset1:80
	v_mul_f32_e32 v33, v42, v51
	v_add_f32_e32 v12, v12, v32
	v_fmac_f32_e32 v33, v43, v50
	v_add_f32_e32 v14, v14, v33
	s_waitcnt lgkmcnt(0)
	v_mul_f32_e32 v32, v37, v29
	v_fma_f32 v32, v36, v28, -v32
	v_mul_f32_e32 v33, v36, v29
	v_add_f32_e32 v24, v24, v32
	v_mul_f32_e32 v32, v37, v31
	v_fmac_f32_e32 v33, v37, v28
	v_fma_f32 v32, v36, v30, -v32
	v_add_f32_e32 v26, v26, v33
	v_mul_f32_e32 v33, v36, v31
	v_add_f32_e32 v20, v20, v32
	v_mul_f32_e32 v32, v45, v29
	v_fmac_f32_e32 v33, v37, v30
	v_fma_f32 v32, v44, v28, -v32
	v_add_f32_e32 v22, v22, v33
	v_add_f32_e32 v16, v16, v32
	ds_read2_b64 v[32:35], v25 offset0:96 offset1:112
	v_mul_f32_e32 v29, v44, v29
	v_fmac_f32_e32 v29, v45, v28
	v_mul_f32_e32 v28, v45, v31
	v_add_f32_e32 v18, v18, v29
	v_fma_f32 v28, v44, v30, -v28
	v_mul_f32_e32 v29, v44, v31
	v_fmac_f32_e32 v29, v45, v30
	v_add_f32_e32 v12, v12, v28
	s_waitcnt lgkmcnt(0)
	v_mul_f32_e32 v28, v39, v33
	v_add_f32_e32 v14, v14, v29
	v_fma_f32 v28, v38, v32, -v28
	v_mul_f32_e32 v29, v38, v33
	v_fmac_f32_e32 v29, v39, v32
	v_add_f32_e32 v24, v24, v28
	v_mul_f32_e32 v28, v39, v35
	v_add_f32_e32 v26, v26, v29
	v_fma_f32 v28, v38, v34, -v28
	v_mul_f32_e32 v29, v38, v35
	v_fmac_f32_e32 v29, v39, v34
	v_add_f32_e32 v20, v20, v28
	v_mul_f32_e32 v28, v47, v33
	v_add_f32_e32 v22, v22, v29
	v_fma_f32 v28, v46, v32, -v28
	v_mul_f32_e32 v29, v46, v33
	v_fmac_f32_e32 v29, v47, v32
	v_add_f32_e32 v16, v16, v28
	v_mul_f32_e32 v28, v47, v35
	v_add_f32_e32 v18, v18, v29
	v_fma_f32 v32, v46, v34, -v28
	ds_read2_b64 v[28:31], v25 offset0:128 offset1:144
	v_mul_f32_e32 v33, v46, v35
	v_fmac_f32_e32 v33, v47, v34
	v_add_f32_e32 v12, v12, v32
	v_add_f32_e32 v14, v14, v33
	s_waitcnt lgkmcnt(0)
	v_mul_f32_e32 v32, v5, v29
	v_fma_f32 v32, v4, v28, -v32
	v_mul_f32_e32 v33, v4, v29
	v_fmac_f32_e32 v33, v5, v28
	v_add_f32_e32 v24, v24, v32
	v_mul_f32_e32 v32, v5, v31
	v_add_f32_e32 v26, v26, v33
	v_fma_f32 v36, v4, v30, -v32
	ds_read_b128 v[32:35], v27 offset:1056
	v_mul_f32_e32 v4, v4, v31
	ds_read2_b64 v[40:43], v25 offset0:160 offset1:176
	v_fmac_f32_e32 v4, v5, v30
	v_add_f32_e32 v5, v20, v36
	ds_read_b128 v[36:39], v27 offset:1072
	s_waitcnt lgkmcnt(2)
	v_mul_f32_e32 v20, v33, v29
	v_fma_f32 v20, v32, v28, -v20
	v_add_f32_e32 v16, v16, v20
	v_mul_f32_e32 v20, v33, v31
	v_add_f32_e32 v4, v22, v4
	v_mul_f32_e32 v22, v32, v29
	v_fma_f32 v20, v32, v30, -v20
	v_fmac_f32_e32 v22, v33, v28
	v_add_f32_e32 v12, v12, v20
	s_waitcnt lgkmcnt(1)
	v_mul_f32_e32 v20, v7, v41
	v_add_f32_e32 v18, v18, v22
	v_mul_f32_e32 v22, v32, v31
	v_fma_f32 v20, v6, v40, -v20
	v_fmac_f32_e32 v22, v33, v30
	v_add_f32_e32 v20, v24, v20
	v_mul_f32_e32 v24, v7, v43
	v_add_f32_e32 v14, v14, v22
	v_mul_f32_e32 v22, v6, v41
	v_fma_f32 v24, v6, v42, -v24
	v_mul_f32_e32 v6, v6, v43
	v_fmac_f32_e32 v22, v7, v40
	v_fmac_f32_e32 v6, v7, v42
	v_add_f32_e32 v22, v26, v22
	v_add_f32_e32 v26, v4, v6
	v_mul_f32_e32 v4, v35, v41
	v_add_f32_e32 v24, v5, v24
	v_fma_f32 v4, v34, v40, -v4
	v_mul_f32_e32 v5, v34, v41
	v_fmac_f32_e32 v5, v35, v40
	v_add_f32_e32 v16, v16, v4
	v_mul_f32_e32 v4, v35, v43
	v_add_f32_e32 v18, v18, v5
	v_fma_f32 v28, v34, v42, -v4
	ds_read2_b64 v[4:7], v25 offset0:192 offset1:208
	v_mul_f32_e32 v29, v34, v43
	v_add_f32_e32 v12, v12, v28
	v_fmac_f32_e32 v29, v35, v42
	v_add_f32_e32 v14, v14, v29
	s_waitcnt lgkmcnt(0)
	v_mul_f32_e32 v28, v1, v5
	v_fma_f32 v28, v0, v4, -v28
	v_mul_f32_e32 v29, v0, v5
	v_add_f32_e32 v20, v20, v28
	v_mul_f32_e32 v28, v1, v7
	v_fmac_f32_e32 v29, v1, v4
	v_fma_f32 v28, v0, v6, -v28
	v_mul_f32_e32 v0, v0, v7
	v_add_f32_e32 v22, v22, v29
	v_fmac_f32_e32 v0, v1, v6
	v_add_f32_e32 v1, v24, v28
	ds_read2_b64 v[28:31], v25 offset0:224 offset1:240
	v_mul_f32_e32 v24, v37, v5
	v_fma_f32 v24, v36, v4, -v24
	v_mul_f32_e32 v5, v36, v5
	v_fmac_f32_e32 v5, v37, v4
	v_add_f32_e32 v4, v16, v24
	v_mul_f32_e32 v16, v37, v7
	v_fma_f32 v16, v36, v6, -v16
	v_mul_f32_e32 v7, v36, v7
	v_fmac_f32_e32 v7, v37, v6
	v_add_f32_e32 v6, v12, v16
	s_waitcnt lgkmcnt(0)
	v_mul_f32_e32 v12, v3, v29
	v_fma_f32 v12, v2, v28, -v12
	v_add_f32_e32 v24, v20, v12
	v_mul_f32_e32 v12, v3, v31
	v_add_f32_e32 v7, v14, v7
	v_mul_f32_e32 v14, v2, v29
	v_fma_f32 v12, v2, v30, -v12
	v_mul_f32_e32 v2, v2, v31
	v_add_f32_e32 v0, v26, v0
	v_fmac_f32_e32 v14, v3, v28
	v_fmac_f32_e32 v2, v3, v30
	v_add_f32_e32 v26, v22, v14
	v_add_f32_e32 v20, v1, v12
	;; [unrolled: 1-line block ×3, first 2 shown]
	v_mul_f32_e32 v0, v39, v29
	v_mul_f32_e32 v1, v38, v29
	v_add_f32_e32 v5, v18, v5
	v_fma_f32 v0, v38, v28, -v0
	v_fmac_f32_e32 v1, v39, v28
	v_add_f32_e32 v16, v4, v0
	v_add_f32_e32 v18, v5, v1
	v_mul_f32_e32 v0, v39, v31
	v_mul_f32_e32 v1, v38, v31
	v_fma_f32 v0, v38, v30, -v0
	v_fmac_f32_e32 v1, v39, v30
	s_add_i32 s5, s5, 8
	v_add_f32_e32 v12, v6, v0
	v_add_f32_e32 v14, v7, v1
	v_lshl_add_u64 v[8:9], v[8:9], 0, 64
	s_cmp_lt_i32 s5, s9
	v_lshl_add_u64 v[10:11], v[10:11], 0, 64
	s_barrier
	s_cbranch_scc0 .LBB93_12
.LBB93_8:                               ; =>This Inner Loop Header: Depth=1
	v_add_u32_e32 v0, s5, v19
	v_cmp_gt_i32_e64 s[6:7], s9, v0
	s_and_b64 s[12:13], vcc, s[6:7]
	v_mov_b32_e32 v0, 0
	v_mov_b32_e32 v1, 0
	s_and_saveexec_b64 s[6:7], s[12:13]
	s_cbranch_execz .LBB93_10
; %bb.9:                                ;   in Loop: Header=BB93_8 Depth=1
	global_load_dwordx2 v[0:1], v[8:9], off
.LBB93_10:                              ;   in Loop: Header=BB93_8 Depth=1
	s_or_b64 exec, exec, s[6:7]
	s_waitcnt vmcnt(0)
	ds_write_b64 v21, v[0:1]
	v_add_u32_e32 v0, s5, v17
	v_cmp_gt_i32_e64 s[6:7], s9, v0
	s_and_b64 s[12:13], s[6:7], s[2:3]
	v_mov_b32_e32 v0, 0
	v_mov_b32_e32 v1, 0
	s_and_saveexec_b64 s[6:7], s[12:13]
	s_cbranch_execz .LBB93_7
; %bb.11:                               ;   in Loop: Header=BB93_8 Depth=1
	global_load_dwordx2 v[0:1], v[10:11], off
	s_branch .LBB93_7
.LBB93_12:
	s_load_dwordx2 s[2:3], s[0:1], 0x58
	s_load_dwordx2 s[6:7], s[0:1], 0x48
	s_load_dword s9, s[0:1], 0x50
	v_add_u32_e32 v10, s21, v15
	v_add_u32_e32 v0, s20, v13
	s_waitcnt lgkmcnt(0)
	s_mul_i32 s1, s3, s4
	s_mul_hi_u32 s3, s2, s4
	s_mul_i32 s0, s2, s4
	s_add_i32 s1, s3, s1
	s_lshl_b64 s[0:1], s[0:1], 3
	s_add_u32 s4, s6, s0
	s_addc_u32 s5, s7, s1
	v_cmp_neq_f32_e64 s[0:1], s16, 0
	s_xor_b64 s[6:7], s[18:19], -1
	v_mad_i64_i32 v[2:3], s[12:13], v10, s9, 0
	s_or_b64 s[0:1], s[0:1], s[6:7]
	v_cmp_gt_i32_e64 s[2:3], s8, v10
	v_lshl_add_u64 v[4:5], v[2:3], 3, s[4:5]
	v_cmp_le_i32_e32 vcc, v0, v10
	v_cndmask_b32_e64 v2, 0, 1, s[0:1]
	s_and_b64 s[12:13], s[2:3], vcc
	v_ashrrev_i32_e32 v1, 31, v0
	v_cmp_ne_u32_e64 s[0:1], 1, v2
	s_and_saveexec_b64 s[6:7], s[12:13]
	s_cbranch_execz .LBB93_16
; %bb.13:
	v_pk_mul_f32 v[6:7], v[26:27], s[10:11] op_sel:[0,1] op_sel_hi:[0,0]
	v_pk_fma_f32 v[2:3], v[24:25], s[10:11], v[6:7] op_sel_hi:[0,1,1] neg_lo:[0,0,1] neg_hi:[0,0,1]
	v_pk_fma_f32 v[8:9], v[24:25], s[10:11], v[6:7] op_sel_hi:[0,1,1]
	s_and_b64 vcc, exec, s[0:1]
	v_lshl_add_u64 v[6:7], v[0:1], 3, v[4:5]
	s_cbranch_vccnz .LBB93_15
; %bb.14:
	global_load_dwordx2 v[24:25], v[6:7], off
	s_mov_b32 s12, s17
	v_mov_b32_e32 v3, v9
	s_waitcnt vmcnt(0)
	v_pk_mul_f32 v[8:9], v[24:25], s[12:13] op_sel:[1,0] op_sel_hi:[0,0]
	v_pk_fma_f32 v[26:27], v[24:25], s[16:17], v[8:9] neg_lo:[0,0,1] neg_hi:[0,0,1]
	v_pk_fma_f32 v[8:9], v[24:25], s[16:17], v[8:9] op_sel_hi:[1,0,1]
	s_nop 0
	v_mov_b32_e32 v27, v9
	v_pk_add_f32 v[2:3], v[2:3], v[26:27]
	s_nop 0
	v_mov_b32_e32 v9, v3
.LBB93_15:
	v_mov_b32_e32 v3, v9
	global_store_dwordx2 v[6:7], v[2:3], off
.LBB93_16:
	s_or_b64 exec, exec, s[6:7]
	v_add_u32_e32 v2, 16, v0
	v_cmp_le_i32_e32 vcc, v2, v10
	s_and_b64 s[6:7], s[2:3], vcc
	v_ashrrev_i32_e32 v3, 31, v2
	s_and_saveexec_b64 s[2:3], s[6:7]
	s_cbranch_execz .LBB93_20
; %bb.17:
	v_pk_mul_f32 v[8:9], v[22:23], s[10:11] op_sel:[0,1] op_sel_hi:[0,0]
	v_pk_fma_f32 v[6:7], v[20:21], s[10:11], v[8:9] op_sel_hi:[0,1,1] neg_lo:[0,0,1] neg_hi:[0,0,1]
	v_pk_fma_f32 v[8:9], v[20:21], s[10:11], v[8:9] op_sel_hi:[0,1,1]
	s_and_b64 vcc, exec, s[0:1]
	v_lshl_add_u64 v[4:5], v[2:3], 3, v[4:5]
	s_cbranch_vccnz .LBB93_19
; %bb.18:
	global_load_dwordx2 v[20:21], v[4:5], off
	s_mov_b32 s6, s17
	v_mov_b32_e32 v7, v9
	s_waitcnt vmcnt(0)
	v_pk_mul_f32 v[8:9], v[20:21], s[6:7] op_sel:[1,0] op_sel_hi:[0,0]
	v_pk_fma_f32 v[22:23], v[20:21], s[16:17], v[8:9] neg_lo:[0,0,1] neg_hi:[0,0,1]
	v_pk_fma_f32 v[8:9], v[20:21], s[16:17], v[8:9] op_sel_hi:[1,0,1]
	s_nop 0
	v_mov_b32_e32 v23, v9
	v_pk_add_f32 v[6:7], v[6:7], v[22:23]
	s_nop 0
	v_mov_b32_e32 v9, v7
.LBB93_19:
	v_mov_b32_e32 v7, v9
	global_store_dwordx2 v[4:5], v[6:7], off
.LBB93_20:
	s_or_b64 exec, exec, s[2:3]
	v_add_u32_e32 v10, 16, v10
	v_cmp_gt_i32_e64 s[2:3], s8, v10
	v_mad_i64_i32 v[4:5], s[6:7], v10, s9, 0
	v_cmp_le_i32_e32 vcc, v0, v10
	v_lshl_add_u64 v[4:5], v[4:5], 3, s[4:5]
	s_and_b64 s[6:7], s[2:3], vcc
	s_and_saveexec_b64 s[4:5], s[6:7]
	s_cbranch_execz .LBB93_24
; %bb.21:
	v_pk_mul_f32 v[8:9], v[18:19], s[10:11] op_sel:[0,1] op_sel_hi:[0,0]
	v_pk_fma_f32 v[6:7], v[16:17], s[10:11], v[8:9] op_sel_hi:[0,1,1] neg_lo:[0,0,1] neg_hi:[0,0,1]
	v_pk_fma_f32 v[8:9], v[16:17], s[10:11], v[8:9] op_sel_hi:[0,1,1]
	s_and_b64 vcc, exec, s[0:1]
	v_lshl_add_u64 v[0:1], v[0:1], 3, v[4:5]
	s_cbranch_vccnz .LBB93_23
; %bb.22:
	global_load_dwordx2 v[16:17], v[0:1], off
	s_mov_b32 s6, s17
	v_mov_b32_e32 v7, v9
	s_waitcnt vmcnt(0)
	v_pk_mul_f32 v[8:9], v[16:17], s[6:7] op_sel:[1,0] op_sel_hi:[0,0]
	v_pk_fma_f32 v[18:19], v[16:17], s[16:17], v[8:9] neg_lo:[0,0,1] neg_hi:[0,0,1]
	v_pk_fma_f32 v[8:9], v[16:17], s[16:17], v[8:9] op_sel_hi:[1,0,1]
	s_nop 0
	v_mov_b32_e32 v19, v9
	v_pk_add_f32 v[6:7], v[6:7], v[18:19]
	s_nop 0
	v_mov_b32_e32 v9, v7
.LBB93_23:
	v_mov_b32_e32 v7, v9
	global_store_dwordx2 v[0:1], v[6:7], off
.LBB93_24:
	s_or_b64 exec, exec, s[4:5]
	v_cmp_le_i32_e32 vcc, v2, v10
	s_and_b64 s[2:3], s[2:3], vcc
	s_and_saveexec_b64 s[4:5], s[2:3]
	s_cbranch_execz .LBB93_28
; %bb.25:
	v_pk_mul_f32 v[6:7], v[14:15], s[10:11] op_sel:[0,1] op_sel_hi:[0,0]
	v_pk_fma_f32 v[0:1], v[12:13], s[10:11], v[6:7] op_sel_hi:[0,1,1] neg_lo:[0,0,1] neg_hi:[0,0,1]
	v_pk_fma_f32 v[6:7], v[12:13], s[10:11], v[6:7] op_sel_hi:[0,1,1]
	s_and_b64 vcc, exec, s[0:1]
	v_lshl_add_u64 v[2:3], v[2:3], 3, v[4:5]
	s_cbranch_vccnz .LBB93_27
; %bb.26:
	global_load_dwordx2 v[4:5], v[2:3], off
	s_mov_b32 s0, s17
	v_mov_b32_e32 v1, v7
	s_waitcnt vmcnt(0)
	v_pk_mul_f32 v[6:7], v[4:5], s[0:1] op_sel:[1,0] op_sel_hi:[0,0]
	v_pk_fma_f32 v[8:9], v[4:5], s[16:17], v[6:7] neg_lo:[0,0,1] neg_hi:[0,0,1]
	v_pk_fma_f32 v[4:5], v[4:5], s[16:17], v[6:7] op_sel_hi:[1,0,1]
	s_nop 0
	v_mov_b32_e32 v9, v5
	v_pk_add_f32 v[0:1], v[0:1], v[8:9]
	s_nop 0
	v_mov_b32_e32 v7, v1
.LBB93_27:
	v_mov_b32_e32 v1, v7
	global_store_dwordx2 v[2:3], v[0:1], off
.LBB93_28:
	s_endpgm
	.section	.rodata,"a",@progbits
	.p2align	6, 0x0
	.amdhsa_kernel _ZL29rocblas_internal_gemmt_kernelIiLi16ELi32ELi8ELc84ELc78ELc85ELb0ELb0E19rocblas_complex_numIfES1_PKS1_PS1_EviT_T9_T10_S5_lS7_S5_lS6_T11_S5_li
		.amdhsa_group_segment_fixed_size 4096
		.amdhsa_private_segment_fixed_size 0
		.amdhsa_kernarg_size 100
		.amdhsa_user_sgpr_count 2
		.amdhsa_user_sgpr_dispatch_ptr 0
		.amdhsa_user_sgpr_queue_ptr 0
		.amdhsa_user_sgpr_kernarg_segment_ptr 1
		.amdhsa_user_sgpr_dispatch_id 0
		.amdhsa_user_sgpr_kernarg_preload_length 0
		.amdhsa_user_sgpr_kernarg_preload_offset 0
		.amdhsa_user_sgpr_private_segment_size 0
		.amdhsa_uses_dynamic_stack 0
		.amdhsa_enable_private_segment 0
		.amdhsa_system_sgpr_workgroup_id_x 1
		.amdhsa_system_sgpr_workgroup_id_y 1
		.amdhsa_system_sgpr_workgroup_id_z 1
		.amdhsa_system_sgpr_workgroup_info 0
		.amdhsa_system_vgpr_workitem_id 1
		.amdhsa_next_free_vgpr 52
		.amdhsa_next_free_sgpr 27
		.amdhsa_accum_offset 52
		.amdhsa_reserve_vcc 1
		.amdhsa_float_round_mode_32 0
		.amdhsa_float_round_mode_16_64 0
		.amdhsa_float_denorm_mode_32 3
		.amdhsa_float_denorm_mode_16_64 3
		.amdhsa_dx10_clamp 1
		.amdhsa_ieee_mode 1
		.amdhsa_fp16_overflow 0
		.amdhsa_tg_split 0
		.amdhsa_exception_fp_ieee_invalid_op 0
		.amdhsa_exception_fp_denorm_src 0
		.amdhsa_exception_fp_ieee_div_zero 0
		.amdhsa_exception_fp_ieee_overflow 0
		.amdhsa_exception_fp_ieee_underflow 0
		.amdhsa_exception_fp_ieee_inexact 0
		.amdhsa_exception_int_div_zero 0
	.end_amdhsa_kernel
	.section	.text._ZL29rocblas_internal_gemmt_kernelIiLi16ELi32ELi8ELc84ELc78ELc85ELb0ELb0E19rocblas_complex_numIfES1_PKS1_PS1_EviT_T9_T10_S5_lS7_S5_lS6_T11_S5_li,"axG",@progbits,_ZL29rocblas_internal_gemmt_kernelIiLi16ELi32ELi8ELc84ELc78ELc85ELb0ELb0E19rocblas_complex_numIfES1_PKS1_PS1_EviT_T9_T10_S5_lS7_S5_lS6_T11_S5_li,comdat
.Lfunc_end93:
	.size	_ZL29rocblas_internal_gemmt_kernelIiLi16ELi32ELi8ELc84ELc78ELc85ELb0ELb0E19rocblas_complex_numIfES1_PKS1_PS1_EviT_T9_T10_S5_lS7_S5_lS6_T11_S5_li, .Lfunc_end93-_ZL29rocblas_internal_gemmt_kernelIiLi16ELi32ELi8ELc84ELc78ELc85ELb0ELb0E19rocblas_complex_numIfES1_PKS1_PS1_EviT_T9_T10_S5_lS7_S5_lS6_T11_S5_li
                                        ; -- End function
	.set _ZL29rocblas_internal_gemmt_kernelIiLi16ELi32ELi8ELc84ELc78ELc85ELb0ELb0E19rocblas_complex_numIfES1_PKS1_PS1_EviT_T9_T10_S5_lS7_S5_lS6_T11_S5_li.num_vgpr, 52
	.set _ZL29rocblas_internal_gemmt_kernelIiLi16ELi32ELi8ELc84ELc78ELc85ELb0ELb0E19rocblas_complex_numIfES1_PKS1_PS1_EviT_T9_T10_S5_lS7_S5_lS6_T11_S5_li.num_agpr, 0
	.set _ZL29rocblas_internal_gemmt_kernelIiLi16ELi32ELi8ELc84ELc78ELc85ELb0ELb0E19rocblas_complex_numIfES1_PKS1_PS1_EviT_T9_T10_S5_lS7_S5_lS6_T11_S5_li.numbered_sgpr, 27
	.set _ZL29rocblas_internal_gemmt_kernelIiLi16ELi32ELi8ELc84ELc78ELc85ELb0ELb0E19rocblas_complex_numIfES1_PKS1_PS1_EviT_T9_T10_S5_lS7_S5_lS6_T11_S5_li.num_named_barrier, 0
	.set _ZL29rocblas_internal_gemmt_kernelIiLi16ELi32ELi8ELc84ELc78ELc85ELb0ELb0E19rocblas_complex_numIfES1_PKS1_PS1_EviT_T9_T10_S5_lS7_S5_lS6_T11_S5_li.private_seg_size, 0
	.set _ZL29rocblas_internal_gemmt_kernelIiLi16ELi32ELi8ELc84ELc78ELc85ELb0ELb0E19rocblas_complex_numIfES1_PKS1_PS1_EviT_T9_T10_S5_lS7_S5_lS6_T11_S5_li.uses_vcc, 1
	.set _ZL29rocblas_internal_gemmt_kernelIiLi16ELi32ELi8ELc84ELc78ELc85ELb0ELb0E19rocblas_complex_numIfES1_PKS1_PS1_EviT_T9_T10_S5_lS7_S5_lS6_T11_S5_li.uses_flat_scratch, 0
	.set _ZL29rocblas_internal_gemmt_kernelIiLi16ELi32ELi8ELc84ELc78ELc85ELb0ELb0E19rocblas_complex_numIfES1_PKS1_PS1_EviT_T9_T10_S5_lS7_S5_lS6_T11_S5_li.has_dyn_sized_stack, 0
	.set _ZL29rocblas_internal_gemmt_kernelIiLi16ELi32ELi8ELc84ELc78ELc85ELb0ELb0E19rocblas_complex_numIfES1_PKS1_PS1_EviT_T9_T10_S5_lS7_S5_lS6_T11_S5_li.has_recursion, 0
	.set _ZL29rocblas_internal_gemmt_kernelIiLi16ELi32ELi8ELc84ELc78ELc85ELb0ELb0E19rocblas_complex_numIfES1_PKS1_PS1_EviT_T9_T10_S5_lS7_S5_lS6_T11_S5_li.has_indirect_call, 0
	.section	.AMDGPU.csdata,"",@progbits
; Kernel info:
; codeLenInByte = 2444
; TotalNumSgprs: 33
; NumVgprs: 52
; NumAgprs: 0
; TotalNumVgprs: 52
; ScratchSize: 0
; MemoryBound: 0
; FloatMode: 240
; IeeeMode: 1
; LDSByteSize: 4096 bytes/workgroup (compile time only)
; SGPRBlocks: 4
; VGPRBlocks: 6
; NumSGPRsForWavesPerEU: 33
; NumVGPRsForWavesPerEU: 52
; AccumOffset: 52
; Occupancy: 8
; WaveLimiterHint : 0
; COMPUTE_PGM_RSRC2:SCRATCH_EN: 0
; COMPUTE_PGM_RSRC2:USER_SGPR: 2
; COMPUTE_PGM_RSRC2:TRAP_HANDLER: 0
; COMPUTE_PGM_RSRC2:TGID_X_EN: 1
; COMPUTE_PGM_RSRC2:TGID_Y_EN: 1
; COMPUTE_PGM_RSRC2:TGID_Z_EN: 1
; COMPUTE_PGM_RSRC2:TIDIG_COMP_CNT: 1
; COMPUTE_PGM_RSRC3_GFX90A:ACCUM_OFFSET: 12
; COMPUTE_PGM_RSRC3_GFX90A:TG_SPLIT: 0
	.section	.text._ZL29rocblas_internal_gemmt_kernelIiLi16ELi32ELi8ELc84ELc84ELc85ELb0ELb0E19rocblas_complex_numIfES1_PKS1_PS1_EviT_T9_T10_S5_lS7_S5_lS6_T11_S5_li,"axG",@progbits,_ZL29rocblas_internal_gemmt_kernelIiLi16ELi32ELi8ELc84ELc84ELc85ELb0ELb0E19rocblas_complex_numIfES1_PKS1_PS1_EviT_T9_T10_S5_lS7_S5_lS6_T11_S5_li,comdat
	.globl	_ZL29rocblas_internal_gemmt_kernelIiLi16ELi32ELi8ELc84ELc84ELc85ELb0ELb0E19rocblas_complex_numIfES1_PKS1_PS1_EviT_T9_T10_S5_lS7_S5_lS6_T11_S5_li ; -- Begin function _ZL29rocblas_internal_gemmt_kernelIiLi16ELi32ELi8ELc84ELc84ELc85ELb0ELb0E19rocblas_complex_numIfES1_PKS1_PS1_EviT_T9_T10_S5_lS7_S5_lS6_T11_S5_li
	.p2align	8
	.type	_ZL29rocblas_internal_gemmt_kernelIiLi16ELi32ELi8ELc84ELc84ELc85ELb0ELb0E19rocblas_complex_numIfES1_PKS1_PS1_EviT_T9_T10_S5_lS7_S5_lS6_T11_S5_li,@function
_ZL29rocblas_internal_gemmt_kernelIiLi16ELi32ELi8ELc84ELc84ELc85ELb0ELb0E19rocblas_complex_numIfES1_PKS1_PS1_EviT_T9_T10_S5_lS7_S5_lS6_T11_S5_li: ; @_ZL29rocblas_internal_gemmt_kernelIiLi16ELi32ELi8ELc84ELc84ELc85ELb0ELb0E19rocblas_complex_numIfES1_PKS1_PS1_EviT_T9_T10_S5_lS7_S5_lS6_T11_S5_li
; %bb.0:
	s_load_dwordx2 s[16:17], s[0:1], 0x40
	s_load_dwordx4 s[8:11], s[0:1], 0x0
	s_waitcnt lgkmcnt(0)
	s_and_b32 s5, s17, 0x7fffffff
	s_cmp_eq_u32 s5, 0
	v_cmp_eq_f32_e64 s[6:7], s16, 1.0
	s_cselect_b64 s[18:19], -1, 0
	s_and_b64 s[6:7], s[6:7], s[18:19]
	s_and_b64 vcc, exec, s[6:7]
	s_cbranch_vccnz .LBB94_2
; %bb.1:
	s_mov_b64 s[6:7], -1
	s_cbranch_execz .LBB94_3
	s_branch .LBB94_4
.LBB94_2:
	s_mov_b64 s[6:7], 0
.LBB94_3:
	s_cmp_lg_u32 s9, 0
	v_cmp_neq_f32_e64 s[12:13], s10, 0
	v_cmp_neq_f32_e64 s[14:15], s11, 0
	s_cselect_b64 s[6:7], -1, 0
	s_or_b64 s[12:13], s[12:13], s[14:15]
	s_and_b64 s[6:7], s[6:7], s[12:13]
.LBB94_4:
	s_andn2_b64 vcc, exec, s[6:7]
	s_cbranch_vccnz .LBB94_28
; %bb.5:
	s_lshl_b32 s20, s2, 5
	s_lshl_b32 s21, s3, 5
	v_cmp_eq_f32_e64 s[2:3], s10, 0
	v_cmp_eq_f32_e64 s[6:7], s11, 0
	s_and_b64 s[2:3], s[2:3], s[6:7]
	s_cmp_lt_i32 s9, 1
	s_cselect_b64 s[6:7], -1, 0
	s_or_b64 s[2:3], s[2:3], s[6:7]
	v_and_b32_e32 v13, 0x3ff, v0
	v_bfe_u32 v15, v0, 10, 10
	s_mov_b32 s5, 0
	v_mov_b32_e32 v24, 0
	s_and_b64 vcc, exec, s[2:3]
	v_mov_b32_e32 v26, 0
	v_mov_b32_e32 v20, 0
	;; [unrolled: 1-line block ×7, first 2 shown]
	s_cbranch_vccnz .LBB94_12
; %bb.6:
	v_lshl_add_u32 v1, v15, 4, v13
	v_and_b32_e32 v3, 31, v1
	v_lshrrev_b32_e32 v19, 5, v1
	v_lshrrev_b32_e32 v2, 3, v1
	v_or_b32_e32 v1, s20, v3
	v_and_b32_e32 v17, 7, v13
	s_load_dwordx4 s[12:15], s[0:1], 0x20
	s_load_dword s6, s[0:1], 0x30
	s_load_dwordx2 s[22:23], s[0:1], 0x10
	s_load_dword s26, s[0:1], 0x18
	s_load_dwordx2 s[24:25], s[0:1], 0x38
	v_cmp_gt_i32_e32 vcc, s8, v1
	v_lshlrev_b32_e32 v1, 3, v3
	v_lshl_or_b32 v21, v19, 8, v1
	v_lshlrev_b32_e32 v1, 3, v17
	v_add_u32_e32 v0, s21, v2
	v_lshl_or_b32 v1, v2, 6, v1
	v_mov_b32_e32 v2, 0x800
	v_lshl_add_u32 v27, v15, 6, v2
	v_add_u32_e32 v2, s20, v3
	s_waitcnt lgkmcnt(0)
	v_mad_i64_i32 v[2:3], s[26:27], s26, v2, 0
	s_mul_i32 s13, s13, s4
	s_mul_hi_u32 s26, s12, s4
	s_add_i32 s13, s26, s13
	s_mul_i32 s12, s12, s4
	s_lshl_b64 s[12:13], s[12:13], 3
	v_lshl_add_u64 v[2:3], v[2:3], 3, s[12:13]
	v_lshlrev_b32_e32 v4, 3, v19
	v_mov_b32_e32 v5, 0
	v_lshl_add_u64 v[2:3], v[2:3], 0, v[4:5]
	v_lshl_add_u64 v[8:9], s[22:23], 0, v[2:3]
	s_mul_i32 s12, s25, s4
	s_mul_hi_u32 s13, s24, s4
	v_mad_i64_i32 v[2:3], s[22:23], s6, v17, 0
	s_add_i32 s13, s13, s12
	s_mul_i32 s12, s24, s4
	v_lshlrev_b64 v[2:3], 3, v[2:3]
	v_add_u32_e32 v23, 0x800, v1
	v_ashrrev_i32_e32 v1, 31, v0
	v_lshl_add_u64 v[2:3], s[12:13], 3, v[2:3]
	s_ashr_i32 s7, s6, 31
	v_cmp_gt_i32_e64 s[2:3], s8, v0
	v_lshl_add_u64 v[0:1], v[0:1], 3, v[2:3]
	v_lshlrev_b32_e32 v25, 3, v13
	v_lshl_add_u64 v[10:11], s[14:15], 0, v[0:1]
	s_lshl_b64 s[12:13], s[6:7], 6
	v_mov_b32_e32 v14, v5
	v_mov_b32_e32 v12, v5
	;; [unrolled: 1-line block ×8, first 2 shown]
	s_branch .LBB94_8
.LBB94_7:                               ;   in Loop: Header=BB94_8 Depth=1
	s_or_b64 exec, exec, s[6:7]
	s_waitcnt vmcnt(0)
	ds_write_b64 v23, v[0:1]
	s_waitcnt lgkmcnt(0)
	s_barrier
	ds_read2_b64 v[28:31], v25 offset1:16
	ds_read_b128 v[32:35], v27
	ds_read_b128 v[36:39], v27 offset:16
	ds_read_b128 v[4:7], v27 offset:32
	ds_read_b128 v[0:3], v27 offset:48
	ds_read2_b64 v[48:51], v25 offset0:32 offset1:48
	s_waitcnt lgkmcnt(4)
	v_mul_f32_e32 v40, v33, v29
	v_fma_f32 v40, v32, v28, -v40
	v_mul_f32_e32 v41, v32, v29
	v_fmac_f32_e32 v41, v33, v28
	v_add_f32_e32 v24, v24, v40
	v_mul_f32_e32 v40, v33, v31
	v_add_f32_e32 v26, v26, v41
	v_fma_f32 v44, v32, v30, -v40
	ds_read_b128 v[40:43], v27 offset:1024
	v_mul_f32_e32 v32, v32, v31
	v_fmac_f32_e32 v32, v33, v30
	v_add_f32_e32 v20, v20, v44
	v_add_f32_e32 v22, v22, v32
	ds_read_b128 v[44:47], v27 offset:1040
	s_waitcnt lgkmcnt(1)
	v_mul_f32_e32 v32, v41, v29
	v_mul_f32_e32 v29, v40, v29
	v_fma_f32 v32, v40, v28, -v32
	v_fmac_f32_e32 v29, v41, v28
	v_mul_f32_e32 v28, v41, v31
	v_add_f32_e32 v18, v18, v29
	v_fma_f32 v28, v40, v30, -v28
	v_mul_f32_e32 v29, v40, v31
	v_fmac_f32_e32 v29, v41, v30
	v_add_f32_e32 v12, v12, v28
	v_mul_f32_e32 v28, v35, v49
	v_add_f32_e32 v14, v14, v29
	v_fma_f32 v28, v34, v48, -v28
	v_mul_f32_e32 v29, v34, v49
	v_fmac_f32_e32 v29, v35, v48
	v_add_f32_e32 v24, v24, v28
	;; [unrolled: 6-line block ×3, first 2 shown]
	v_mul_f32_e32 v28, v43, v49
	v_add_f32_e32 v16, v16, v32
	v_add_f32_e32 v22, v22, v29
	v_fma_f32 v28, v42, v48, -v28
	v_mul_f32_e32 v29, v42, v49
	v_fmac_f32_e32 v29, v43, v48
	v_add_f32_e32 v16, v16, v28
	v_mul_f32_e32 v28, v43, v51
	v_add_f32_e32 v18, v18, v29
	v_fma_f32 v32, v42, v50, -v28
	ds_read2_b64 v[28:31], v25 offset0:64 offset1:80
	v_mul_f32_e32 v33, v42, v51
	v_add_f32_e32 v12, v12, v32
	v_fmac_f32_e32 v33, v43, v50
	v_add_f32_e32 v14, v14, v33
	s_waitcnt lgkmcnt(0)
	v_mul_f32_e32 v32, v37, v29
	v_fma_f32 v32, v36, v28, -v32
	v_mul_f32_e32 v33, v36, v29
	v_add_f32_e32 v24, v24, v32
	v_mul_f32_e32 v32, v37, v31
	v_fmac_f32_e32 v33, v37, v28
	v_fma_f32 v32, v36, v30, -v32
	v_add_f32_e32 v26, v26, v33
	v_mul_f32_e32 v33, v36, v31
	v_add_f32_e32 v20, v20, v32
	v_mul_f32_e32 v32, v45, v29
	v_fmac_f32_e32 v33, v37, v30
	v_fma_f32 v32, v44, v28, -v32
	v_add_f32_e32 v22, v22, v33
	v_add_f32_e32 v16, v16, v32
	ds_read2_b64 v[32:35], v25 offset0:96 offset1:112
	v_mul_f32_e32 v29, v44, v29
	v_fmac_f32_e32 v29, v45, v28
	v_mul_f32_e32 v28, v45, v31
	v_add_f32_e32 v18, v18, v29
	v_fma_f32 v28, v44, v30, -v28
	v_mul_f32_e32 v29, v44, v31
	v_fmac_f32_e32 v29, v45, v30
	v_add_f32_e32 v12, v12, v28
	s_waitcnt lgkmcnt(0)
	v_mul_f32_e32 v28, v39, v33
	v_add_f32_e32 v14, v14, v29
	v_fma_f32 v28, v38, v32, -v28
	v_mul_f32_e32 v29, v38, v33
	v_fmac_f32_e32 v29, v39, v32
	v_add_f32_e32 v24, v24, v28
	v_mul_f32_e32 v28, v39, v35
	v_add_f32_e32 v26, v26, v29
	v_fma_f32 v28, v38, v34, -v28
	v_mul_f32_e32 v29, v38, v35
	v_fmac_f32_e32 v29, v39, v34
	v_add_f32_e32 v20, v20, v28
	;; [unrolled: 6-line block ×3, first 2 shown]
	v_mul_f32_e32 v28, v47, v35
	v_add_f32_e32 v18, v18, v29
	v_fma_f32 v32, v46, v34, -v28
	ds_read2_b64 v[28:31], v25 offset0:128 offset1:144
	v_mul_f32_e32 v33, v46, v35
	v_fmac_f32_e32 v33, v47, v34
	v_add_f32_e32 v12, v12, v32
	v_add_f32_e32 v14, v14, v33
	s_waitcnt lgkmcnt(0)
	v_mul_f32_e32 v32, v5, v29
	v_fma_f32 v32, v4, v28, -v32
	v_mul_f32_e32 v33, v4, v29
	v_fmac_f32_e32 v33, v5, v28
	v_add_f32_e32 v24, v24, v32
	v_mul_f32_e32 v32, v5, v31
	v_add_f32_e32 v26, v26, v33
	v_fma_f32 v36, v4, v30, -v32
	ds_read_b128 v[32:35], v27 offset:1056
	v_mul_f32_e32 v4, v4, v31
	ds_read2_b64 v[40:43], v25 offset0:160 offset1:176
	v_fmac_f32_e32 v4, v5, v30
	v_add_f32_e32 v5, v20, v36
	ds_read_b128 v[36:39], v27 offset:1072
	s_waitcnt lgkmcnt(2)
	v_mul_f32_e32 v20, v33, v29
	v_fma_f32 v20, v32, v28, -v20
	v_add_f32_e32 v16, v16, v20
	v_mul_f32_e32 v20, v33, v31
	v_add_f32_e32 v4, v22, v4
	v_mul_f32_e32 v22, v32, v29
	v_fma_f32 v20, v32, v30, -v20
	v_fmac_f32_e32 v22, v33, v28
	v_add_f32_e32 v12, v12, v20
	s_waitcnt lgkmcnt(1)
	v_mul_f32_e32 v20, v7, v41
	v_add_f32_e32 v18, v18, v22
	v_mul_f32_e32 v22, v32, v31
	v_fma_f32 v20, v6, v40, -v20
	v_fmac_f32_e32 v22, v33, v30
	v_add_f32_e32 v20, v24, v20
	v_mul_f32_e32 v24, v7, v43
	v_add_f32_e32 v14, v14, v22
	v_mul_f32_e32 v22, v6, v41
	v_fma_f32 v24, v6, v42, -v24
	v_mul_f32_e32 v6, v6, v43
	v_fmac_f32_e32 v22, v7, v40
	v_fmac_f32_e32 v6, v7, v42
	v_add_f32_e32 v22, v26, v22
	v_add_f32_e32 v26, v4, v6
	v_mul_f32_e32 v4, v35, v41
	v_add_f32_e32 v24, v5, v24
	v_fma_f32 v4, v34, v40, -v4
	v_mul_f32_e32 v5, v34, v41
	v_fmac_f32_e32 v5, v35, v40
	v_add_f32_e32 v16, v16, v4
	v_mul_f32_e32 v4, v35, v43
	v_add_f32_e32 v18, v18, v5
	v_fma_f32 v28, v34, v42, -v4
	ds_read2_b64 v[4:7], v25 offset0:192 offset1:208
	v_mul_f32_e32 v29, v34, v43
	v_add_f32_e32 v12, v12, v28
	v_fmac_f32_e32 v29, v35, v42
	v_add_f32_e32 v14, v14, v29
	s_waitcnt lgkmcnt(0)
	v_mul_f32_e32 v28, v1, v5
	v_fma_f32 v28, v0, v4, -v28
	v_mul_f32_e32 v29, v0, v5
	v_add_f32_e32 v20, v20, v28
	v_mul_f32_e32 v28, v1, v7
	v_fmac_f32_e32 v29, v1, v4
	v_fma_f32 v28, v0, v6, -v28
	v_mul_f32_e32 v0, v0, v7
	v_add_f32_e32 v22, v22, v29
	v_fmac_f32_e32 v0, v1, v6
	v_add_f32_e32 v1, v24, v28
	ds_read2_b64 v[28:31], v25 offset0:224 offset1:240
	v_mul_f32_e32 v24, v37, v5
	v_fma_f32 v24, v36, v4, -v24
	v_mul_f32_e32 v5, v36, v5
	v_fmac_f32_e32 v5, v37, v4
	v_add_f32_e32 v4, v16, v24
	v_mul_f32_e32 v16, v37, v7
	v_fma_f32 v16, v36, v6, -v16
	v_mul_f32_e32 v7, v36, v7
	v_fmac_f32_e32 v7, v37, v6
	v_add_f32_e32 v6, v12, v16
	s_waitcnt lgkmcnt(0)
	v_mul_f32_e32 v12, v3, v29
	v_fma_f32 v12, v2, v28, -v12
	v_add_f32_e32 v24, v20, v12
	v_mul_f32_e32 v12, v3, v31
	v_add_f32_e32 v7, v14, v7
	v_mul_f32_e32 v14, v2, v29
	v_fma_f32 v12, v2, v30, -v12
	v_mul_f32_e32 v2, v2, v31
	v_add_f32_e32 v0, v26, v0
	v_fmac_f32_e32 v14, v3, v28
	v_fmac_f32_e32 v2, v3, v30
	v_add_f32_e32 v26, v22, v14
	v_add_f32_e32 v20, v1, v12
	v_add_f32_e32 v22, v0, v2
	v_mul_f32_e32 v0, v39, v29
	v_mul_f32_e32 v1, v38, v29
	v_add_f32_e32 v5, v18, v5
	v_fma_f32 v0, v38, v28, -v0
	v_fmac_f32_e32 v1, v39, v28
	v_add_f32_e32 v16, v4, v0
	v_add_f32_e32 v18, v5, v1
	v_mul_f32_e32 v0, v39, v31
	v_mul_f32_e32 v1, v38, v31
	v_fma_f32 v0, v38, v30, -v0
	v_fmac_f32_e32 v1, v39, v30
	s_add_i32 s5, s5, 8
	v_add_f32_e32 v12, v6, v0
	v_add_f32_e32 v14, v7, v1
	v_lshl_add_u64 v[8:9], v[8:9], 0, 64
	s_cmp_lt_i32 s5, s9
	v_lshl_add_u64 v[10:11], v[10:11], 0, s[12:13]
	s_barrier
	s_cbranch_scc0 .LBB94_12
.LBB94_8:                               ; =>This Inner Loop Header: Depth=1
	v_add_u32_e32 v0, s5, v19
	v_cmp_gt_i32_e64 s[6:7], s9, v0
	s_and_b64 s[14:15], vcc, s[6:7]
	v_mov_b32_e32 v0, 0
	v_mov_b32_e32 v1, 0
	s_and_saveexec_b64 s[6:7], s[14:15]
	s_cbranch_execz .LBB94_10
; %bb.9:                                ;   in Loop: Header=BB94_8 Depth=1
	global_load_dwordx2 v[0:1], v[8:9], off
.LBB94_10:                              ;   in Loop: Header=BB94_8 Depth=1
	s_or_b64 exec, exec, s[6:7]
	s_waitcnt vmcnt(0)
	ds_write_b64 v21, v[0:1]
	v_add_u32_e32 v0, s5, v17
	v_cmp_gt_i32_e64 s[6:7], s9, v0
	s_and_b64 s[14:15], s[6:7], s[2:3]
	v_mov_b32_e32 v0, 0
	v_mov_b32_e32 v1, 0
	s_and_saveexec_b64 s[6:7], s[14:15]
	s_cbranch_execz .LBB94_7
; %bb.11:                               ;   in Loop: Header=BB94_8 Depth=1
	global_load_dwordx2 v[0:1], v[10:11], off
	s_branch .LBB94_7
.LBB94_12:
	s_load_dwordx2 s[2:3], s[0:1], 0x58
	s_load_dwordx2 s[6:7], s[0:1], 0x48
	s_load_dword s9, s[0:1], 0x50
	v_add_u32_e32 v10, s21, v15
	v_add_u32_e32 v0, s20, v13
	s_waitcnt lgkmcnt(0)
	s_mul_i32 s1, s3, s4
	s_mul_hi_u32 s3, s2, s4
	s_mul_i32 s0, s2, s4
	s_add_i32 s1, s3, s1
	s_lshl_b64 s[0:1], s[0:1], 3
	s_add_u32 s4, s6, s0
	s_addc_u32 s5, s7, s1
	v_cmp_neq_f32_e64 s[0:1], s16, 0
	s_xor_b64 s[6:7], s[18:19], -1
	v_mad_i64_i32 v[2:3], s[12:13], v10, s9, 0
	s_or_b64 s[0:1], s[0:1], s[6:7]
	v_cmp_gt_i32_e64 s[2:3], s8, v10
	v_lshl_add_u64 v[4:5], v[2:3], 3, s[4:5]
	v_cmp_le_i32_e32 vcc, v0, v10
	v_cndmask_b32_e64 v2, 0, 1, s[0:1]
	s_and_b64 s[12:13], s[2:3], vcc
	v_ashrrev_i32_e32 v1, 31, v0
	v_cmp_ne_u32_e64 s[0:1], 1, v2
	s_and_saveexec_b64 s[6:7], s[12:13]
	s_cbranch_execz .LBB94_16
; %bb.13:
	v_pk_mul_f32 v[6:7], v[26:27], s[10:11] op_sel:[0,1] op_sel_hi:[0,0]
	v_pk_fma_f32 v[2:3], v[24:25], s[10:11], v[6:7] op_sel_hi:[0,1,1] neg_lo:[0,0,1] neg_hi:[0,0,1]
	v_pk_fma_f32 v[8:9], v[24:25], s[10:11], v[6:7] op_sel_hi:[0,1,1]
	s_and_b64 vcc, exec, s[0:1]
	v_lshl_add_u64 v[6:7], v[0:1], 3, v[4:5]
	s_cbranch_vccnz .LBB94_15
; %bb.14:
	global_load_dwordx2 v[24:25], v[6:7], off
	s_mov_b32 s12, s17
	v_mov_b32_e32 v3, v9
	s_waitcnt vmcnt(0)
	v_pk_mul_f32 v[8:9], v[24:25], s[12:13] op_sel:[1,0] op_sel_hi:[0,0]
	v_pk_fma_f32 v[26:27], v[24:25], s[16:17], v[8:9] neg_lo:[0,0,1] neg_hi:[0,0,1]
	v_pk_fma_f32 v[8:9], v[24:25], s[16:17], v[8:9] op_sel_hi:[1,0,1]
	s_nop 0
	v_mov_b32_e32 v27, v9
	v_pk_add_f32 v[2:3], v[2:3], v[26:27]
	s_nop 0
	v_mov_b32_e32 v9, v3
.LBB94_15:
	v_mov_b32_e32 v3, v9
	global_store_dwordx2 v[6:7], v[2:3], off
.LBB94_16:
	s_or_b64 exec, exec, s[6:7]
	v_add_u32_e32 v2, 16, v0
	v_cmp_le_i32_e32 vcc, v2, v10
	s_and_b64 s[6:7], s[2:3], vcc
	v_ashrrev_i32_e32 v3, 31, v2
	s_and_saveexec_b64 s[2:3], s[6:7]
	s_cbranch_execz .LBB94_20
; %bb.17:
	v_pk_mul_f32 v[8:9], v[22:23], s[10:11] op_sel:[0,1] op_sel_hi:[0,0]
	v_pk_fma_f32 v[6:7], v[20:21], s[10:11], v[8:9] op_sel_hi:[0,1,1] neg_lo:[0,0,1] neg_hi:[0,0,1]
	v_pk_fma_f32 v[8:9], v[20:21], s[10:11], v[8:9] op_sel_hi:[0,1,1]
	s_and_b64 vcc, exec, s[0:1]
	v_lshl_add_u64 v[4:5], v[2:3], 3, v[4:5]
	s_cbranch_vccnz .LBB94_19
; %bb.18:
	global_load_dwordx2 v[20:21], v[4:5], off
	s_mov_b32 s6, s17
	v_mov_b32_e32 v7, v9
	s_waitcnt vmcnt(0)
	v_pk_mul_f32 v[8:9], v[20:21], s[6:7] op_sel:[1,0] op_sel_hi:[0,0]
	v_pk_fma_f32 v[22:23], v[20:21], s[16:17], v[8:9] neg_lo:[0,0,1] neg_hi:[0,0,1]
	v_pk_fma_f32 v[8:9], v[20:21], s[16:17], v[8:9] op_sel_hi:[1,0,1]
	s_nop 0
	v_mov_b32_e32 v23, v9
	v_pk_add_f32 v[6:7], v[6:7], v[22:23]
	s_nop 0
	v_mov_b32_e32 v9, v7
.LBB94_19:
	v_mov_b32_e32 v7, v9
	global_store_dwordx2 v[4:5], v[6:7], off
.LBB94_20:
	s_or_b64 exec, exec, s[2:3]
	v_add_u32_e32 v10, 16, v10
	v_cmp_gt_i32_e64 s[2:3], s8, v10
	v_mad_i64_i32 v[4:5], s[6:7], v10, s9, 0
	v_cmp_le_i32_e32 vcc, v0, v10
	v_lshl_add_u64 v[4:5], v[4:5], 3, s[4:5]
	s_and_b64 s[6:7], s[2:3], vcc
	s_and_saveexec_b64 s[4:5], s[6:7]
	s_cbranch_execz .LBB94_24
; %bb.21:
	v_pk_mul_f32 v[8:9], v[18:19], s[10:11] op_sel:[0,1] op_sel_hi:[0,0]
	v_pk_fma_f32 v[6:7], v[16:17], s[10:11], v[8:9] op_sel_hi:[0,1,1] neg_lo:[0,0,1] neg_hi:[0,0,1]
	v_pk_fma_f32 v[8:9], v[16:17], s[10:11], v[8:9] op_sel_hi:[0,1,1]
	s_and_b64 vcc, exec, s[0:1]
	v_lshl_add_u64 v[0:1], v[0:1], 3, v[4:5]
	s_cbranch_vccnz .LBB94_23
; %bb.22:
	global_load_dwordx2 v[16:17], v[0:1], off
	s_mov_b32 s6, s17
	v_mov_b32_e32 v7, v9
	s_waitcnt vmcnt(0)
	v_pk_mul_f32 v[8:9], v[16:17], s[6:7] op_sel:[1,0] op_sel_hi:[0,0]
	v_pk_fma_f32 v[18:19], v[16:17], s[16:17], v[8:9] neg_lo:[0,0,1] neg_hi:[0,0,1]
	v_pk_fma_f32 v[8:9], v[16:17], s[16:17], v[8:9] op_sel_hi:[1,0,1]
	s_nop 0
	v_mov_b32_e32 v19, v9
	v_pk_add_f32 v[6:7], v[6:7], v[18:19]
	s_nop 0
	v_mov_b32_e32 v9, v7
.LBB94_23:
	v_mov_b32_e32 v7, v9
	global_store_dwordx2 v[0:1], v[6:7], off
.LBB94_24:
	s_or_b64 exec, exec, s[4:5]
	v_cmp_le_i32_e32 vcc, v2, v10
	s_and_b64 s[2:3], s[2:3], vcc
	s_and_saveexec_b64 s[4:5], s[2:3]
	s_cbranch_execz .LBB94_28
; %bb.25:
	v_pk_mul_f32 v[6:7], v[14:15], s[10:11] op_sel:[0,1] op_sel_hi:[0,0]
	v_pk_fma_f32 v[0:1], v[12:13], s[10:11], v[6:7] op_sel_hi:[0,1,1] neg_lo:[0,0,1] neg_hi:[0,0,1]
	v_pk_fma_f32 v[6:7], v[12:13], s[10:11], v[6:7] op_sel_hi:[0,1,1]
	s_and_b64 vcc, exec, s[0:1]
	v_lshl_add_u64 v[2:3], v[2:3], 3, v[4:5]
	s_cbranch_vccnz .LBB94_27
; %bb.26:
	global_load_dwordx2 v[4:5], v[2:3], off
	s_mov_b32 s0, s17
	v_mov_b32_e32 v1, v7
	s_waitcnt vmcnt(0)
	v_pk_mul_f32 v[6:7], v[4:5], s[0:1] op_sel:[1,0] op_sel_hi:[0,0]
	v_pk_fma_f32 v[8:9], v[4:5], s[16:17], v[6:7] neg_lo:[0,0,1] neg_hi:[0,0,1]
	v_pk_fma_f32 v[4:5], v[4:5], s[16:17], v[6:7] op_sel_hi:[1,0,1]
	s_nop 0
	v_mov_b32_e32 v9, v5
	v_pk_add_f32 v[0:1], v[0:1], v[8:9]
	s_nop 0
	v_mov_b32_e32 v7, v1
.LBB94_27:
	v_mov_b32_e32 v1, v7
	global_store_dwordx2 v[2:3], v[0:1], off
.LBB94_28:
	s_endpgm
	.section	.rodata,"a",@progbits
	.p2align	6, 0x0
	.amdhsa_kernel _ZL29rocblas_internal_gemmt_kernelIiLi16ELi32ELi8ELc84ELc84ELc85ELb0ELb0E19rocblas_complex_numIfES1_PKS1_PS1_EviT_T9_T10_S5_lS7_S5_lS6_T11_S5_li
		.amdhsa_group_segment_fixed_size 4096
		.amdhsa_private_segment_fixed_size 0
		.amdhsa_kernarg_size 100
		.amdhsa_user_sgpr_count 2
		.amdhsa_user_sgpr_dispatch_ptr 0
		.amdhsa_user_sgpr_queue_ptr 0
		.amdhsa_user_sgpr_kernarg_segment_ptr 1
		.amdhsa_user_sgpr_dispatch_id 0
		.amdhsa_user_sgpr_kernarg_preload_length 0
		.amdhsa_user_sgpr_kernarg_preload_offset 0
		.amdhsa_user_sgpr_private_segment_size 0
		.amdhsa_uses_dynamic_stack 0
		.amdhsa_enable_private_segment 0
		.amdhsa_system_sgpr_workgroup_id_x 1
		.amdhsa_system_sgpr_workgroup_id_y 1
		.amdhsa_system_sgpr_workgroup_id_z 1
		.amdhsa_system_sgpr_workgroup_info 0
		.amdhsa_system_vgpr_workitem_id 1
		.amdhsa_next_free_vgpr 52
		.amdhsa_next_free_sgpr 28
		.amdhsa_accum_offset 52
		.amdhsa_reserve_vcc 1
		.amdhsa_float_round_mode_32 0
		.amdhsa_float_round_mode_16_64 0
		.amdhsa_float_denorm_mode_32 3
		.amdhsa_float_denorm_mode_16_64 3
		.amdhsa_dx10_clamp 1
		.amdhsa_ieee_mode 1
		.amdhsa_fp16_overflow 0
		.amdhsa_tg_split 0
		.amdhsa_exception_fp_ieee_invalid_op 0
		.amdhsa_exception_fp_denorm_src 0
		.amdhsa_exception_fp_ieee_div_zero 0
		.amdhsa_exception_fp_ieee_overflow 0
		.amdhsa_exception_fp_ieee_underflow 0
		.amdhsa_exception_fp_ieee_inexact 0
		.amdhsa_exception_int_div_zero 0
	.end_amdhsa_kernel
	.section	.text._ZL29rocblas_internal_gemmt_kernelIiLi16ELi32ELi8ELc84ELc84ELc85ELb0ELb0E19rocblas_complex_numIfES1_PKS1_PS1_EviT_T9_T10_S5_lS7_S5_lS6_T11_S5_li,"axG",@progbits,_ZL29rocblas_internal_gemmt_kernelIiLi16ELi32ELi8ELc84ELc84ELc85ELb0ELb0E19rocblas_complex_numIfES1_PKS1_PS1_EviT_T9_T10_S5_lS7_S5_lS6_T11_S5_li,comdat
.Lfunc_end94:
	.size	_ZL29rocblas_internal_gemmt_kernelIiLi16ELi32ELi8ELc84ELc84ELc85ELb0ELb0E19rocblas_complex_numIfES1_PKS1_PS1_EviT_T9_T10_S5_lS7_S5_lS6_T11_S5_li, .Lfunc_end94-_ZL29rocblas_internal_gemmt_kernelIiLi16ELi32ELi8ELc84ELc84ELc85ELb0ELb0E19rocblas_complex_numIfES1_PKS1_PS1_EviT_T9_T10_S5_lS7_S5_lS6_T11_S5_li
                                        ; -- End function
	.set _ZL29rocblas_internal_gemmt_kernelIiLi16ELi32ELi8ELc84ELc84ELc85ELb0ELb0E19rocblas_complex_numIfES1_PKS1_PS1_EviT_T9_T10_S5_lS7_S5_lS6_T11_S5_li.num_vgpr, 52
	.set _ZL29rocblas_internal_gemmt_kernelIiLi16ELi32ELi8ELc84ELc84ELc85ELb0ELb0E19rocblas_complex_numIfES1_PKS1_PS1_EviT_T9_T10_S5_lS7_S5_lS6_T11_S5_li.num_agpr, 0
	.set _ZL29rocblas_internal_gemmt_kernelIiLi16ELi32ELi8ELc84ELc84ELc85ELb0ELb0E19rocblas_complex_numIfES1_PKS1_PS1_EviT_T9_T10_S5_lS7_S5_lS6_T11_S5_li.numbered_sgpr, 28
	.set _ZL29rocblas_internal_gemmt_kernelIiLi16ELi32ELi8ELc84ELc84ELc85ELb0ELb0E19rocblas_complex_numIfES1_PKS1_PS1_EviT_T9_T10_S5_lS7_S5_lS6_T11_S5_li.num_named_barrier, 0
	.set _ZL29rocblas_internal_gemmt_kernelIiLi16ELi32ELi8ELc84ELc84ELc85ELb0ELb0E19rocblas_complex_numIfES1_PKS1_PS1_EviT_T9_T10_S5_lS7_S5_lS6_T11_S5_li.private_seg_size, 0
	.set _ZL29rocblas_internal_gemmt_kernelIiLi16ELi32ELi8ELc84ELc84ELc85ELb0ELb0E19rocblas_complex_numIfES1_PKS1_PS1_EviT_T9_T10_S5_lS7_S5_lS6_T11_S5_li.uses_vcc, 1
	.set _ZL29rocblas_internal_gemmt_kernelIiLi16ELi32ELi8ELc84ELc84ELc85ELb0ELb0E19rocblas_complex_numIfES1_PKS1_PS1_EviT_T9_T10_S5_lS7_S5_lS6_T11_S5_li.uses_flat_scratch, 0
	.set _ZL29rocblas_internal_gemmt_kernelIiLi16ELi32ELi8ELc84ELc84ELc85ELb0ELb0E19rocblas_complex_numIfES1_PKS1_PS1_EviT_T9_T10_S5_lS7_S5_lS6_T11_S5_li.has_dyn_sized_stack, 0
	.set _ZL29rocblas_internal_gemmt_kernelIiLi16ELi32ELi8ELc84ELc84ELc85ELb0ELb0E19rocblas_complex_numIfES1_PKS1_PS1_EviT_T9_T10_S5_lS7_S5_lS6_T11_S5_li.has_recursion, 0
	.set _ZL29rocblas_internal_gemmt_kernelIiLi16ELi32ELi8ELc84ELc84ELc85ELb0ELb0E19rocblas_complex_numIfES1_PKS1_PS1_EviT_T9_T10_S5_lS7_S5_lS6_T11_S5_li.has_indirect_call, 0
	.section	.AMDGPU.csdata,"",@progbits
; Kernel info:
; codeLenInByte = 2456
; TotalNumSgprs: 34
; NumVgprs: 52
; NumAgprs: 0
; TotalNumVgprs: 52
; ScratchSize: 0
; MemoryBound: 0
; FloatMode: 240
; IeeeMode: 1
; LDSByteSize: 4096 bytes/workgroup (compile time only)
; SGPRBlocks: 4
; VGPRBlocks: 6
; NumSGPRsForWavesPerEU: 34
; NumVGPRsForWavesPerEU: 52
; AccumOffset: 52
; Occupancy: 8
; WaveLimiterHint : 0
; COMPUTE_PGM_RSRC2:SCRATCH_EN: 0
; COMPUTE_PGM_RSRC2:USER_SGPR: 2
; COMPUTE_PGM_RSRC2:TRAP_HANDLER: 0
; COMPUTE_PGM_RSRC2:TGID_X_EN: 1
; COMPUTE_PGM_RSRC2:TGID_Y_EN: 1
; COMPUTE_PGM_RSRC2:TGID_Z_EN: 1
; COMPUTE_PGM_RSRC2:TIDIG_COMP_CNT: 1
; COMPUTE_PGM_RSRC3_GFX90A:ACCUM_OFFSET: 12
; COMPUTE_PGM_RSRC3_GFX90A:TG_SPLIT: 0
	.section	.text._ZL29rocblas_internal_gemmt_kernelIiLi16ELi32ELi8ELc84ELc67ELc85ELb0ELb1E19rocblas_complex_numIfES1_PKS1_PS1_EviT_T9_T10_S5_lS7_S5_lS6_T11_S5_li,"axG",@progbits,_ZL29rocblas_internal_gemmt_kernelIiLi16ELi32ELi8ELc84ELc67ELc85ELb0ELb1E19rocblas_complex_numIfES1_PKS1_PS1_EviT_T9_T10_S5_lS7_S5_lS6_T11_S5_li,comdat
	.globl	_ZL29rocblas_internal_gemmt_kernelIiLi16ELi32ELi8ELc84ELc67ELc85ELb0ELb1E19rocblas_complex_numIfES1_PKS1_PS1_EviT_T9_T10_S5_lS7_S5_lS6_T11_S5_li ; -- Begin function _ZL29rocblas_internal_gemmt_kernelIiLi16ELi32ELi8ELc84ELc67ELc85ELb0ELb1E19rocblas_complex_numIfES1_PKS1_PS1_EviT_T9_T10_S5_lS7_S5_lS6_T11_S5_li
	.p2align	8
	.type	_ZL29rocblas_internal_gemmt_kernelIiLi16ELi32ELi8ELc84ELc67ELc85ELb0ELb1E19rocblas_complex_numIfES1_PKS1_PS1_EviT_T9_T10_S5_lS7_S5_lS6_T11_S5_li,@function
_ZL29rocblas_internal_gemmt_kernelIiLi16ELi32ELi8ELc84ELc67ELc85ELb0ELb1E19rocblas_complex_numIfES1_PKS1_PS1_EviT_T9_T10_S5_lS7_S5_lS6_T11_S5_li: ; @_ZL29rocblas_internal_gemmt_kernelIiLi16ELi32ELi8ELc84ELc67ELc85ELb0ELb1E19rocblas_complex_numIfES1_PKS1_PS1_EviT_T9_T10_S5_lS7_S5_lS6_T11_S5_li
; %bb.0:
	s_load_dwordx2 s[6:7], s[0:1], 0x40
	s_load_dwordx4 s[8:11], s[0:1], 0x0
	s_waitcnt lgkmcnt(0)
	s_and_b32 s5, s7, 0x7fffffff
	s_cmp_eq_u32 s5, 0
	v_cmp_eq_f32_e64 s[12:13], s6, 1.0
	s_cselect_b64 s[16:17], -1, 0
	s_and_b64 s[12:13], s[12:13], s[16:17]
	s_and_b64 vcc, exec, s[12:13]
	s_cbranch_vccnz .LBB95_2
; %bb.1:
	s_mov_b64 s[12:13], -1
	s_cbranch_execz .LBB95_3
	s_branch .LBB95_4
.LBB95_2:
	s_mov_b64 s[12:13], 0
.LBB95_3:
	s_cmp_lg_u32 s9, 0
	v_cmp_neq_f32_e64 s[14:15], s10, 0
	v_cmp_neq_f32_e64 s[18:19], s11, 0
	s_cselect_b64 s[12:13], -1, 0
	s_or_b64 s[14:15], s[14:15], s[18:19]
	s_and_b64 s[12:13], s[12:13], s[14:15]
.LBB95_4:
	s_andn2_b64 vcc, exec, s[12:13]
	s_cbranch_vccnz .LBB95_30
; %bb.5:
	s_lshl_b32 s18, s2, 5
	s_lshl_b32 s19, s3, 5
	v_cmp_eq_f32_e64 s[2:3], s10, 0
	v_cmp_eq_f32_e64 s[12:13], s11, 0
	s_and_b64 s[2:3], s[2:3], s[12:13]
	s_cmp_lt_i32 s9, 1
	s_cselect_b64 s[12:13], -1, 0
	s_or_b64 s[2:3], s[2:3], s[12:13]
	v_and_b32_e32 v15, 0x3ff, v0
	v_bfe_u32 v17, v0, 10, 10
	s_mov_b32 s5, 0
	v_mov_b32_e32 v24, 0
	s_and_b64 vcc, exec, s[2:3]
	v_mov_b32_e32 v26, 0
	v_mov_b32_e32 v20, 0
	;; [unrolled: 1-line block ×7, first 2 shown]
	s_cbranch_vccnz .LBB95_14
; %bb.6:
	v_lshl_add_u32 v1, v17, 4, v15
	v_and_b32_e32 v3, 31, v1
	v_lshrrev_b32_e32 v21, 5, v1
	v_lshrrev_b32_e32 v2, 3, v1
	v_or_b32_e32 v1, s18, v3
	v_and_b32_e32 v19, 7, v15
	s_load_dwordx4 s[12:15], s[0:1], 0x20
	s_load_dword s20, s[0:1], 0x30
	s_load_dwordx2 s[22:23], s[0:1], 0x10
	s_load_dword s26, s[0:1], 0x18
	s_load_dwordx2 s[24:25], s[0:1], 0x38
	v_cmp_gt_i32_e32 vcc, s8, v1
	v_lshlrev_b32_e32 v1, 3, v3
	v_lshl_or_b32 v23, v21, 8, v1
	v_lshlrev_b32_e32 v1, 3, v19
	v_add_u32_e32 v0, s19, v2
	v_lshl_or_b32 v1, v2, 6, v1
	v_mov_b32_e32 v2, 0x800
	v_lshl_add_u32 v28, v17, 6, v2
	v_add_u32_e32 v2, s18, v3
	s_waitcnt lgkmcnt(0)
	v_mad_i64_i32 v[2:3], s[26:27], s26, v2, 0
	s_mul_i32 s13, s13, s4
	s_mul_hi_u32 s26, s12, s4
	s_add_i32 s13, s26, s13
	s_mul_i32 s12, s12, s4
	s_lshl_b64 s[12:13], s[12:13], 3
	v_lshl_add_u64 v[2:3], v[2:3], 3, s[12:13]
	v_lshlrev_b32_e32 v8, 3, v21
	v_mov_b32_e32 v9, 0
	v_lshl_add_u64 v[2:3], v[2:3], 0, v[8:9]
	v_lshl_add_u64 v[10:11], s[22:23], 0, v[2:3]
	s_mul_i32 s12, s25, s4
	s_mul_hi_u32 s13, s24, s4
	v_mad_i64_i32 v[2:3], s[22:23], s20, v19, 0
	s_add_i32 s13, s13, s12
	s_mul_i32 s12, s24, s4
	v_lshlrev_b64 v[2:3], 3, v[2:3]
	v_add_u32_e32 v25, 0x800, v1
	v_ashrrev_i32_e32 v1, 31, v0
	v_lshl_add_u64 v[2:3], s[12:13], 3, v[2:3]
	v_cmp_gt_i32_e64 s[2:3], s8, v0
	v_lshl_add_u64 v[0:1], v[0:1], 3, v[2:3]
	s_ashr_i32 s21, s20, 31
	v_lshl_add_u64 v[0:1], s[14:15], 0, v[0:1]
	v_lshlrev_b32_e32 v27, 3, v15
	v_lshl_add_u64 v[12:13], v[0:1], 0, 4
	s_lshl_b64 s[12:13], s[20:21], 6
	s_xor_b64 s[14:15], s[2:3], -1
	v_mov_b32_e32 v14, 0
	v_mov_b32_e32 v8, 0
	v_mov_b32_e32 v18, 0
	v_mov_b32_e32 v16, 0
	v_mov_b32_e32 v22, 0
	v_mov_b32_e32 v20, 0
	v_mov_b32_e32 v26, 0
	v_mov_b32_e32 v24, 0
	s_branch .LBB95_8
.LBB95_7:                               ;   in Loop: Header=BB95_8 Depth=1
	s_or_b64 exec, exec, s[2:3]
	ds_write_b32 v25, v0 offset:4
	s_waitcnt lgkmcnt(0)
	s_barrier
	ds_read2_b64 v[30:33], v27 offset1:16
	ds_read_b128 v[34:37], v28
	ds_read_b128 v[38:41], v28 offset:16
	ds_read_b128 v[4:7], v28 offset:32
	;; [unrolled: 1-line block ×3, first 2 shown]
	ds_read2_b64 v[50:53], v27 offset0:32 offset1:48
	s_waitcnt lgkmcnt(4)
	v_mul_f32_e32 v42, v34, v31
	v_fmac_f32_e32 v42, v35, v30
	v_add_f32_e32 v26, v26, v42
	ds_read_b128 v[42:45], v28 offset:1024
	ds_read_b128 v[46:49], v28 offset:1040
	v_mul_f32_e32 v29, v35, v31
	v_fma_f32 v29, v34, v30, -v29
	v_add_f32_e32 v24, v24, v29
	v_mul_f32_e32 v29, v35, v33
	v_fma_f32 v29, v34, v32, -v29
	v_add_f32_e32 v20, v20, v29
	s_waitcnt lgkmcnt(1)
	v_mul_f32_e32 v29, v43, v31
	v_mul_f32_e32 v31, v42, v31
	v_fma_f32 v29, v42, v30, -v29
	v_fmac_f32_e32 v31, v43, v30
	v_mul_f32_e32 v30, v42, v33
	v_fmac_f32_e32 v30, v43, v32
	v_add_f32_e32 v14, v14, v30
	v_mul_f32_e32 v30, v36, v51
	v_mul_f32_e32 v34, v34, v33
	v_fmac_f32_e32 v30, v37, v50
	v_fmac_f32_e32 v34, v35, v32
	v_add_f32_e32 v26, v26, v30
	v_mul_f32_e32 v30, v36, v53
	v_add_f32_e32 v22, v22, v34
	v_add_f32_e32 v16, v16, v29
	v_mul_f32_e32 v29, v43, v33
	v_fmac_f32_e32 v30, v37, v52
	v_fma_f32 v29, v42, v32, -v29
	v_add_f32_e32 v22, v22, v30
	v_mul_f32_e32 v30, v44, v51
	v_add_f32_e32 v18, v18, v31
	v_add_f32_e32 v8, v8, v29
	v_mul_f32_e32 v29, v37, v51
	v_fmac_f32_e32 v30, v45, v50
	v_fma_f32 v29, v36, v50, -v29
	v_add_f32_e32 v18, v18, v30
	ds_read2_b64 v[30:33], v27 offset0:64 offset1:80
	v_add_f32_e32 v24, v24, v29
	v_mul_f32_e32 v29, v37, v53
	v_fma_f32 v29, v36, v52, -v29
	v_add_f32_e32 v20, v20, v29
	v_mul_f32_e32 v29, v45, v51
	v_mul_f32_e32 v34, v44, v53
	v_fma_f32 v29, v44, v50, -v29
	v_fmac_f32_e32 v34, v45, v52
	v_add_f32_e32 v16, v16, v29
	v_mul_f32_e32 v29, v45, v53
	v_add_f32_e32 v14, v14, v34
	s_waitcnt lgkmcnt(0)
	v_mul_f32_e32 v34, v38, v31
	v_fma_f32 v29, v44, v52, -v29
	v_fmac_f32_e32 v34, v39, v30
	v_add_f32_e32 v8, v8, v29
	v_mul_f32_e32 v29, v39, v31
	v_add_f32_e32 v26, v26, v34
	v_mul_f32_e32 v34, v38, v33
	v_fma_f32 v29, v38, v30, -v29
	v_fmac_f32_e32 v34, v39, v32
	v_add_f32_e32 v24, v24, v29
	v_mul_f32_e32 v29, v39, v33
	v_add_f32_e32 v22, v22, v34
	ds_read2_b64 v[34:37], v27 offset0:96 offset1:112
	v_fma_f32 v29, v38, v32, -v29
	v_add_f32_e32 v20, v20, v29
	v_mul_f32_e32 v29, v47, v31
	v_mul_f32_e32 v31, v46, v31
	v_fma_f32 v29, v46, v30, -v29
	v_fmac_f32_e32 v31, v47, v30
	v_mul_f32_e32 v30, v46, v33
	v_fmac_f32_e32 v30, v47, v32
	v_add_f32_e32 v14, v14, v30
	s_waitcnt lgkmcnt(0)
	v_mul_f32_e32 v30, v40, v35
	v_fmac_f32_e32 v30, v41, v34
	v_add_f32_e32 v16, v16, v29
	v_mul_f32_e32 v29, v47, v33
	v_add_f32_e32 v26, v26, v30
	v_mul_f32_e32 v30, v40, v37
	v_fma_f32 v29, v46, v32, -v29
	v_fmac_f32_e32 v30, v41, v36
	v_add_f32_e32 v8, v8, v29
	v_mul_f32_e32 v29, v41, v35
	v_add_f32_e32 v22, v22, v30
	v_mul_f32_e32 v30, v48, v35
	v_add_f32_e32 v18, v18, v31
	v_fma_f32 v29, v40, v34, -v29
	v_fmac_f32_e32 v30, v49, v34
	v_add_f32_e32 v24, v24, v29
	v_mul_f32_e32 v29, v41, v37
	v_add_f32_e32 v18, v18, v30
	ds_read2_b64 v[30:33], v27 offset0:128 offset1:144
	v_fma_f32 v29, v40, v36, -v29
	v_add_f32_e32 v20, v20, v29
	v_mul_f32_e32 v29, v49, v35
	v_fma_f32 v29, v48, v34, -v29
	v_mul_f32_e32 v34, v48, v37
	v_fmac_f32_e32 v34, v49, v36
	v_add_f32_e32 v14, v14, v34
	s_waitcnt lgkmcnt(0)
	v_mul_f32_e32 v34, v4, v31
	v_add_f32_e32 v16, v16, v29
	v_mul_f32_e32 v29, v49, v37
	v_fmac_f32_e32 v34, v5, v30
	v_fma_f32 v29, v48, v36, -v29
	v_add_f32_e32 v26, v26, v34
	ds_read_b128 v[34:37], v28 offset:1056
	ds_read_b128 v[38:41], v28 offset:1072
	v_add_f32_e32 v8, v8, v29
	v_mul_f32_e32 v29, v5, v31
	v_fma_f32 v29, v4, v30, -v29
	v_add_f32_e32 v24, v24, v29
	v_mul_f32_e32 v29, v5, v33
	v_fma_f32 v29, v4, v32, -v29
	v_mul_f32_e32 v4, v4, v33
	ds_read2_b64 v[42:45], v27 offset0:160 offset1:176
	v_fmac_f32_e32 v4, v5, v32
	v_add_f32_e32 v5, v20, v29
	s_waitcnt lgkmcnt(2)
	v_mul_f32_e32 v20, v35, v31
	v_fma_f32 v20, v34, v30, -v20
	v_add_f32_e32 v16, v16, v20
	v_mul_f32_e32 v20, v35, v33
	v_add_f32_e32 v4, v22, v4
	v_mul_f32_e32 v22, v34, v31
	v_fma_f32 v20, v34, v32, -v20
	v_fmac_f32_e32 v22, v35, v30
	v_add_f32_e32 v8, v8, v20
	s_waitcnt lgkmcnt(0)
	v_mul_f32_e32 v20, v7, v43
	v_add_f32_e32 v18, v18, v22
	v_mul_f32_e32 v22, v34, v33
	v_fma_f32 v20, v6, v42, -v20
	v_fmac_f32_e32 v22, v35, v32
	v_add_f32_e32 v20, v24, v20
	v_mul_f32_e32 v24, v7, v45
	v_add_f32_e32 v14, v14, v22
	v_mul_f32_e32 v22, v6, v43
	v_fma_f32 v24, v6, v44, -v24
	v_mul_f32_e32 v6, v6, v45
	v_fmac_f32_e32 v22, v7, v42
	v_fmac_f32_e32 v6, v7, v44
	v_add_f32_e32 v22, v26, v22
	v_add_f32_e32 v26, v4, v6
	v_mul_f32_e32 v4, v37, v43
	v_add_f32_e32 v24, v5, v24
	v_fma_f32 v4, v36, v42, -v4
	v_mul_f32_e32 v5, v36, v43
	v_fmac_f32_e32 v5, v37, v42
	v_add_f32_e32 v16, v16, v4
	v_mul_f32_e32 v4, v37, v45
	v_add_f32_e32 v18, v18, v5
	v_fma_f32 v29, v36, v44, -v4
	ds_read2_b64 v[4:7], v27 offset0:192 offset1:208
	v_mul_f32_e32 v30, v36, v45
	v_fmac_f32_e32 v30, v37, v44
	v_add_f32_e32 v8, v8, v29
	v_add_f32_e32 v14, v14, v30
	s_waitcnt lgkmcnt(0)
	v_mul_f32_e32 v29, v1, v5
	v_fma_f32 v29, v0, v4, -v29
	v_mul_f32_e32 v30, v0, v5
	v_fmac_f32_e32 v30, v1, v4
	v_add_f32_e32 v20, v20, v29
	v_mul_f32_e32 v29, v1, v7
	v_add_f32_e32 v22, v22, v30
	v_fma_f32 v29, v0, v6, -v29
	v_mul_f32_e32 v0, v0, v7
	ds_read2_b64 v[30:33], v27 offset0:224 offset1:240
	v_fmac_f32_e32 v0, v1, v6
	v_add_f32_e32 v1, v24, v29
	v_mul_f32_e32 v24, v39, v5
	v_fma_f32 v24, v38, v4, -v24
	v_mul_f32_e32 v5, v38, v5
	v_fmac_f32_e32 v5, v39, v4
	v_add_f32_e32 v4, v16, v24
	v_mul_f32_e32 v16, v39, v7
	v_fma_f32 v16, v38, v6, -v16
	v_mul_f32_e32 v7, v38, v7
	v_fmac_f32_e32 v7, v39, v6
	v_add_f32_e32 v6, v8, v16
	s_waitcnt lgkmcnt(0)
	v_mul_f32_e32 v8, v3, v31
	v_fma_f32 v8, v2, v30, -v8
	v_add_f32_e32 v24, v20, v8
	v_mul_f32_e32 v8, v3, v33
	v_add_f32_e32 v7, v14, v7
	v_mul_f32_e32 v14, v2, v31
	v_fma_f32 v8, v2, v32, -v8
	v_mul_f32_e32 v2, v2, v33
	v_add_f32_e32 v0, v26, v0
	v_fmac_f32_e32 v14, v3, v30
	v_fmac_f32_e32 v2, v3, v32
	v_add_f32_e32 v26, v22, v14
	v_add_f32_e32 v20, v1, v8
	;; [unrolled: 1-line block ×3, first 2 shown]
	v_mul_f32_e32 v0, v41, v31
	v_mul_f32_e32 v1, v40, v31
	v_add_f32_e32 v5, v18, v5
	v_fma_f32 v0, v40, v30, -v0
	v_fmac_f32_e32 v1, v41, v30
	v_add_f32_e32 v16, v4, v0
	v_add_f32_e32 v18, v5, v1
	v_mul_f32_e32 v0, v41, v33
	v_mul_f32_e32 v1, v40, v33
	v_fma_f32 v0, v40, v32, -v0
	v_fmac_f32_e32 v1, v41, v32
	s_add_i32 s5, s5, 8
	v_add_f32_e32 v8, v6, v0
	v_add_f32_e32 v14, v7, v1
	v_lshl_add_u64 v[10:11], v[10:11], 0, 64
	s_cmp_lt_i32 s5, s9
	v_lshl_add_u64 v[12:13], v[12:13], 0, s[12:13]
	s_barrier
	s_cbranch_scc0 .LBB95_14
.LBB95_8:                               ; =>This Inner Loop Header: Depth=1
	v_add_u32_e32 v0, s5, v21
	v_cmp_gt_i32_e64 s[2:3], s9, v0
	s_and_b64 s[20:21], vcc, s[2:3]
	v_mov_b32_e32 v0, 0
	v_mov_b32_e32 v1, 0
	s_and_saveexec_b64 s[2:3], s[20:21]
	s_cbranch_execz .LBB95_10
; %bb.9:                                ;   in Loop: Header=BB95_8 Depth=1
	global_load_dwordx2 v[0:1], v[10:11], off
.LBB95_10:                              ;   in Loop: Header=BB95_8 Depth=1
	s_or_b64 exec, exec, s[2:3]
	s_waitcnt vmcnt(0)
	ds_write_b64 v23, v[0:1]
	v_add_u32_e32 v0, s5, v19
	v_cmp_le_i32_e64 s[2:3], s9, v0
	s_or_b64 s[2:3], s[2:3], s[14:15]
	s_and_saveexec_b64 s[20:21], s[2:3]
	s_xor_b64 s[2:3], exec, s[20:21]
; %bb.11:                               ;   in Loop: Header=BB95_8 Depth=1
	ds_write_b32 v25, v9
; %bb.12:                               ;   in Loop: Header=BB95_8 Depth=1
	s_or_saveexec_b64 s[2:3], s[2:3]
	v_mov_b32_e32 v0, 0
	s_xor_b64 exec, exec, s[2:3]
	s_cbranch_execz .LBB95_7
; %bb.13:                               ;   in Loop: Header=BB95_8 Depth=1
	global_load_dwordx2 v[2:3], v[12:13], off offset:-4
	s_waitcnt vmcnt(0)
	v_xor_b32_e32 v0, 0x80000000, v3
	ds_write_b32 v25, v2
	s_branch .LBB95_7
.LBB95_14:
	s_load_dwordx2 s[2:3], s[0:1], 0x58
	s_load_dwordx2 s[12:13], s[0:1], 0x48
	s_load_dword s9, s[0:1], 0x50
	v_add_u32_e32 v9, s19, v17
	v_add_u32_e32 v0, s18, v15
	s_waitcnt lgkmcnt(0)
	s_mul_i32 s1, s3, s4
	s_mul_hi_u32 s3, s2, s4
	s_mul_i32 s0, s2, s4
	s_add_i32 s1, s3, s1
	s_lshl_b64 s[0:1], s[0:1], 3
	s_add_u32 s4, s12, s0
	s_addc_u32 s5, s13, s1
	v_cmp_neq_f32_e64 s[0:1], s6, 0
	s_xor_b64 s[12:13], s[16:17], -1
	v_mad_i64_i32 v[2:3], s[14:15], v9, s9, 0
	s_or_b64 s[0:1], s[0:1], s[12:13]
	v_cmp_gt_i32_e64 s[2:3], s8, v9
	v_lshl_add_u64 v[4:5], v[2:3], 3, s[4:5]
	v_cmp_le_i32_e32 vcc, v0, v9
	v_cndmask_b32_e64 v2, 0, 1, s[0:1]
	s_and_b64 s[14:15], s[2:3], vcc
	v_ashrrev_i32_e32 v1, 31, v0
	v_cmp_ne_u32_e64 s[0:1], 1, v2
	s_and_saveexec_b64 s[12:13], s[14:15]
	s_cbranch_execz .LBB95_18
; %bb.15:
	v_pk_mul_f32 v[6:7], v[26:27], s[10:11] op_sel:[0,1] op_sel_hi:[0,0]
	v_pk_fma_f32 v[2:3], v[24:25], s[10:11], v[6:7] op_sel_hi:[0,1,1] neg_lo:[0,0,1] neg_hi:[0,0,1]
	v_pk_fma_f32 v[10:11], v[24:25], s[10:11], v[6:7] op_sel_hi:[0,1,1]
	s_and_b64 vcc, exec, s[0:1]
	v_lshl_add_u64 v[6:7], v[0:1], 3, v[4:5]
	s_cbranch_vccnz .LBB95_17
; %bb.16:
	global_load_dwordx2 v[12:13], v[6:7], off
	s_mov_b32 s14, s7
	v_mov_b32_e32 v3, v11
	s_waitcnt vmcnt(0)
	v_pk_mul_f32 v[10:11], v[12:13], s[14:15] op_sel:[1,0] op_sel_hi:[0,0]
	v_pk_fma_f32 v[24:25], v[12:13], s[6:7], v[10:11] neg_lo:[0,0,1] neg_hi:[0,0,1]
	v_pk_fma_f32 v[10:11], v[12:13], s[6:7], v[10:11] op_sel_hi:[1,0,1]
	s_nop 0
	v_mov_b32_e32 v25, v11
	v_pk_add_f32 v[2:3], v[2:3], v[24:25]
	s_nop 0
	v_mov_b32_e32 v11, v3
.LBB95_17:
	v_mov_b32_e32 v3, v11
	global_store_dwordx2 v[6:7], v[2:3], off
.LBB95_18:
	s_or_b64 exec, exec, s[12:13]
	v_add_u32_e32 v2, 16, v0
	v_cmp_le_i32_e32 vcc, v2, v9
	s_and_b64 s[12:13], s[2:3], vcc
	v_ashrrev_i32_e32 v3, 31, v2
	s_and_saveexec_b64 s[2:3], s[12:13]
	s_cbranch_execz .LBB95_22
; %bb.19:
	v_pk_mul_f32 v[10:11], v[22:23], s[10:11] op_sel:[0,1] op_sel_hi:[0,0]
	v_pk_fma_f32 v[6:7], v[20:21], s[10:11], v[10:11] op_sel_hi:[0,1,1] neg_lo:[0,0,1] neg_hi:[0,0,1]
	v_pk_fma_f32 v[10:11], v[20:21], s[10:11], v[10:11] op_sel_hi:[0,1,1]
	s_and_b64 vcc, exec, s[0:1]
	v_lshl_add_u64 v[4:5], v[2:3], 3, v[4:5]
	s_cbranch_vccnz .LBB95_21
; %bb.20:
	global_load_dwordx2 v[12:13], v[4:5], off
	s_mov_b32 s12, s7
	v_mov_b32_e32 v7, v11
	s_waitcnt vmcnt(0)
	v_pk_mul_f32 v[10:11], v[12:13], s[12:13] op_sel:[1,0] op_sel_hi:[0,0]
	v_pk_fma_f32 v[20:21], v[12:13], s[6:7], v[10:11] neg_lo:[0,0,1] neg_hi:[0,0,1]
	v_pk_fma_f32 v[10:11], v[12:13], s[6:7], v[10:11] op_sel_hi:[1,0,1]
	s_nop 0
	v_mov_b32_e32 v21, v11
	v_pk_add_f32 v[6:7], v[6:7], v[20:21]
	s_nop 0
	v_mov_b32_e32 v11, v7
.LBB95_21:
	v_mov_b32_e32 v7, v11
	global_store_dwordx2 v[4:5], v[6:7], off
.LBB95_22:
	s_or_b64 exec, exec, s[2:3]
	v_add_u32_e32 v9, 16, v9
	v_cmp_gt_i32_e64 s[2:3], s8, v9
	v_mad_i64_i32 v[4:5], s[8:9], v9, s9, 0
	v_cmp_le_i32_e32 vcc, v0, v9
	v_lshl_add_u64 v[4:5], v[4:5], 3, s[4:5]
	s_and_b64 s[8:9], s[2:3], vcc
	s_and_saveexec_b64 s[4:5], s[8:9]
	s_cbranch_execz .LBB95_26
; %bb.23:
	v_pk_mul_f32 v[10:11], v[18:19], s[10:11] op_sel:[0,1] op_sel_hi:[0,0]
	v_pk_fma_f32 v[6:7], v[16:17], s[10:11], v[10:11] op_sel_hi:[0,1,1] neg_lo:[0,0,1] neg_hi:[0,0,1]
	v_pk_fma_f32 v[10:11], v[16:17], s[10:11], v[10:11] op_sel_hi:[0,1,1]
	s_and_b64 vcc, exec, s[0:1]
	v_lshl_add_u64 v[0:1], v[0:1], 3, v[4:5]
	s_cbranch_vccnz .LBB95_25
; %bb.24:
	global_load_dwordx2 v[12:13], v[0:1], off
	s_mov_b32 s8, s7
	v_mov_b32_e32 v7, v11
	s_waitcnt vmcnt(0)
	v_pk_mul_f32 v[10:11], v[12:13], s[8:9] op_sel:[1,0] op_sel_hi:[0,0]
	v_pk_fma_f32 v[16:17], v[12:13], s[6:7], v[10:11] neg_lo:[0,0,1] neg_hi:[0,0,1]
	v_pk_fma_f32 v[10:11], v[12:13], s[6:7], v[10:11] op_sel_hi:[1,0,1]
	s_nop 0
	v_mov_b32_e32 v17, v11
	v_pk_add_f32 v[6:7], v[6:7], v[16:17]
	s_nop 0
	v_mov_b32_e32 v11, v7
.LBB95_25:
	v_mov_b32_e32 v7, v11
	global_store_dwordx2 v[0:1], v[6:7], off
.LBB95_26:
	s_or_b64 exec, exec, s[4:5]
	v_cmp_le_i32_e32 vcc, v2, v9
	s_and_b64 s[2:3], s[2:3], vcc
	s_and_saveexec_b64 s[4:5], s[2:3]
	s_cbranch_execz .LBB95_30
; %bb.27:
	v_pk_mul_f32 v[6:7], v[14:15], s[10:11] op_sel:[0,1] op_sel_hi:[0,0]
	v_pk_fma_f32 v[0:1], v[8:9], s[10:11], v[6:7] op_sel_hi:[0,1,1] neg_lo:[0,0,1] neg_hi:[0,0,1]
	v_pk_fma_f32 v[6:7], v[8:9], s[10:11], v[6:7] op_sel_hi:[0,1,1]
	s_and_b64 vcc, exec, s[0:1]
	v_lshl_add_u64 v[2:3], v[2:3], 3, v[4:5]
	s_cbranch_vccnz .LBB95_29
; %bb.28:
	global_load_dwordx2 v[4:5], v[2:3], off
	s_mov_b32 s0, s7
	v_mov_b32_e32 v1, v7
	s_waitcnt vmcnt(0)
	v_pk_mul_f32 v[6:7], v[4:5], s[0:1] op_sel:[1,0] op_sel_hi:[0,0]
	v_pk_fma_f32 v[8:9], v[4:5], s[6:7], v[6:7] neg_lo:[0,0,1] neg_hi:[0,0,1]
	v_pk_fma_f32 v[4:5], v[4:5], s[6:7], v[6:7] op_sel_hi:[1,0,1]
	s_nop 0
	v_mov_b32_e32 v9, v5
	v_pk_add_f32 v[0:1], v[0:1], v[8:9]
	s_nop 0
	v_mov_b32_e32 v7, v1
.LBB95_29:
	v_mov_b32_e32 v1, v7
	global_store_dwordx2 v[2:3], v[0:1], off
.LBB95_30:
	s_endpgm
	.section	.rodata,"a",@progbits
	.p2align	6, 0x0
	.amdhsa_kernel _ZL29rocblas_internal_gemmt_kernelIiLi16ELi32ELi8ELc84ELc67ELc85ELb0ELb1E19rocblas_complex_numIfES1_PKS1_PS1_EviT_T9_T10_S5_lS7_S5_lS6_T11_S5_li
		.amdhsa_group_segment_fixed_size 4096
		.amdhsa_private_segment_fixed_size 0
		.amdhsa_kernarg_size 100
		.amdhsa_user_sgpr_count 2
		.amdhsa_user_sgpr_dispatch_ptr 0
		.amdhsa_user_sgpr_queue_ptr 0
		.amdhsa_user_sgpr_kernarg_segment_ptr 1
		.amdhsa_user_sgpr_dispatch_id 0
		.amdhsa_user_sgpr_kernarg_preload_length 0
		.amdhsa_user_sgpr_kernarg_preload_offset 0
		.amdhsa_user_sgpr_private_segment_size 0
		.amdhsa_uses_dynamic_stack 0
		.amdhsa_enable_private_segment 0
		.amdhsa_system_sgpr_workgroup_id_x 1
		.amdhsa_system_sgpr_workgroup_id_y 1
		.amdhsa_system_sgpr_workgroup_id_z 1
		.amdhsa_system_sgpr_workgroup_info 0
		.amdhsa_system_vgpr_workitem_id 1
		.amdhsa_next_free_vgpr 54
		.amdhsa_next_free_sgpr 28
		.amdhsa_accum_offset 56
		.amdhsa_reserve_vcc 1
		.amdhsa_float_round_mode_32 0
		.amdhsa_float_round_mode_16_64 0
		.amdhsa_float_denorm_mode_32 3
		.amdhsa_float_denorm_mode_16_64 3
		.amdhsa_dx10_clamp 1
		.amdhsa_ieee_mode 1
		.amdhsa_fp16_overflow 0
		.amdhsa_tg_split 0
		.amdhsa_exception_fp_ieee_invalid_op 0
		.amdhsa_exception_fp_denorm_src 0
		.amdhsa_exception_fp_ieee_div_zero 0
		.amdhsa_exception_fp_ieee_overflow 0
		.amdhsa_exception_fp_ieee_underflow 0
		.amdhsa_exception_fp_ieee_inexact 0
		.amdhsa_exception_int_div_zero 0
	.end_amdhsa_kernel
	.section	.text._ZL29rocblas_internal_gemmt_kernelIiLi16ELi32ELi8ELc84ELc67ELc85ELb0ELb1E19rocblas_complex_numIfES1_PKS1_PS1_EviT_T9_T10_S5_lS7_S5_lS6_T11_S5_li,"axG",@progbits,_ZL29rocblas_internal_gemmt_kernelIiLi16ELi32ELi8ELc84ELc67ELc85ELb0ELb1E19rocblas_complex_numIfES1_PKS1_PS1_EviT_T9_T10_S5_lS7_S5_lS6_T11_S5_li,comdat
.Lfunc_end95:
	.size	_ZL29rocblas_internal_gemmt_kernelIiLi16ELi32ELi8ELc84ELc67ELc85ELb0ELb1E19rocblas_complex_numIfES1_PKS1_PS1_EviT_T9_T10_S5_lS7_S5_lS6_T11_S5_li, .Lfunc_end95-_ZL29rocblas_internal_gemmt_kernelIiLi16ELi32ELi8ELc84ELc67ELc85ELb0ELb1E19rocblas_complex_numIfES1_PKS1_PS1_EviT_T9_T10_S5_lS7_S5_lS6_T11_S5_li
                                        ; -- End function
	.set _ZL29rocblas_internal_gemmt_kernelIiLi16ELi32ELi8ELc84ELc67ELc85ELb0ELb1E19rocblas_complex_numIfES1_PKS1_PS1_EviT_T9_T10_S5_lS7_S5_lS6_T11_S5_li.num_vgpr, 54
	.set _ZL29rocblas_internal_gemmt_kernelIiLi16ELi32ELi8ELc84ELc67ELc85ELb0ELb1E19rocblas_complex_numIfES1_PKS1_PS1_EviT_T9_T10_S5_lS7_S5_lS6_T11_S5_li.num_agpr, 0
	.set _ZL29rocblas_internal_gemmt_kernelIiLi16ELi32ELi8ELc84ELc67ELc85ELb0ELb1E19rocblas_complex_numIfES1_PKS1_PS1_EviT_T9_T10_S5_lS7_S5_lS6_T11_S5_li.numbered_sgpr, 28
	.set _ZL29rocblas_internal_gemmt_kernelIiLi16ELi32ELi8ELc84ELc67ELc85ELb0ELb1E19rocblas_complex_numIfES1_PKS1_PS1_EviT_T9_T10_S5_lS7_S5_lS6_T11_S5_li.num_named_barrier, 0
	.set _ZL29rocblas_internal_gemmt_kernelIiLi16ELi32ELi8ELc84ELc67ELc85ELb0ELb1E19rocblas_complex_numIfES1_PKS1_PS1_EviT_T9_T10_S5_lS7_S5_lS6_T11_S5_li.private_seg_size, 0
	.set _ZL29rocblas_internal_gemmt_kernelIiLi16ELi32ELi8ELc84ELc67ELc85ELb0ELb1E19rocblas_complex_numIfES1_PKS1_PS1_EviT_T9_T10_S5_lS7_S5_lS6_T11_S5_li.uses_vcc, 1
	.set _ZL29rocblas_internal_gemmt_kernelIiLi16ELi32ELi8ELc84ELc67ELc85ELb0ELb1E19rocblas_complex_numIfES1_PKS1_PS1_EviT_T9_T10_S5_lS7_S5_lS6_T11_S5_li.uses_flat_scratch, 0
	.set _ZL29rocblas_internal_gemmt_kernelIiLi16ELi32ELi8ELc84ELc67ELc85ELb0ELb1E19rocblas_complex_numIfES1_PKS1_PS1_EviT_T9_T10_S5_lS7_S5_lS6_T11_S5_li.has_dyn_sized_stack, 0
	.set _ZL29rocblas_internal_gemmt_kernelIiLi16ELi32ELi8ELc84ELc67ELc85ELb0ELb1E19rocblas_complex_numIfES1_PKS1_PS1_EviT_T9_T10_S5_lS7_S5_lS6_T11_S5_li.has_recursion, 0
	.set _ZL29rocblas_internal_gemmt_kernelIiLi16ELi32ELi8ELc84ELc67ELc85ELb0ELb1E19rocblas_complex_numIfES1_PKS1_PS1_EviT_T9_T10_S5_lS7_S5_lS6_T11_S5_li.has_indirect_call, 0
	.section	.AMDGPU.csdata,"",@progbits
; Kernel info:
; codeLenInByte = 2500
; TotalNumSgprs: 34
; NumVgprs: 54
; NumAgprs: 0
; TotalNumVgprs: 54
; ScratchSize: 0
; MemoryBound: 0
; FloatMode: 240
; IeeeMode: 1
; LDSByteSize: 4096 bytes/workgroup (compile time only)
; SGPRBlocks: 4
; VGPRBlocks: 6
; NumSGPRsForWavesPerEU: 34
; NumVGPRsForWavesPerEU: 54
; AccumOffset: 56
; Occupancy: 8
; WaveLimiterHint : 0
; COMPUTE_PGM_RSRC2:SCRATCH_EN: 0
; COMPUTE_PGM_RSRC2:USER_SGPR: 2
; COMPUTE_PGM_RSRC2:TRAP_HANDLER: 0
; COMPUTE_PGM_RSRC2:TGID_X_EN: 1
; COMPUTE_PGM_RSRC2:TGID_Y_EN: 1
; COMPUTE_PGM_RSRC2:TGID_Z_EN: 1
; COMPUTE_PGM_RSRC2:TIDIG_COMP_CNT: 1
; COMPUTE_PGM_RSRC3_GFX90A:ACCUM_OFFSET: 13
; COMPUTE_PGM_RSRC3_GFX90A:TG_SPLIT: 0
	.section	.text._ZL29rocblas_internal_gemmt_kernelIiLi16ELi32ELi8ELc67ELc78ELc85ELb1ELb0E19rocblas_complex_numIfES1_PKS1_PS1_EviT_T9_T10_S5_lS7_S5_lS6_T11_S5_li,"axG",@progbits,_ZL29rocblas_internal_gemmt_kernelIiLi16ELi32ELi8ELc67ELc78ELc85ELb1ELb0E19rocblas_complex_numIfES1_PKS1_PS1_EviT_T9_T10_S5_lS7_S5_lS6_T11_S5_li,comdat
	.globl	_ZL29rocblas_internal_gemmt_kernelIiLi16ELi32ELi8ELc67ELc78ELc85ELb1ELb0E19rocblas_complex_numIfES1_PKS1_PS1_EviT_T9_T10_S5_lS7_S5_lS6_T11_S5_li ; -- Begin function _ZL29rocblas_internal_gemmt_kernelIiLi16ELi32ELi8ELc67ELc78ELc85ELb1ELb0E19rocblas_complex_numIfES1_PKS1_PS1_EviT_T9_T10_S5_lS7_S5_lS6_T11_S5_li
	.p2align	8
	.type	_ZL29rocblas_internal_gemmt_kernelIiLi16ELi32ELi8ELc67ELc78ELc85ELb1ELb0E19rocblas_complex_numIfES1_PKS1_PS1_EviT_T9_T10_S5_lS7_S5_lS6_T11_S5_li,@function
_ZL29rocblas_internal_gemmt_kernelIiLi16ELi32ELi8ELc67ELc78ELc85ELb1ELb0E19rocblas_complex_numIfES1_PKS1_PS1_EviT_T9_T10_S5_lS7_S5_lS6_T11_S5_li: ; @_ZL29rocblas_internal_gemmt_kernelIiLi16ELi32ELi8ELc67ELc78ELc85ELb1ELb0E19rocblas_complex_numIfES1_PKS1_PS1_EviT_T9_T10_S5_lS7_S5_lS6_T11_S5_li
; %bb.0:
	s_load_dwordx2 s[6:7], s[0:1], 0x40
	s_load_dwordx4 s[8:11], s[0:1], 0x0
	s_waitcnt lgkmcnt(0)
	s_and_b32 s5, s7, 0x7fffffff
	s_cmp_eq_u32 s5, 0
	v_cmp_eq_f32_e64 s[12:13], s6, 1.0
	s_cselect_b64 s[16:17], -1, 0
	s_and_b64 s[12:13], s[12:13], s[16:17]
	s_and_b64 vcc, exec, s[12:13]
	s_cbranch_vccnz .LBB96_2
; %bb.1:
	s_mov_b64 s[12:13], -1
	s_cbranch_execz .LBB96_3
	s_branch .LBB96_4
.LBB96_2:
	s_mov_b64 s[12:13], 0
.LBB96_3:
	s_cmp_lg_u32 s9, 0
	v_cmp_neq_f32_e64 s[14:15], s10, 0
	v_cmp_neq_f32_e64 s[18:19], s11, 0
	s_cselect_b64 s[12:13], -1, 0
	s_or_b64 s[14:15], s[14:15], s[18:19]
	s_and_b64 s[12:13], s[12:13], s[14:15]
.LBB96_4:
	s_andn2_b64 vcc, exec, s[12:13]
	s_cbranch_vccnz .LBB96_30
; %bb.5:
	s_lshl_b32 s18, s2, 5
	s_lshl_b32 s19, s3, 5
	v_cmp_eq_f32_e64 s[2:3], s10, 0
	v_cmp_eq_f32_e64 s[12:13], s11, 0
	s_and_b64 s[2:3], s[2:3], s[12:13]
	s_cmp_lt_i32 s9, 1
	s_cselect_b64 s[12:13], -1, 0
	s_or_b64 s[2:3], s[2:3], s[12:13]
	v_and_b32_e32 v15, 0x3ff, v0
	v_bfe_u32 v17, v0, 10, 10
	s_mov_b32 s5, 0
	v_mov_b32_e32 v24, 0
	s_and_b64 vcc, exec, s[2:3]
	v_mov_b32_e32 v26, 0
	v_mov_b32_e32 v20, 0
	;; [unrolled: 1-line block ×7, first 2 shown]
	s_cbranch_vccnz .LBB96_14
; %bb.6:
	v_lshl_add_u32 v0, v17, 4, v15
	v_and_b32_e32 v2, 31, v0
	v_lshrrev_b32_e32 v21, 5, v0
	v_lshrrev_b32_e32 v1, 3, v0
	v_or_b32_e32 v0, s18, v2
	v_and_b32_e32 v19, 7, v15
	v_cmp_gt_i32_e64 s[2:3], s8, v0
	v_lshlrev_b32_e32 v0, 3, v2
	v_lshl_or_b32 v23, v21, 8, v0
	v_lshlrev_b32_e32 v0, 3, v19
	v_add_u32_e32 v4, s19, v1
	v_lshl_or_b32 v1, v1, 6, v0
	s_load_dwordx2 s[20:21], s[0:1], 0x10
	s_load_dword s24, s[0:1], 0x18
	s_load_dwordx4 s[12:15], s[0:1], 0x20
	s_load_dword s26, s[0:1], 0x30
	s_load_dwordx2 s[22:23], s[0:1], 0x38
	v_add_u32_e32 v25, 0x800, v1
	v_mov_b32_e32 v1, 0x800
	v_lshl_add_u32 v28, v17, 6, v1
	v_add_u32_e32 v1, s18, v2
	s_waitcnt lgkmcnt(0)
	v_mad_i64_i32 v[2:3], s[24:25], s24, v1, 0
	s_mul_i32 s13, s13, s4
	s_mul_hi_u32 s24, s12, s4
	s_add_i32 s13, s24, s13
	s_mul_i32 s12, s12, s4
	s_lshl_b64 s[12:13], s[12:13], 3
	v_lshl_add_u64 v[2:3], v[2:3], 3, s[12:13]
	v_lshlrev_b32_e32 v8, 3, v21
	v_mov_b32_e32 v9, 0
	v_lshl_add_u64 v[2:3], v[2:3], 0, v[8:9]
	v_lshl_add_u64 v[2:3], s[20:21], 0, v[2:3]
	;; [unrolled: 1-line block ×3, first 2 shown]
	v_mad_i64_i32 v[2:3], s[12:13], s26, v4, 0
	s_mul_i32 s12, s23, s4
	s_mul_hi_u32 s13, s22, s4
	s_add_i32 s13, s13, s12
	s_mul_i32 s12, s22, s4
	s_lshl_b64 s[12:13], s[12:13], 3
	v_lshl_add_u64 v[2:3], v[2:3], 3, s[12:13]
	v_mov_b32_e32 v1, v9
	v_lshl_add_u64 v[0:1], v[2:3], 0, v[0:1]
	v_cmp_gt_i32_e32 vcc, s8, v4
	v_lshlrev_b32_e32 v27, 3, v15
	v_lshl_add_u64 v[12:13], s[14:15], 0, v[0:1]
	s_xor_b64 s[12:13], s[2:3], -1
	v_mov_b32_e32 v14, 0
	v_mov_b32_e32 v8, 0
	;; [unrolled: 1-line block ×8, first 2 shown]
	s_branch .LBB96_8
.LBB96_7:                               ;   in Loop: Header=BB96_8 Depth=1
	s_or_b64 exec, exec, s[2:3]
	s_waitcnt vmcnt(0)
	ds_write_b64 v25, v[2:3]
	s_waitcnt lgkmcnt(0)
	s_barrier
	ds_read2_b64 v[30:33], v27 offset1:16
	ds_read_b128 v[34:37], v28
	ds_read_b128 v[38:41], v28 offset:16
	ds_read_b128 v[4:7], v28 offset:32
	;; [unrolled: 1-line block ×3, first 2 shown]
	ds_read2_b64 v[50:53], v27 offset0:32 offset1:48
	s_waitcnt lgkmcnt(4)
	v_mul_f32_e32 v42, v34, v31
	v_fmac_f32_e32 v42, v35, v30
	v_add_f32_e32 v26, v26, v42
	ds_read_b128 v[42:45], v28 offset:1024
	ds_read_b128 v[46:49], v28 offset:1040
	v_mul_f32_e32 v29, v35, v31
	v_fma_f32 v29, v34, v30, -v29
	v_add_f32_e32 v24, v24, v29
	v_mul_f32_e32 v29, v35, v33
	v_fma_f32 v29, v34, v32, -v29
	v_add_f32_e32 v20, v20, v29
	s_waitcnt lgkmcnt(1)
	v_mul_f32_e32 v29, v43, v31
	v_mul_f32_e32 v31, v42, v31
	v_fma_f32 v29, v42, v30, -v29
	v_fmac_f32_e32 v31, v43, v30
	v_mul_f32_e32 v30, v42, v33
	v_fmac_f32_e32 v30, v43, v32
	v_add_f32_e32 v14, v14, v30
	v_mul_f32_e32 v30, v36, v51
	v_mul_f32_e32 v34, v34, v33
	v_fmac_f32_e32 v30, v37, v50
	v_fmac_f32_e32 v34, v35, v32
	v_add_f32_e32 v26, v26, v30
	v_mul_f32_e32 v30, v36, v53
	v_add_f32_e32 v22, v22, v34
	v_add_f32_e32 v16, v16, v29
	v_mul_f32_e32 v29, v43, v33
	v_fmac_f32_e32 v30, v37, v52
	v_fma_f32 v29, v42, v32, -v29
	v_add_f32_e32 v22, v22, v30
	v_mul_f32_e32 v30, v44, v51
	v_add_f32_e32 v18, v18, v31
	v_add_f32_e32 v8, v8, v29
	v_mul_f32_e32 v29, v37, v51
	v_fmac_f32_e32 v30, v45, v50
	v_fma_f32 v29, v36, v50, -v29
	v_add_f32_e32 v18, v18, v30
	ds_read2_b64 v[30:33], v27 offset0:64 offset1:80
	v_add_f32_e32 v24, v24, v29
	v_mul_f32_e32 v29, v37, v53
	v_fma_f32 v29, v36, v52, -v29
	v_add_f32_e32 v20, v20, v29
	v_mul_f32_e32 v29, v45, v51
	v_mul_f32_e32 v34, v44, v53
	v_fma_f32 v29, v44, v50, -v29
	v_fmac_f32_e32 v34, v45, v52
	v_add_f32_e32 v16, v16, v29
	v_mul_f32_e32 v29, v45, v53
	v_add_f32_e32 v14, v14, v34
	s_waitcnt lgkmcnt(0)
	v_mul_f32_e32 v34, v38, v31
	v_fma_f32 v29, v44, v52, -v29
	v_fmac_f32_e32 v34, v39, v30
	v_add_f32_e32 v8, v8, v29
	v_mul_f32_e32 v29, v39, v31
	v_add_f32_e32 v26, v26, v34
	v_mul_f32_e32 v34, v38, v33
	v_fma_f32 v29, v38, v30, -v29
	v_fmac_f32_e32 v34, v39, v32
	v_add_f32_e32 v24, v24, v29
	v_mul_f32_e32 v29, v39, v33
	v_add_f32_e32 v22, v22, v34
	ds_read2_b64 v[34:37], v27 offset0:96 offset1:112
	v_fma_f32 v29, v38, v32, -v29
	v_add_f32_e32 v20, v20, v29
	v_mul_f32_e32 v29, v47, v31
	v_mul_f32_e32 v31, v46, v31
	v_fma_f32 v29, v46, v30, -v29
	v_fmac_f32_e32 v31, v47, v30
	v_mul_f32_e32 v30, v46, v33
	v_fmac_f32_e32 v30, v47, v32
	v_add_f32_e32 v14, v14, v30
	s_waitcnt lgkmcnt(0)
	v_mul_f32_e32 v30, v40, v35
	v_fmac_f32_e32 v30, v41, v34
	v_add_f32_e32 v16, v16, v29
	v_mul_f32_e32 v29, v47, v33
	v_add_f32_e32 v26, v26, v30
	v_mul_f32_e32 v30, v40, v37
	v_fma_f32 v29, v46, v32, -v29
	v_fmac_f32_e32 v30, v41, v36
	v_add_f32_e32 v8, v8, v29
	v_mul_f32_e32 v29, v41, v35
	v_add_f32_e32 v22, v22, v30
	v_mul_f32_e32 v30, v48, v35
	v_add_f32_e32 v18, v18, v31
	v_fma_f32 v29, v40, v34, -v29
	v_fmac_f32_e32 v30, v49, v34
	v_add_f32_e32 v24, v24, v29
	v_mul_f32_e32 v29, v41, v37
	v_add_f32_e32 v18, v18, v30
	ds_read2_b64 v[30:33], v27 offset0:128 offset1:144
	v_fma_f32 v29, v40, v36, -v29
	v_add_f32_e32 v20, v20, v29
	v_mul_f32_e32 v29, v49, v35
	v_fma_f32 v29, v48, v34, -v29
	v_mul_f32_e32 v34, v48, v37
	v_fmac_f32_e32 v34, v49, v36
	v_add_f32_e32 v14, v14, v34
	s_waitcnt lgkmcnt(0)
	v_mul_f32_e32 v34, v4, v31
	v_add_f32_e32 v16, v16, v29
	v_mul_f32_e32 v29, v49, v37
	v_fmac_f32_e32 v34, v5, v30
	v_fma_f32 v29, v48, v36, -v29
	v_add_f32_e32 v26, v26, v34
	ds_read_b128 v[34:37], v28 offset:1056
	ds_read_b128 v[38:41], v28 offset:1072
	v_add_f32_e32 v8, v8, v29
	v_mul_f32_e32 v29, v5, v31
	v_fma_f32 v29, v4, v30, -v29
	v_add_f32_e32 v24, v24, v29
	v_mul_f32_e32 v29, v5, v33
	v_fma_f32 v29, v4, v32, -v29
	v_mul_f32_e32 v4, v4, v33
	ds_read2_b64 v[42:45], v27 offset0:160 offset1:176
	v_fmac_f32_e32 v4, v5, v32
	v_add_f32_e32 v5, v20, v29
	s_waitcnt lgkmcnt(2)
	v_mul_f32_e32 v20, v35, v31
	v_fma_f32 v20, v34, v30, -v20
	v_add_f32_e32 v16, v16, v20
	v_mul_f32_e32 v20, v35, v33
	v_add_f32_e32 v4, v22, v4
	v_mul_f32_e32 v22, v34, v31
	v_fma_f32 v20, v34, v32, -v20
	v_fmac_f32_e32 v22, v35, v30
	v_add_f32_e32 v8, v8, v20
	s_waitcnt lgkmcnt(0)
	v_mul_f32_e32 v20, v7, v43
	v_add_f32_e32 v18, v18, v22
	v_mul_f32_e32 v22, v34, v33
	v_fma_f32 v20, v6, v42, -v20
	v_fmac_f32_e32 v22, v35, v32
	v_add_f32_e32 v20, v24, v20
	v_mul_f32_e32 v24, v7, v45
	v_add_f32_e32 v14, v14, v22
	v_mul_f32_e32 v22, v6, v43
	v_fma_f32 v24, v6, v44, -v24
	v_mul_f32_e32 v6, v6, v45
	v_fmac_f32_e32 v22, v7, v42
	v_fmac_f32_e32 v6, v7, v44
	v_add_f32_e32 v22, v26, v22
	v_add_f32_e32 v26, v4, v6
	v_mul_f32_e32 v4, v37, v43
	v_add_f32_e32 v24, v5, v24
	v_fma_f32 v4, v36, v42, -v4
	v_mul_f32_e32 v5, v36, v43
	v_fmac_f32_e32 v5, v37, v42
	v_add_f32_e32 v16, v16, v4
	v_mul_f32_e32 v4, v37, v45
	v_add_f32_e32 v18, v18, v5
	v_fma_f32 v29, v36, v44, -v4
	ds_read2_b64 v[4:7], v27 offset0:192 offset1:208
	v_mul_f32_e32 v30, v36, v45
	v_fmac_f32_e32 v30, v37, v44
	v_add_f32_e32 v8, v8, v29
	v_add_f32_e32 v14, v14, v30
	s_waitcnt lgkmcnt(0)
	v_mul_f32_e32 v29, v1, v5
	v_fma_f32 v29, v0, v4, -v29
	v_mul_f32_e32 v30, v0, v5
	v_fmac_f32_e32 v30, v1, v4
	v_add_f32_e32 v20, v20, v29
	v_mul_f32_e32 v29, v1, v7
	v_add_f32_e32 v22, v22, v30
	v_fma_f32 v29, v0, v6, -v29
	v_mul_f32_e32 v0, v0, v7
	ds_read2_b64 v[30:33], v27 offset0:224 offset1:240
	v_fmac_f32_e32 v0, v1, v6
	v_add_f32_e32 v1, v24, v29
	v_mul_f32_e32 v24, v39, v5
	v_fma_f32 v24, v38, v4, -v24
	v_mul_f32_e32 v5, v38, v5
	v_fmac_f32_e32 v5, v39, v4
	v_add_f32_e32 v4, v16, v24
	v_mul_f32_e32 v16, v39, v7
	v_fma_f32 v16, v38, v6, -v16
	v_mul_f32_e32 v7, v38, v7
	v_fmac_f32_e32 v7, v39, v6
	v_add_f32_e32 v6, v8, v16
	s_waitcnt lgkmcnt(0)
	v_mul_f32_e32 v8, v3, v31
	v_fma_f32 v8, v2, v30, -v8
	v_add_f32_e32 v24, v20, v8
	v_mul_f32_e32 v8, v3, v33
	v_add_f32_e32 v7, v14, v7
	v_mul_f32_e32 v14, v2, v31
	v_fma_f32 v8, v2, v32, -v8
	v_mul_f32_e32 v2, v2, v33
	v_add_f32_e32 v0, v26, v0
	v_fmac_f32_e32 v14, v3, v30
	v_fmac_f32_e32 v2, v3, v32
	v_add_f32_e32 v26, v22, v14
	v_add_f32_e32 v20, v1, v8
	;; [unrolled: 1-line block ×3, first 2 shown]
	v_mul_f32_e32 v0, v41, v31
	v_mul_f32_e32 v1, v40, v31
	v_add_f32_e32 v5, v18, v5
	v_fma_f32 v0, v40, v30, -v0
	v_fmac_f32_e32 v1, v41, v30
	v_add_f32_e32 v16, v4, v0
	v_add_f32_e32 v18, v5, v1
	v_mul_f32_e32 v0, v41, v33
	v_mul_f32_e32 v1, v40, v33
	v_fma_f32 v0, v40, v32, -v0
	v_fmac_f32_e32 v1, v41, v32
	s_add_i32 s5, s5, 8
	v_add_f32_e32 v8, v6, v0
	v_add_f32_e32 v14, v7, v1
	v_lshl_add_u64 v[10:11], v[10:11], 0, 64
	s_cmp_lt_i32 s5, s9
	v_lshl_add_u64 v[12:13], v[12:13], 0, 64
	s_barrier
	s_cbranch_scc0 .LBB96_14
.LBB96_8:                               ; =>This Inner Loop Header: Depth=1
	v_add_u32_e32 v0, s5, v21
	v_cmp_le_i32_e64 s[2:3], s9, v0
	s_or_b64 s[2:3], s[12:13], s[2:3]
	s_and_saveexec_b64 s[14:15], s[2:3]
	s_xor_b64 s[2:3], exec, s[14:15]
; %bb.9:                                ;   in Loop: Header=BB96_8 Depth=1
	ds_write_b32 v23, v9
; %bb.10:                               ;   in Loop: Header=BB96_8 Depth=1
	s_or_saveexec_b64 s[2:3], s[2:3]
	v_mov_b32_e32 v2, 0
	v_mov_b32_e32 v0, 0
	s_xor_b64 exec, exec, s[2:3]
	s_cbranch_execz .LBB96_12
; %bb.11:                               ;   in Loop: Header=BB96_8 Depth=1
	global_load_dwordx2 v[4:5], v[10:11], off offset:-4
	s_waitcnt vmcnt(0)
	v_xor_b32_e32 v0, 0x80000000, v5
	ds_write_b32 v23, v4
.LBB96_12:                              ;   in Loop: Header=BB96_8 Depth=1
	s_or_b64 exec, exec, s[2:3]
	ds_write_b32 v23, v0 offset:4
	v_add_u32_e32 v0, s5, v19
	v_cmp_gt_i32_e64 s[2:3], s9, v0
	s_and_b64 s[14:15], s[2:3], vcc
	v_mov_b32_e32 v3, 0
	s_and_saveexec_b64 s[2:3], s[14:15]
	s_cbranch_execz .LBB96_7
; %bb.13:                               ;   in Loop: Header=BB96_8 Depth=1
	global_load_dwordx2 v[2:3], v[12:13], off
	s_branch .LBB96_7
.LBB96_14:
	s_load_dwordx2 s[2:3], s[0:1], 0x58
	s_load_dwordx2 s[12:13], s[0:1], 0x48
	s_load_dword s9, s[0:1], 0x50
	v_add_u32_e32 v9, s19, v17
	v_add_u32_e32 v0, s18, v15
	s_waitcnt lgkmcnt(0)
	s_mul_i32 s1, s3, s4
	s_mul_hi_u32 s3, s2, s4
	s_mul_i32 s0, s2, s4
	s_add_i32 s1, s3, s1
	s_lshl_b64 s[0:1], s[0:1], 3
	s_add_u32 s4, s12, s0
	s_addc_u32 s5, s13, s1
	v_cmp_neq_f32_e64 s[0:1], s6, 0
	s_xor_b64 s[12:13], s[16:17], -1
	v_mad_i64_i32 v[2:3], s[14:15], v9, s9, 0
	s_or_b64 s[0:1], s[0:1], s[12:13]
	v_cmp_gt_i32_e64 s[2:3], s8, v9
	v_lshl_add_u64 v[4:5], v[2:3], 3, s[4:5]
	v_cmp_le_i32_e32 vcc, v0, v9
	v_cndmask_b32_e64 v2, 0, 1, s[0:1]
	s_and_b64 s[14:15], s[2:3], vcc
	v_ashrrev_i32_e32 v1, 31, v0
	v_cmp_ne_u32_e64 s[0:1], 1, v2
	s_and_saveexec_b64 s[12:13], s[14:15]
	s_cbranch_execz .LBB96_18
; %bb.15:
	v_pk_mul_f32 v[6:7], v[26:27], s[10:11] op_sel:[0,1] op_sel_hi:[0,0]
	v_pk_fma_f32 v[2:3], v[24:25], s[10:11], v[6:7] op_sel_hi:[0,1,1] neg_lo:[0,0,1] neg_hi:[0,0,1]
	v_pk_fma_f32 v[10:11], v[24:25], s[10:11], v[6:7] op_sel_hi:[0,1,1]
	s_and_b64 vcc, exec, s[0:1]
	v_lshl_add_u64 v[6:7], v[0:1], 3, v[4:5]
	s_cbranch_vccnz .LBB96_17
; %bb.16:
	global_load_dwordx2 v[12:13], v[6:7], off
	s_mov_b32 s14, s7
	v_mov_b32_e32 v3, v11
	s_waitcnt vmcnt(0)
	v_pk_mul_f32 v[10:11], v[12:13], s[14:15] op_sel:[1,0] op_sel_hi:[0,0]
	v_pk_fma_f32 v[24:25], v[12:13], s[6:7], v[10:11] neg_lo:[0,0,1] neg_hi:[0,0,1]
	v_pk_fma_f32 v[10:11], v[12:13], s[6:7], v[10:11] op_sel_hi:[1,0,1]
	s_nop 0
	v_mov_b32_e32 v25, v11
	v_pk_add_f32 v[2:3], v[2:3], v[24:25]
	s_nop 0
	v_mov_b32_e32 v11, v3
.LBB96_17:
	v_mov_b32_e32 v3, v11
	global_store_dwordx2 v[6:7], v[2:3], off
.LBB96_18:
	s_or_b64 exec, exec, s[12:13]
	v_add_u32_e32 v2, 16, v0
	v_cmp_le_i32_e32 vcc, v2, v9
	s_and_b64 s[12:13], s[2:3], vcc
	v_ashrrev_i32_e32 v3, 31, v2
	s_and_saveexec_b64 s[2:3], s[12:13]
	s_cbranch_execz .LBB96_22
; %bb.19:
	v_pk_mul_f32 v[10:11], v[22:23], s[10:11] op_sel:[0,1] op_sel_hi:[0,0]
	v_pk_fma_f32 v[6:7], v[20:21], s[10:11], v[10:11] op_sel_hi:[0,1,1] neg_lo:[0,0,1] neg_hi:[0,0,1]
	v_pk_fma_f32 v[10:11], v[20:21], s[10:11], v[10:11] op_sel_hi:[0,1,1]
	s_and_b64 vcc, exec, s[0:1]
	v_lshl_add_u64 v[4:5], v[2:3], 3, v[4:5]
	s_cbranch_vccnz .LBB96_21
; %bb.20:
	global_load_dwordx2 v[12:13], v[4:5], off
	s_mov_b32 s12, s7
	v_mov_b32_e32 v7, v11
	s_waitcnt vmcnt(0)
	v_pk_mul_f32 v[10:11], v[12:13], s[12:13] op_sel:[1,0] op_sel_hi:[0,0]
	v_pk_fma_f32 v[20:21], v[12:13], s[6:7], v[10:11] neg_lo:[0,0,1] neg_hi:[0,0,1]
	v_pk_fma_f32 v[10:11], v[12:13], s[6:7], v[10:11] op_sel_hi:[1,0,1]
	s_nop 0
	v_mov_b32_e32 v21, v11
	v_pk_add_f32 v[6:7], v[6:7], v[20:21]
	s_nop 0
	v_mov_b32_e32 v11, v7
.LBB96_21:
	v_mov_b32_e32 v7, v11
	global_store_dwordx2 v[4:5], v[6:7], off
.LBB96_22:
	s_or_b64 exec, exec, s[2:3]
	v_add_u32_e32 v9, 16, v9
	v_cmp_gt_i32_e64 s[2:3], s8, v9
	v_mad_i64_i32 v[4:5], s[8:9], v9, s9, 0
	v_cmp_le_i32_e32 vcc, v0, v9
	v_lshl_add_u64 v[4:5], v[4:5], 3, s[4:5]
	s_and_b64 s[8:9], s[2:3], vcc
	s_and_saveexec_b64 s[4:5], s[8:9]
	s_cbranch_execz .LBB96_26
; %bb.23:
	v_pk_mul_f32 v[10:11], v[18:19], s[10:11] op_sel:[0,1] op_sel_hi:[0,0]
	v_pk_fma_f32 v[6:7], v[16:17], s[10:11], v[10:11] op_sel_hi:[0,1,1] neg_lo:[0,0,1] neg_hi:[0,0,1]
	v_pk_fma_f32 v[10:11], v[16:17], s[10:11], v[10:11] op_sel_hi:[0,1,1]
	s_and_b64 vcc, exec, s[0:1]
	v_lshl_add_u64 v[0:1], v[0:1], 3, v[4:5]
	s_cbranch_vccnz .LBB96_25
; %bb.24:
	global_load_dwordx2 v[12:13], v[0:1], off
	s_mov_b32 s8, s7
	v_mov_b32_e32 v7, v11
	s_waitcnt vmcnt(0)
	v_pk_mul_f32 v[10:11], v[12:13], s[8:9] op_sel:[1,0] op_sel_hi:[0,0]
	v_pk_fma_f32 v[16:17], v[12:13], s[6:7], v[10:11] neg_lo:[0,0,1] neg_hi:[0,0,1]
	v_pk_fma_f32 v[10:11], v[12:13], s[6:7], v[10:11] op_sel_hi:[1,0,1]
	s_nop 0
	v_mov_b32_e32 v17, v11
	v_pk_add_f32 v[6:7], v[6:7], v[16:17]
	s_nop 0
	v_mov_b32_e32 v11, v7
.LBB96_25:
	v_mov_b32_e32 v7, v11
	global_store_dwordx2 v[0:1], v[6:7], off
.LBB96_26:
	s_or_b64 exec, exec, s[4:5]
	v_cmp_le_i32_e32 vcc, v2, v9
	s_and_b64 s[2:3], s[2:3], vcc
	s_and_saveexec_b64 s[4:5], s[2:3]
	s_cbranch_execz .LBB96_30
; %bb.27:
	v_pk_mul_f32 v[6:7], v[14:15], s[10:11] op_sel:[0,1] op_sel_hi:[0,0]
	v_pk_fma_f32 v[0:1], v[8:9], s[10:11], v[6:7] op_sel_hi:[0,1,1] neg_lo:[0,0,1] neg_hi:[0,0,1]
	v_pk_fma_f32 v[6:7], v[8:9], s[10:11], v[6:7] op_sel_hi:[0,1,1]
	s_and_b64 vcc, exec, s[0:1]
	v_lshl_add_u64 v[2:3], v[2:3], 3, v[4:5]
	s_cbranch_vccnz .LBB96_29
; %bb.28:
	global_load_dwordx2 v[4:5], v[2:3], off
	s_mov_b32 s0, s7
	v_mov_b32_e32 v1, v7
	s_waitcnt vmcnt(0)
	v_pk_mul_f32 v[6:7], v[4:5], s[0:1] op_sel:[1,0] op_sel_hi:[0,0]
	v_pk_fma_f32 v[8:9], v[4:5], s[6:7], v[6:7] neg_lo:[0,0,1] neg_hi:[0,0,1]
	v_pk_fma_f32 v[4:5], v[4:5], s[6:7], v[6:7] op_sel_hi:[1,0,1]
	s_nop 0
	v_mov_b32_e32 v9, v5
	v_pk_add_f32 v[0:1], v[0:1], v[8:9]
	s_nop 0
	v_mov_b32_e32 v7, v1
.LBB96_29:
	v_mov_b32_e32 v1, v7
	global_store_dwordx2 v[2:3], v[0:1], off
.LBB96_30:
	s_endpgm
	.section	.rodata,"a",@progbits
	.p2align	6, 0x0
	.amdhsa_kernel _ZL29rocblas_internal_gemmt_kernelIiLi16ELi32ELi8ELc67ELc78ELc85ELb1ELb0E19rocblas_complex_numIfES1_PKS1_PS1_EviT_T9_T10_S5_lS7_S5_lS6_T11_S5_li
		.amdhsa_group_segment_fixed_size 4096
		.amdhsa_private_segment_fixed_size 0
		.amdhsa_kernarg_size 100
		.amdhsa_user_sgpr_count 2
		.amdhsa_user_sgpr_dispatch_ptr 0
		.amdhsa_user_sgpr_queue_ptr 0
		.amdhsa_user_sgpr_kernarg_segment_ptr 1
		.amdhsa_user_sgpr_dispatch_id 0
		.amdhsa_user_sgpr_kernarg_preload_length 0
		.amdhsa_user_sgpr_kernarg_preload_offset 0
		.amdhsa_user_sgpr_private_segment_size 0
		.amdhsa_uses_dynamic_stack 0
		.amdhsa_enable_private_segment 0
		.amdhsa_system_sgpr_workgroup_id_x 1
		.amdhsa_system_sgpr_workgroup_id_y 1
		.amdhsa_system_sgpr_workgroup_id_z 1
		.amdhsa_system_sgpr_workgroup_info 0
		.amdhsa_system_vgpr_workitem_id 1
		.amdhsa_next_free_vgpr 54
		.amdhsa_next_free_sgpr 27
		.amdhsa_accum_offset 56
		.amdhsa_reserve_vcc 1
		.amdhsa_float_round_mode_32 0
		.amdhsa_float_round_mode_16_64 0
		.amdhsa_float_denorm_mode_32 3
		.amdhsa_float_denorm_mode_16_64 3
		.amdhsa_dx10_clamp 1
		.amdhsa_ieee_mode 1
		.amdhsa_fp16_overflow 0
		.amdhsa_tg_split 0
		.amdhsa_exception_fp_ieee_invalid_op 0
		.amdhsa_exception_fp_denorm_src 0
		.amdhsa_exception_fp_ieee_div_zero 0
		.amdhsa_exception_fp_ieee_overflow 0
		.amdhsa_exception_fp_ieee_underflow 0
		.amdhsa_exception_fp_ieee_inexact 0
		.amdhsa_exception_int_div_zero 0
	.end_amdhsa_kernel
	.section	.text._ZL29rocblas_internal_gemmt_kernelIiLi16ELi32ELi8ELc67ELc78ELc85ELb1ELb0E19rocblas_complex_numIfES1_PKS1_PS1_EviT_T9_T10_S5_lS7_S5_lS6_T11_S5_li,"axG",@progbits,_ZL29rocblas_internal_gemmt_kernelIiLi16ELi32ELi8ELc67ELc78ELc85ELb1ELb0E19rocblas_complex_numIfES1_PKS1_PS1_EviT_T9_T10_S5_lS7_S5_lS6_T11_S5_li,comdat
.Lfunc_end96:
	.size	_ZL29rocblas_internal_gemmt_kernelIiLi16ELi32ELi8ELc67ELc78ELc85ELb1ELb0E19rocblas_complex_numIfES1_PKS1_PS1_EviT_T9_T10_S5_lS7_S5_lS6_T11_S5_li, .Lfunc_end96-_ZL29rocblas_internal_gemmt_kernelIiLi16ELi32ELi8ELc67ELc78ELc85ELb1ELb0E19rocblas_complex_numIfES1_PKS1_PS1_EviT_T9_T10_S5_lS7_S5_lS6_T11_S5_li
                                        ; -- End function
	.set _ZL29rocblas_internal_gemmt_kernelIiLi16ELi32ELi8ELc67ELc78ELc85ELb1ELb0E19rocblas_complex_numIfES1_PKS1_PS1_EviT_T9_T10_S5_lS7_S5_lS6_T11_S5_li.num_vgpr, 54
	.set _ZL29rocblas_internal_gemmt_kernelIiLi16ELi32ELi8ELc67ELc78ELc85ELb1ELb0E19rocblas_complex_numIfES1_PKS1_PS1_EviT_T9_T10_S5_lS7_S5_lS6_T11_S5_li.num_agpr, 0
	.set _ZL29rocblas_internal_gemmt_kernelIiLi16ELi32ELi8ELc67ELc78ELc85ELb1ELb0E19rocblas_complex_numIfES1_PKS1_PS1_EviT_T9_T10_S5_lS7_S5_lS6_T11_S5_li.numbered_sgpr, 27
	.set _ZL29rocblas_internal_gemmt_kernelIiLi16ELi32ELi8ELc67ELc78ELc85ELb1ELb0E19rocblas_complex_numIfES1_PKS1_PS1_EviT_T9_T10_S5_lS7_S5_lS6_T11_S5_li.num_named_barrier, 0
	.set _ZL29rocblas_internal_gemmt_kernelIiLi16ELi32ELi8ELc67ELc78ELc85ELb1ELb0E19rocblas_complex_numIfES1_PKS1_PS1_EviT_T9_T10_S5_lS7_S5_lS6_T11_S5_li.private_seg_size, 0
	.set _ZL29rocblas_internal_gemmt_kernelIiLi16ELi32ELi8ELc67ELc78ELc85ELb1ELb0E19rocblas_complex_numIfES1_PKS1_PS1_EviT_T9_T10_S5_lS7_S5_lS6_T11_S5_li.uses_vcc, 1
	.set _ZL29rocblas_internal_gemmt_kernelIiLi16ELi32ELi8ELc67ELc78ELc85ELb1ELb0E19rocblas_complex_numIfES1_PKS1_PS1_EviT_T9_T10_S5_lS7_S5_lS6_T11_S5_li.uses_flat_scratch, 0
	.set _ZL29rocblas_internal_gemmt_kernelIiLi16ELi32ELi8ELc67ELc78ELc85ELb1ELb0E19rocblas_complex_numIfES1_PKS1_PS1_EviT_T9_T10_S5_lS7_S5_lS6_T11_S5_li.has_dyn_sized_stack, 0
	.set _ZL29rocblas_internal_gemmt_kernelIiLi16ELi32ELi8ELc67ELc78ELc85ELb1ELb0E19rocblas_complex_numIfES1_PKS1_PS1_EviT_T9_T10_S5_lS7_S5_lS6_T11_S5_li.has_recursion, 0
	.set _ZL29rocblas_internal_gemmt_kernelIiLi16ELi32ELi8ELc67ELc78ELc85ELb1ELb0E19rocblas_complex_numIfES1_PKS1_PS1_EviT_T9_T10_S5_lS7_S5_lS6_T11_S5_li.has_indirect_call, 0
	.section	.AMDGPU.csdata,"",@progbits
; Kernel info:
; codeLenInByte = 2488
; TotalNumSgprs: 33
; NumVgprs: 54
; NumAgprs: 0
; TotalNumVgprs: 54
; ScratchSize: 0
; MemoryBound: 0
; FloatMode: 240
; IeeeMode: 1
; LDSByteSize: 4096 bytes/workgroup (compile time only)
; SGPRBlocks: 4
; VGPRBlocks: 6
; NumSGPRsForWavesPerEU: 33
; NumVGPRsForWavesPerEU: 54
; AccumOffset: 56
; Occupancy: 8
; WaveLimiterHint : 0
; COMPUTE_PGM_RSRC2:SCRATCH_EN: 0
; COMPUTE_PGM_RSRC2:USER_SGPR: 2
; COMPUTE_PGM_RSRC2:TRAP_HANDLER: 0
; COMPUTE_PGM_RSRC2:TGID_X_EN: 1
; COMPUTE_PGM_RSRC2:TGID_Y_EN: 1
; COMPUTE_PGM_RSRC2:TGID_Z_EN: 1
; COMPUTE_PGM_RSRC2:TIDIG_COMP_CNT: 1
; COMPUTE_PGM_RSRC3_GFX90A:ACCUM_OFFSET: 13
; COMPUTE_PGM_RSRC3_GFX90A:TG_SPLIT: 0
	.section	.text._ZL29rocblas_internal_gemmt_kernelIiLi16ELi32ELi8ELc67ELc84ELc85ELb1ELb0E19rocblas_complex_numIfES1_PKS1_PS1_EviT_T9_T10_S5_lS7_S5_lS6_T11_S5_li,"axG",@progbits,_ZL29rocblas_internal_gemmt_kernelIiLi16ELi32ELi8ELc67ELc84ELc85ELb1ELb0E19rocblas_complex_numIfES1_PKS1_PS1_EviT_T9_T10_S5_lS7_S5_lS6_T11_S5_li,comdat
	.globl	_ZL29rocblas_internal_gemmt_kernelIiLi16ELi32ELi8ELc67ELc84ELc85ELb1ELb0E19rocblas_complex_numIfES1_PKS1_PS1_EviT_T9_T10_S5_lS7_S5_lS6_T11_S5_li ; -- Begin function _ZL29rocblas_internal_gemmt_kernelIiLi16ELi32ELi8ELc67ELc84ELc85ELb1ELb0E19rocblas_complex_numIfES1_PKS1_PS1_EviT_T9_T10_S5_lS7_S5_lS6_T11_S5_li
	.p2align	8
	.type	_ZL29rocblas_internal_gemmt_kernelIiLi16ELi32ELi8ELc67ELc84ELc85ELb1ELb0E19rocblas_complex_numIfES1_PKS1_PS1_EviT_T9_T10_S5_lS7_S5_lS6_T11_S5_li,@function
_ZL29rocblas_internal_gemmt_kernelIiLi16ELi32ELi8ELc67ELc84ELc85ELb1ELb0E19rocblas_complex_numIfES1_PKS1_PS1_EviT_T9_T10_S5_lS7_S5_lS6_T11_S5_li: ; @_ZL29rocblas_internal_gemmt_kernelIiLi16ELi32ELi8ELc67ELc84ELc85ELb1ELb0E19rocblas_complex_numIfES1_PKS1_PS1_EviT_T9_T10_S5_lS7_S5_lS6_T11_S5_li
; %bb.0:
	s_load_dwordx2 s[6:7], s[0:1], 0x40
	s_load_dwordx4 s[8:11], s[0:1], 0x0
	s_waitcnt lgkmcnt(0)
	s_and_b32 s5, s7, 0x7fffffff
	s_cmp_eq_u32 s5, 0
	v_cmp_eq_f32_e64 s[12:13], s6, 1.0
	s_cselect_b64 s[16:17], -1, 0
	s_and_b64 s[12:13], s[12:13], s[16:17]
	s_and_b64 vcc, exec, s[12:13]
	s_cbranch_vccnz .LBB97_2
; %bb.1:
	s_mov_b64 s[12:13], -1
	s_cbranch_execz .LBB97_3
	s_branch .LBB97_4
.LBB97_2:
	s_mov_b64 s[12:13], 0
.LBB97_3:
	s_cmp_lg_u32 s9, 0
	v_cmp_neq_f32_e64 s[14:15], s10, 0
	v_cmp_neq_f32_e64 s[18:19], s11, 0
	s_cselect_b64 s[12:13], -1, 0
	s_or_b64 s[14:15], s[14:15], s[18:19]
	s_and_b64 s[12:13], s[12:13], s[14:15]
.LBB97_4:
	s_andn2_b64 vcc, exec, s[12:13]
	s_cbranch_vccnz .LBB97_30
; %bb.5:
	s_lshl_b32 s18, s2, 5
	s_lshl_b32 s19, s3, 5
	v_cmp_eq_f32_e64 s[2:3], s10, 0
	v_cmp_eq_f32_e64 s[12:13], s11, 0
	s_and_b64 s[2:3], s[2:3], s[12:13]
	s_cmp_lt_i32 s9, 1
	s_cselect_b64 s[12:13], -1, 0
	s_or_b64 s[2:3], s[2:3], s[12:13]
	v_and_b32_e32 v15, 0x3ff, v0
	v_bfe_u32 v17, v0, 10, 10
	s_mov_b32 s5, 0
	v_mov_b32_e32 v24, 0
	s_and_b64 vcc, exec, s[2:3]
	v_mov_b32_e32 v26, 0
	v_mov_b32_e32 v20, 0
	;; [unrolled: 1-line block ×7, first 2 shown]
	s_cbranch_vccnz .LBB97_14
; %bb.6:
	v_lshl_add_u32 v1, v17, 4, v15
	v_and_b32_e32 v3, 31, v1
	v_lshrrev_b32_e32 v21, 5, v1
	v_lshrrev_b32_e32 v2, 3, v1
	v_or_b32_e32 v1, s18, v3
	v_and_b32_e32 v19, 7, v15
	s_load_dwordx4 s[12:15], s[0:1], 0x20
	s_load_dword s20, s[0:1], 0x30
	s_load_dwordx2 s[22:23], s[0:1], 0x10
	s_load_dword s26, s[0:1], 0x18
	s_load_dwordx2 s[24:25], s[0:1], 0x38
	v_cmp_gt_i32_e64 s[2:3], s8, v1
	v_lshlrev_b32_e32 v1, 3, v3
	v_lshl_or_b32 v23, v21, 8, v1
	v_lshlrev_b32_e32 v1, 3, v19
	v_add_u32_e32 v0, s19, v2
	v_lshl_or_b32 v1, v2, 6, v1
	v_mov_b32_e32 v2, 0x800
	v_lshl_add_u32 v28, v17, 6, v2
	v_add_u32_e32 v2, s18, v3
	s_waitcnt lgkmcnt(0)
	v_mad_i64_i32 v[2:3], s[26:27], s26, v2, 0
	s_mul_i32 s13, s13, s4
	s_mul_hi_u32 s26, s12, s4
	s_add_i32 s13, s26, s13
	s_mul_i32 s12, s12, s4
	s_lshl_b64 s[12:13], s[12:13], 3
	v_lshl_add_u64 v[2:3], v[2:3], 3, s[12:13]
	v_lshlrev_b32_e32 v8, 3, v21
	v_mov_b32_e32 v9, 0
	v_lshl_add_u64 v[2:3], v[2:3], 0, v[8:9]
	v_lshl_add_u64 v[2:3], s[22:23], 0, v[2:3]
	;; [unrolled: 1-line block ×3, first 2 shown]
	s_mul_i32 s12, s25, s4
	s_mul_hi_u32 s13, s24, s4
	v_mad_i64_i32 v[2:3], s[22:23], s20, v19, 0
	s_add_i32 s13, s13, s12
	s_mul_i32 s12, s24, s4
	v_lshlrev_b64 v[2:3], 3, v[2:3]
	v_add_u32_e32 v25, 0x800, v1
	v_ashrrev_i32_e32 v1, 31, v0
	v_lshl_add_u64 v[2:3], s[12:13], 3, v[2:3]
	s_ashr_i32 s21, s20, 31
	v_cmp_gt_i32_e32 vcc, s8, v0
	v_lshl_add_u64 v[0:1], v[0:1], 3, v[2:3]
	v_lshlrev_b32_e32 v27, 3, v15
	v_lshl_add_u64 v[12:13], s[14:15], 0, v[0:1]
	s_lshl_b64 s[12:13], s[20:21], 6
	s_xor_b64 s[14:15], s[2:3], -1
	v_mov_b32_e32 v14, 0
	v_mov_b32_e32 v8, 0
	;; [unrolled: 1-line block ×8, first 2 shown]
	s_branch .LBB97_8
.LBB97_7:                               ;   in Loop: Header=BB97_8 Depth=1
	s_or_b64 exec, exec, s[2:3]
	s_waitcnt vmcnt(0)
	ds_write_b64 v25, v[2:3]
	s_waitcnt lgkmcnt(0)
	s_barrier
	ds_read2_b64 v[30:33], v27 offset1:16
	ds_read_b128 v[34:37], v28
	ds_read_b128 v[38:41], v28 offset:16
	ds_read_b128 v[4:7], v28 offset:32
	;; [unrolled: 1-line block ×3, first 2 shown]
	ds_read2_b64 v[50:53], v27 offset0:32 offset1:48
	s_waitcnt lgkmcnt(4)
	v_mul_f32_e32 v42, v34, v31
	v_fmac_f32_e32 v42, v35, v30
	v_add_f32_e32 v26, v26, v42
	ds_read_b128 v[42:45], v28 offset:1024
	ds_read_b128 v[46:49], v28 offset:1040
	v_mul_f32_e32 v29, v35, v31
	v_fma_f32 v29, v34, v30, -v29
	v_add_f32_e32 v24, v24, v29
	v_mul_f32_e32 v29, v35, v33
	v_fma_f32 v29, v34, v32, -v29
	v_add_f32_e32 v20, v20, v29
	s_waitcnt lgkmcnt(1)
	v_mul_f32_e32 v29, v43, v31
	v_mul_f32_e32 v31, v42, v31
	v_fma_f32 v29, v42, v30, -v29
	v_fmac_f32_e32 v31, v43, v30
	v_mul_f32_e32 v30, v42, v33
	v_fmac_f32_e32 v30, v43, v32
	v_add_f32_e32 v14, v14, v30
	v_mul_f32_e32 v30, v36, v51
	v_mul_f32_e32 v34, v34, v33
	v_fmac_f32_e32 v30, v37, v50
	v_fmac_f32_e32 v34, v35, v32
	v_add_f32_e32 v26, v26, v30
	v_mul_f32_e32 v30, v36, v53
	v_add_f32_e32 v22, v22, v34
	v_add_f32_e32 v16, v16, v29
	v_mul_f32_e32 v29, v43, v33
	v_fmac_f32_e32 v30, v37, v52
	v_fma_f32 v29, v42, v32, -v29
	v_add_f32_e32 v22, v22, v30
	v_mul_f32_e32 v30, v44, v51
	v_add_f32_e32 v18, v18, v31
	v_add_f32_e32 v8, v8, v29
	v_mul_f32_e32 v29, v37, v51
	v_fmac_f32_e32 v30, v45, v50
	v_fma_f32 v29, v36, v50, -v29
	v_add_f32_e32 v18, v18, v30
	ds_read2_b64 v[30:33], v27 offset0:64 offset1:80
	v_add_f32_e32 v24, v24, v29
	v_mul_f32_e32 v29, v37, v53
	v_fma_f32 v29, v36, v52, -v29
	v_add_f32_e32 v20, v20, v29
	v_mul_f32_e32 v29, v45, v51
	v_mul_f32_e32 v34, v44, v53
	v_fma_f32 v29, v44, v50, -v29
	v_fmac_f32_e32 v34, v45, v52
	v_add_f32_e32 v16, v16, v29
	v_mul_f32_e32 v29, v45, v53
	v_add_f32_e32 v14, v14, v34
	s_waitcnt lgkmcnt(0)
	v_mul_f32_e32 v34, v38, v31
	v_fma_f32 v29, v44, v52, -v29
	v_fmac_f32_e32 v34, v39, v30
	v_add_f32_e32 v8, v8, v29
	v_mul_f32_e32 v29, v39, v31
	v_add_f32_e32 v26, v26, v34
	v_mul_f32_e32 v34, v38, v33
	v_fma_f32 v29, v38, v30, -v29
	v_fmac_f32_e32 v34, v39, v32
	v_add_f32_e32 v24, v24, v29
	v_mul_f32_e32 v29, v39, v33
	v_add_f32_e32 v22, v22, v34
	ds_read2_b64 v[34:37], v27 offset0:96 offset1:112
	v_fma_f32 v29, v38, v32, -v29
	v_add_f32_e32 v20, v20, v29
	v_mul_f32_e32 v29, v47, v31
	v_mul_f32_e32 v31, v46, v31
	v_fma_f32 v29, v46, v30, -v29
	v_fmac_f32_e32 v31, v47, v30
	v_mul_f32_e32 v30, v46, v33
	v_fmac_f32_e32 v30, v47, v32
	v_add_f32_e32 v14, v14, v30
	s_waitcnt lgkmcnt(0)
	v_mul_f32_e32 v30, v40, v35
	v_fmac_f32_e32 v30, v41, v34
	v_add_f32_e32 v16, v16, v29
	v_mul_f32_e32 v29, v47, v33
	v_add_f32_e32 v26, v26, v30
	v_mul_f32_e32 v30, v40, v37
	v_fma_f32 v29, v46, v32, -v29
	v_fmac_f32_e32 v30, v41, v36
	v_add_f32_e32 v8, v8, v29
	v_mul_f32_e32 v29, v41, v35
	v_add_f32_e32 v22, v22, v30
	v_mul_f32_e32 v30, v48, v35
	v_add_f32_e32 v18, v18, v31
	v_fma_f32 v29, v40, v34, -v29
	v_fmac_f32_e32 v30, v49, v34
	v_add_f32_e32 v24, v24, v29
	v_mul_f32_e32 v29, v41, v37
	v_add_f32_e32 v18, v18, v30
	ds_read2_b64 v[30:33], v27 offset0:128 offset1:144
	v_fma_f32 v29, v40, v36, -v29
	v_add_f32_e32 v20, v20, v29
	v_mul_f32_e32 v29, v49, v35
	v_fma_f32 v29, v48, v34, -v29
	v_mul_f32_e32 v34, v48, v37
	v_fmac_f32_e32 v34, v49, v36
	v_add_f32_e32 v14, v14, v34
	s_waitcnt lgkmcnt(0)
	v_mul_f32_e32 v34, v4, v31
	v_add_f32_e32 v16, v16, v29
	v_mul_f32_e32 v29, v49, v37
	v_fmac_f32_e32 v34, v5, v30
	v_fma_f32 v29, v48, v36, -v29
	v_add_f32_e32 v26, v26, v34
	ds_read_b128 v[34:37], v28 offset:1056
	ds_read_b128 v[38:41], v28 offset:1072
	v_add_f32_e32 v8, v8, v29
	v_mul_f32_e32 v29, v5, v31
	v_fma_f32 v29, v4, v30, -v29
	v_add_f32_e32 v24, v24, v29
	v_mul_f32_e32 v29, v5, v33
	v_fma_f32 v29, v4, v32, -v29
	v_mul_f32_e32 v4, v4, v33
	ds_read2_b64 v[42:45], v27 offset0:160 offset1:176
	v_fmac_f32_e32 v4, v5, v32
	v_add_f32_e32 v5, v20, v29
	s_waitcnt lgkmcnt(2)
	v_mul_f32_e32 v20, v35, v31
	v_fma_f32 v20, v34, v30, -v20
	v_add_f32_e32 v16, v16, v20
	v_mul_f32_e32 v20, v35, v33
	v_add_f32_e32 v4, v22, v4
	v_mul_f32_e32 v22, v34, v31
	v_fma_f32 v20, v34, v32, -v20
	v_fmac_f32_e32 v22, v35, v30
	v_add_f32_e32 v8, v8, v20
	s_waitcnt lgkmcnt(0)
	v_mul_f32_e32 v20, v7, v43
	v_add_f32_e32 v18, v18, v22
	v_mul_f32_e32 v22, v34, v33
	v_fma_f32 v20, v6, v42, -v20
	v_fmac_f32_e32 v22, v35, v32
	v_add_f32_e32 v20, v24, v20
	v_mul_f32_e32 v24, v7, v45
	v_add_f32_e32 v14, v14, v22
	v_mul_f32_e32 v22, v6, v43
	v_fma_f32 v24, v6, v44, -v24
	v_mul_f32_e32 v6, v6, v45
	v_fmac_f32_e32 v22, v7, v42
	v_fmac_f32_e32 v6, v7, v44
	v_add_f32_e32 v22, v26, v22
	v_add_f32_e32 v26, v4, v6
	v_mul_f32_e32 v4, v37, v43
	v_add_f32_e32 v24, v5, v24
	v_fma_f32 v4, v36, v42, -v4
	v_mul_f32_e32 v5, v36, v43
	v_fmac_f32_e32 v5, v37, v42
	v_add_f32_e32 v16, v16, v4
	v_mul_f32_e32 v4, v37, v45
	v_add_f32_e32 v18, v18, v5
	v_fma_f32 v29, v36, v44, -v4
	ds_read2_b64 v[4:7], v27 offset0:192 offset1:208
	v_mul_f32_e32 v30, v36, v45
	v_fmac_f32_e32 v30, v37, v44
	v_add_f32_e32 v8, v8, v29
	v_add_f32_e32 v14, v14, v30
	s_waitcnt lgkmcnt(0)
	v_mul_f32_e32 v29, v1, v5
	v_fma_f32 v29, v0, v4, -v29
	v_mul_f32_e32 v30, v0, v5
	v_fmac_f32_e32 v30, v1, v4
	v_add_f32_e32 v20, v20, v29
	v_mul_f32_e32 v29, v1, v7
	v_add_f32_e32 v22, v22, v30
	v_fma_f32 v29, v0, v6, -v29
	v_mul_f32_e32 v0, v0, v7
	ds_read2_b64 v[30:33], v27 offset0:224 offset1:240
	v_fmac_f32_e32 v0, v1, v6
	v_add_f32_e32 v1, v24, v29
	v_mul_f32_e32 v24, v39, v5
	v_fma_f32 v24, v38, v4, -v24
	v_mul_f32_e32 v5, v38, v5
	v_fmac_f32_e32 v5, v39, v4
	v_add_f32_e32 v4, v16, v24
	v_mul_f32_e32 v16, v39, v7
	v_fma_f32 v16, v38, v6, -v16
	v_mul_f32_e32 v7, v38, v7
	v_fmac_f32_e32 v7, v39, v6
	v_add_f32_e32 v6, v8, v16
	s_waitcnt lgkmcnt(0)
	v_mul_f32_e32 v8, v3, v31
	v_fma_f32 v8, v2, v30, -v8
	v_add_f32_e32 v24, v20, v8
	v_mul_f32_e32 v8, v3, v33
	v_add_f32_e32 v7, v14, v7
	v_mul_f32_e32 v14, v2, v31
	v_fma_f32 v8, v2, v32, -v8
	v_mul_f32_e32 v2, v2, v33
	v_add_f32_e32 v0, v26, v0
	v_fmac_f32_e32 v14, v3, v30
	v_fmac_f32_e32 v2, v3, v32
	v_add_f32_e32 v26, v22, v14
	v_add_f32_e32 v20, v1, v8
	;; [unrolled: 1-line block ×3, first 2 shown]
	v_mul_f32_e32 v0, v41, v31
	v_mul_f32_e32 v1, v40, v31
	v_add_f32_e32 v5, v18, v5
	v_fma_f32 v0, v40, v30, -v0
	v_fmac_f32_e32 v1, v41, v30
	v_add_f32_e32 v16, v4, v0
	v_add_f32_e32 v18, v5, v1
	v_mul_f32_e32 v0, v41, v33
	v_mul_f32_e32 v1, v40, v33
	v_fma_f32 v0, v40, v32, -v0
	v_fmac_f32_e32 v1, v41, v32
	s_add_i32 s5, s5, 8
	v_add_f32_e32 v8, v6, v0
	v_add_f32_e32 v14, v7, v1
	v_lshl_add_u64 v[10:11], v[10:11], 0, 64
	s_cmp_lt_i32 s5, s9
	v_lshl_add_u64 v[12:13], v[12:13], 0, s[12:13]
	s_barrier
	s_cbranch_scc0 .LBB97_14
.LBB97_8:                               ; =>This Inner Loop Header: Depth=1
	v_add_u32_e32 v0, s5, v21
	v_cmp_le_i32_e64 s[2:3], s9, v0
	s_or_b64 s[2:3], s[14:15], s[2:3]
	s_and_saveexec_b64 s[20:21], s[2:3]
	s_xor_b64 s[2:3], exec, s[20:21]
; %bb.9:                                ;   in Loop: Header=BB97_8 Depth=1
	ds_write_b32 v23, v9
; %bb.10:                               ;   in Loop: Header=BB97_8 Depth=1
	s_or_saveexec_b64 s[2:3], s[2:3]
	v_mov_b32_e32 v2, 0
	v_mov_b32_e32 v0, 0
	s_xor_b64 exec, exec, s[2:3]
	s_cbranch_execz .LBB97_12
; %bb.11:                               ;   in Loop: Header=BB97_8 Depth=1
	global_load_dwordx2 v[4:5], v[10:11], off offset:-4
	s_waitcnt vmcnt(0)
	v_xor_b32_e32 v0, 0x80000000, v5
	ds_write_b32 v23, v4
.LBB97_12:                              ;   in Loop: Header=BB97_8 Depth=1
	s_or_b64 exec, exec, s[2:3]
	ds_write_b32 v23, v0 offset:4
	v_add_u32_e32 v0, s5, v19
	v_cmp_gt_i32_e64 s[2:3], s9, v0
	s_and_b64 s[20:21], s[2:3], vcc
	v_mov_b32_e32 v3, 0
	s_and_saveexec_b64 s[2:3], s[20:21]
	s_cbranch_execz .LBB97_7
; %bb.13:                               ;   in Loop: Header=BB97_8 Depth=1
	global_load_dwordx2 v[2:3], v[12:13], off
	s_branch .LBB97_7
.LBB97_14:
	s_load_dwordx2 s[2:3], s[0:1], 0x58
	s_load_dwordx2 s[12:13], s[0:1], 0x48
	s_load_dword s9, s[0:1], 0x50
	v_add_u32_e32 v9, s19, v17
	v_add_u32_e32 v0, s18, v15
	s_waitcnt lgkmcnt(0)
	s_mul_i32 s1, s3, s4
	s_mul_hi_u32 s3, s2, s4
	s_mul_i32 s0, s2, s4
	s_add_i32 s1, s3, s1
	s_lshl_b64 s[0:1], s[0:1], 3
	s_add_u32 s4, s12, s0
	s_addc_u32 s5, s13, s1
	v_cmp_neq_f32_e64 s[0:1], s6, 0
	s_xor_b64 s[12:13], s[16:17], -1
	v_mad_i64_i32 v[2:3], s[14:15], v9, s9, 0
	s_or_b64 s[0:1], s[0:1], s[12:13]
	v_cmp_gt_i32_e64 s[2:3], s8, v9
	v_lshl_add_u64 v[4:5], v[2:3], 3, s[4:5]
	v_cmp_le_i32_e32 vcc, v0, v9
	v_cndmask_b32_e64 v2, 0, 1, s[0:1]
	s_and_b64 s[14:15], s[2:3], vcc
	v_ashrrev_i32_e32 v1, 31, v0
	v_cmp_ne_u32_e64 s[0:1], 1, v2
	s_and_saveexec_b64 s[12:13], s[14:15]
	s_cbranch_execz .LBB97_18
; %bb.15:
	v_pk_mul_f32 v[6:7], v[26:27], s[10:11] op_sel:[0,1] op_sel_hi:[0,0]
	v_pk_fma_f32 v[2:3], v[24:25], s[10:11], v[6:7] op_sel_hi:[0,1,1] neg_lo:[0,0,1] neg_hi:[0,0,1]
	v_pk_fma_f32 v[10:11], v[24:25], s[10:11], v[6:7] op_sel_hi:[0,1,1]
	s_and_b64 vcc, exec, s[0:1]
	v_lshl_add_u64 v[6:7], v[0:1], 3, v[4:5]
	s_cbranch_vccnz .LBB97_17
; %bb.16:
	global_load_dwordx2 v[12:13], v[6:7], off
	s_mov_b32 s14, s7
	v_mov_b32_e32 v3, v11
	s_waitcnt vmcnt(0)
	v_pk_mul_f32 v[10:11], v[12:13], s[14:15] op_sel:[1,0] op_sel_hi:[0,0]
	v_pk_fma_f32 v[24:25], v[12:13], s[6:7], v[10:11] neg_lo:[0,0,1] neg_hi:[0,0,1]
	v_pk_fma_f32 v[10:11], v[12:13], s[6:7], v[10:11] op_sel_hi:[1,0,1]
	s_nop 0
	v_mov_b32_e32 v25, v11
	v_pk_add_f32 v[2:3], v[2:3], v[24:25]
	s_nop 0
	v_mov_b32_e32 v11, v3
.LBB97_17:
	v_mov_b32_e32 v3, v11
	global_store_dwordx2 v[6:7], v[2:3], off
.LBB97_18:
	s_or_b64 exec, exec, s[12:13]
	v_add_u32_e32 v2, 16, v0
	v_cmp_le_i32_e32 vcc, v2, v9
	s_and_b64 s[12:13], s[2:3], vcc
	v_ashrrev_i32_e32 v3, 31, v2
	s_and_saveexec_b64 s[2:3], s[12:13]
	s_cbranch_execz .LBB97_22
; %bb.19:
	v_pk_mul_f32 v[10:11], v[22:23], s[10:11] op_sel:[0,1] op_sel_hi:[0,0]
	v_pk_fma_f32 v[6:7], v[20:21], s[10:11], v[10:11] op_sel_hi:[0,1,1] neg_lo:[0,0,1] neg_hi:[0,0,1]
	v_pk_fma_f32 v[10:11], v[20:21], s[10:11], v[10:11] op_sel_hi:[0,1,1]
	s_and_b64 vcc, exec, s[0:1]
	v_lshl_add_u64 v[4:5], v[2:3], 3, v[4:5]
	s_cbranch_vccnz .LBB97_21
; %bb.20:
	global_load_dwordx2 v[12:13], v[4:5], off
	s_mov_b32 s12, s7
	v_mov_b32_e32 v7, v11
	s_waitcnt vmcnt(0)
	v_pk_mul_f32 v[10:11], v[12:13], s[12:13] op_sel:[1,0] op_sel_hi:[0,0]
	v_pk_fma_f32 v[20:21], v[12:13], s[6:7], v[10:11] neg_lo:[0,0,1] neg_hi:[0,0,1]
	v_pk_fma_f32 v[10:11], v[12:13], s[6:7], v[10:11] op_sel_hi:[1,0,1]
	s_nop 0
	v_mov_b32_e32 v21, v11
	v_pk_add_f32 v[6:7], v[6:7], v[20:21]
	s_nop 0
	v_mov_b32_e32 v11, v7
.LBB97_21:
	v_mov_b32_e32 v7, v11
	global_store_dwordx2 v[4:5], v[6:7], off
.LBB97_22:
	s_or_b64 exec, exec, s[2:3]
	v_add_u32_e32 v9, 16, v9
	v_cmp_gt_i32_e64 s[2:3], s8, v9
	v_mad_i64_i32 v[4:5], s[8:9], v9, s9, 0
	v_cmp_le_i32_e32 vcc, v0, v9
	v_lshl_add_u64 v[4:5], v[4:5], 3, s[4:5]
	s_and_b64 s[8:9], s[2:3], vcc
	s_and_saveexec_b64 s[4:5], s[8:9]
	s_cbranch_execz .LBB97_26
; %bb.23:
	v_pk_mul_f32 v[10:11], v[18:19], s[10:11] op_sel:[0,1] op_sel_hi:[0,0]
	v_pk_fma_f32 v[6:7], v[16:17], s[10:11], v[10:11] op_sel_hi:[0,1,1] neg_lo:[0,0,1] neg_hi:[0,0,1]
	v_pk_fma_f32 v[10:11], v[16:17], s[10:11], v[10:11] op_sel_hi:[0,1,1]
	s_and_b64 vcc, exec, s[0:1]
	v_lshl_add_u64 v[0:1], v[0:1], 3, v[4:5]
	s_cbranch_vccnz .LBB97_25
; %bb.24:
	global_load_dwordx2 v[12:13], v[0:1], off
	s_mov_b32 s8, s7
	v_mov_b32_e32 v7, v11
	s_waitcnt vmcnt(0)
	v_pk_mul_f32 v[10:11], v[12:13], s[8:9] op_sel:[1,0] op_sel_hi:[0,0]
	v_pk_fma_f32 v[16:17], v[12:13], s[6:7], v[10:11] neg_lo:[0,0,1] neg_hi:[0,0,1]
	v_pk_fma_f32 v[10:11], v[12:13], s[6:7], v[10:11] op_sel_hi:[1,0,1]
	s_nop 0
	v_mov_b32_e32 v17, v11
	v_pk_add_f32 v[6:7], v[6:7], v[16:17]
	s_nop 0
	v_mov_b32_e32 v11, v7
.LBB97_25:
	v_mov_b32_e32 v7, v11
	global_store_dwordx2 v[0:1], v[6:7], off
.LBB97_26:
	s_or_b64 exec, exec, s[4:5]
	v_cmp_le_i32_e32 vcc, v2, v9
	s_and_b64 s[2:3], s[2:3], vcc
	s_and_saveexec_b64 s[4:5], s[2:3]
	s_cbranch_execz .LBB97_30
; %bb.27:
	v_pk_mul_f32 v[6:7], v[14:15], s[10:11] op_sel:[0,1] op_sel_hi:[0,0]
	v_pk_fma_f32 v[0:1], v[8:9], s[10:11], v[6:7] op_sel_hi:[0,1,1] neg_lo:[0,0,1] neg_hi:[0,0,1]
	v_pk_fma_f32 v[6:7], v[8:9], s[10:11], v[6:7] op_sel_hi:[0,1,1]
	s_and_b64 vcc, exec, s[0:1]
	v_lshl_add_u64 v[2:3], v[2:3], 3, v[4:5]
	s_cbranch_vccnz .LBB97_29
; %bb.28:
	global_load_dwordx2 v[4:5], v[2:3], off
	s_mov_b32 s0, s7
	v_mov_b32_e32 v1, v7
	s_waitcnt vmcnt(0)
	v_pk_mul_f32 v[6:7], v[4:5], s[0:1] op_sel:[1,0] op_sel_hi:[0,0]
	v_pk_fma_f32 v[8:9], v[4:5], s[6:7], v[6:7] neg_lo:[0,0,1] neg_hi:[0,0,1]
	v_pk_fma_f32 v[4:5], v[4:5], s[6:7], v[6:7] op_sel_hi:[1,0,1]
	s_nop 0
	v_mov_b32_e32 v9, v5
	v_pk_add_f32 v[0:1], v[0:1], v[8:9]
	s_nop 0
	v_mov_b32_e32 v7, v1
.LBB97_29:
	v_mov_b32_e32 v1, v7
	global_store_dwordx2 v[2:3], v[0:1], off
.LBB97_30:
	s_endpgm
	.section	.rodata,"a",@progbits
	.p2align	6, 0x0
	.amdhsa_kernel _ZL29rocblas_internal_gemmt_kernelIiLi16ELi32ELi8ELc67ELc84ELc85ELb1ELb0E19rocblas_complex_numIfES1_PKS1_PS1_EviT_T9_T10_S5_lS7_S5_lS6_T11_S5_li
		.amdhsa_group_segment_fixed_size 4096
		.amdhsa_private_segment_fixed_size 0
		.amdhsa_kernarg_size 100
		.amdhsa_user_sgpr_count 2
		.amdhsa_user_sgpr_dispatch_ptr 0
		.amdhsa_user_sgpr_queue_ptr 0
		.amdhsa_user_sgpr_kernarg_segment_ptr 1
		.amdhsa_user_sgpr_dispatch_id 0
		.amdhsa_user_sgpr_kernarg_preload_length 0
		.amdhsa_user_sgpr_kernarg_preload_offset 0
		.amdhsa_user_sgpr_private_segment_size 0
		.amdhsa_uses_dynamic_stack 0
		.amdhsa_enable_private_segment 0
		.amdhsa_system_sgpr_workgroup_id_x 1
		.amdhsa_system_sgpr_workgroup_id_y 1
		.amdhsa_system_sgpr_workgroup_id_z 1
		.amdhsa_system_sgpr_workgroup_info 0
		.amdhsa_system_vgpr_workitem_id 1
		.amdhsa_next_free_vgpr 54
		.amdhsa_next_free_sgpr 28
		.amdhsa_accum_offset 56
		.amdhsa_reserve_vcc 1
		.amdhsa_float_round_mode_32 0
		.amdhsa_float_round_mode_16_64 0
		.amdhsa_float_denorm_mode_32 3
		.amdhsa_float_denorm_mode_16_64 3
		.amdhsa_dx10_clamp 1
		.amdhsa_ieee_mode 1
		.amdhsa_fp16_overflow 0
		.amdhsa_tg_split 0
		.amdhsa_exception_fp_ieee_invalid_op 0
		.amdhsa_exception_fp_denorm_src 0
		.amdhsa_exception_fp_ieee_div_zero 0
		.amdhsa_exception_fp_ieee_overflow 0
		.amdhsa_exception_fp_ieee_underflow 0
		.amdhsa_exception_fp_ieee_inexact 0
		.amdhsa_exception_int_div_zero 0
	.end_amdhsa_kernel
	.section	.text._ZL29rocblas_internal_gemmt_kernelIiLi16ELi32ELi8ELc67ELc84ELc85ELb1ELb0E19rocblas_complex_numIfES1_PKS1_PS1_EviT_T9_T10_S5_lS7_S5_lS6_T11_S5_li,"axG",@progbits,_ZL29rocblas_internal_gemmt_kernelIiLi16ELi32ELi8ELc67ELc84ELc85ELb1ELb0E19rocblas_complex_numIfES1_PKS1_PS1_EviT_T9_T10_S5_lS7_S5_lS6_T11_S5_li,comdat
.Lfunc_end97:
	.size	_ZL29rocblas_internal_gemmt_kernelIiLi16ELi32ELi8ELc67ELc84ELc85ELb1ELb0E19rocblas_complex_numIfES1_PKS1_PS1_EviT_T9_T10_S5_lS7_S5_lS6_T11_S5_li, .Lfunc_end97-_ZL29rocblas_internal_gemmt_kernelIiLi16ELi32ELi8ELc67ELc84ELc85ELb1ELb0E19rocblas_complex_numIfES1_PKS1_PS1_EviT_T9_T10_S5_lS7_S5_lS6_T11_S5_li
                                        ; -- End function
	.set _ZL29rocblas_internal_gemmt_kernelIiLi16ELi32ELi8ELc67ELc84ELc85ELb1ELb0E19rocblas_complex_numIfES1_PKS1_PS1_EviT_T9_T10_S5_lS7_S5_lS6_T11_S5_li.num_vgpr, 54
	.set _ZL29rocblas_internal_gemmt_kernelIiLi16ELi32ELi8ELc67ELc84ELc85ELb1ELb0E19rocblas_complex_numIfES1_PKS1_PS1_EviT_T9_T10_S5_lS7_S5_lS6_T11_S5_li.num_agpr, 0
	.set _ZL29rocblas_internal_gemmt_kernelIiLi16ELi32ELi8ELc67ELc84ELc85ELb1ELb0E19rocblas_complex_numIfES1_PKS1_PS1_EviT_T9_T10_S5_lS7_S5_lS6_T11_S5_li.numbered_sgpr, 28
	.set _ZL29rocblas_internal_gemmt_kernelIiLi16ELi32ELi8ELc67ELc84ELc85ELb1ELb0E19rocblas_complex_numIfES1_PKS1_PS1_EviT_T9_T10_S5_lS7_S5_lS6_T11_S5_li.num_named_barrier, 0
	.set _ZL29rocblas_internal_gemmt_kernelIiLi16ELi32ELi8ELc67ELc84ELc85ELb1ELb0E19rocblas_complex_numIfES1_PKS1_PS1_EviT_T9_T10_S5_lS7_S5_lS6_T11_S5_li.private_seg_size, 0
	.set _ZL29rocblas_internal_gemmt_kernelIiLi16ELi32ELi8ELc67ELc84ELc85ELb1ELb0E19rocblas_complex_numIfES1_PKS1_PS1_EviT_T9_T10_S5_lS7_S5_lS6_T11_S5_li.uses_vcc, 1
	.set _ZL29rocblas_internal_gemmt_kernelIiLi16ELi32ELi8ELc67ELc84ELc85ELb1ELb0E19rocblas_complex_numIfES1_PKS1_PS1_EviT_T9_T10_S5_lS7_S5_lS6_T11_S5_li.uses_flat_scratch, 0
	.set _ZL29rocblas_internal_gemmt_kernelIiLi16ELi32ELi8ELc67ELc84ELc85ELb1ELb0E19rocblas_complex_numIfES1_PKS1_PS1_EviT_T9_T10_S5_lS7_S5_lS6_T11_S5_li.has_dyn_sized_stack, 0
	.set _ZL29rocblas_internal_gemmt_kernelIiLi16ELi32ELi8ELc67ELc84ELc85ELb1ELb0E19rocblas_complex_numIfES1_PKS1_PS1_EviT_T9_T10_S5_lS7_S5_lS6_T11_S5_li.has_recursion, 0
	.set _ZL29rocblas_internal_gemmt_kernelIiLi16ELi32ELi8ELc67ELc84ELc85ELb1ELb0E19rocblas_complex_numIfES1_PKS1_PS1_EviT_T9_T10_S5_lS7_S5_lS6_T11_S5_li.has_indirect_call, 0
	.section	.AMDGPU.csdata,"",@progbits
; Kernel info:
; codeLenInByte = 2500
; TotalNumSgprs: 34
; NumVgprs: 54
; NumAgprs: 0
; TotalNumVgprs: 54
; ScratchSize: 0
; MemoryBound: 0
; FloatMode: 240
; IeeeMode: 1
; LDSByteSize: 4096 bytes/workgroup (compile time only)
; SGPRBlocks: 4
; VGPRBlocks: 6
; NumSGPRsForWavesPerEU: 34
; NumVGPRsForWavesPerEU: 54
; AccumOffset: 56
; Occupancy: 8
; WaveLimiterHint : 0
; COMPUTE_PGM_RSRC2:SCRATCH_EN: 0
; COMPUTE_PGM_RSRC2:USER_SGPR: 2
; COMPUTE_PGM_RSRC2:TRAP_HANDLER: 0
; COMPUTE_PGM_RSRC2:TGID_X_EN: 1
; COMPUTE_PGM_RSRC2:TGID_Y_EN: 1
; COMPUTE_PGM_RSRC2:TGID_Z_EN: 1
; COMPUTE_PGM_RSRC2:TIDIG_COMP_CNT: 1
; COMPUTE_PGM_RSRC3_GFX90A:ACCUM_OFFSET: 13
; COMPUTE_PGM_RSRC3_GFX90A:TG_SPLIT: 0
	.section	.text._ZL29rocblas_internal_gemmt_kernelIiLi16ELi32ELi8ELc67ELc67ELc85ELb1ELb1E19rocblas_complex_numIfES1_PKS1_PS1_EviT_T9_T10_S5_lS7_S5_lS6_T11_S5_li,"axG",@progbits,_ZL29rocblas_internal_gemmt_kernelIiLi16ELi32ELi8ELc67ELc67ELc85ELb1ELb1E19rocblas_complex_numIfES1_PKS1_PS1_EviT_T9_T10_S5_lS7_S5_lS6_T11_S5_li,comdat
	.globl	_ZL29rocblas_internal_gemmt_kernelIiLi16ELi32ELi8ELc67ELc67ELc85ELb1ELb1E19rocblas_complex_numIfES1_PKS1_PS1_EviT_T9_T10_S5_lS7_S5_lS6_T11_S5_li ; -- Begin function _ZL29rocblas_internal_gemmt_kernelIiLi16ELi32ELi8ELc67ELc67ELc85ELb1ELb1E19rocblas_complex_numIfES1_PKS1_PS1_EviT_T9_T10_S5_lS7_S5_lS6_T11_S5_li
	.p2align	8
	.type	_ZL29rocblas_internal_gemmt_kernelIiLi16ELi32ELi8ELc67ELc67ELc85ELb1ELb1E19rocblas_complex_numIfES1_PKS1_PS1_EviT_T9_T10_S5_lS7_S5_lS6_T11_S5_li,@function
_ZL29rocblas_internal_gemmt_kernelIiLi16ELi32ELi8ELc67ELc67ELc85ELb1ELb1E19rocblas_complex_numIfES1_PKS1_PS1_EviT_T9_T10_S5_lS7_S5_lS6_T11_S5_li: ; @_ZL29rocblas_internal_gemmt_kernelIiLi16ELi32ELi8ELc67ELc67ELc85ELb1ELb1E19rocblas_complex_numIfES1_PKS1_PS1_EviT_T9_T10_S5_lS7_S5_lS6_T11_S5_li
; %bb.0:
	s_load_dwordx2 s[6:7], s[0:1], 0x40
	s_load_dwordx4 s[8:11], s[0:1], 0x0
	s_waitcnt lgkmcnt(0)
	s_and_b32 s5, s7, 0x7fffffff
	s_cmp_eq_u32 s5, 0
	v_cmp_eq_f32_e64 s[12:13], s6, 1.0
	s_cselect_b64 s[16:17], -1, 0
	s_and_b64 s[12:13], s[12:13], s[16:17]
	s_and_b64 vcc, exec, s[12:13]
	s_cbranch_vccnz .LBB98_2
; %bb.1:
	s_mov_b64 s[12:13], -1
	s_cbranch_execz .LBB98_3
	s_branch .LBB98_4
.LBB98_2:
	s_mov_b64 s[12:13], 0
.LBB98_3:
	s_cmp_lg_u32 s9, 0
	v_cmp_neq_f32_e64 s[14:15], s10, 0
	v_cmp_neq_f32_e64 s[18:19], s11, 0
	s_cselect_b64 s[12:13], -1, 0
	s_or_b64 s[14:15], s[14:15], s[18:19]
	s_and_b64 s[12:13], s[12:13], s[14:15]
.LBB98_4:
	s_andn2_b64 vcc, exec, s[12:13]
	s_cbranch_vccnz .LBB98_32
; %bb.5:
	s_lshl_b32 s20, s2, 5
	s_lshl_b32 s21, s3, 5
	v_cmp_eq_f32_e64 s[2:3], s10, 0
	v_cmp_eq_f32_e64 s[12:13], s11, 0
	s_and_b64 s[2:3], s[2:3], s[12:13]
	s_cmp_lt_i32 s9, 1
	s_cselect_b64 s[12:13], -1, 0
	s_or_b64 s[2:3], s[2:3], s[12:13]
	v_and_b32_e32 v15, 0x3ff, v0
	v_bfe_u32 v17, v0, 10, 10
	s_mov_b32 s5, 0
	v_mov_b32_e32 v24, 0
	s_and_b64 vcc, exec, s[2:3]
	v_mov_b32_e32 v26, 0
	v_mov_b32_e32 v20, 0
	;; [unrolled: 1-line block ×7, first 2 shown]
	s_cbranch_vccnz .LBB98_16
; %bb.6:
	v_lshl_add_u32 v1, v17, 4, v15
	v_and_b32_e32 v3, 31, v1
	v_lshrrev_b32_e32 v21, 5, v1
	v_lshrrev_b32_e32 v2, 3, v1
	v_or_b32_e32 v1, s20, v3
	v_and_b32_e32 v19, 7, v15
	s_load_dwordx4 s[12:15], s[0:1], 0x20
	s_load_dword s18, s[0:1], 0x30
	s_load_dwordx2 s[22:23], s[0:1], 0x10
	s_load_dword s26, s[0:1], 0x18
	s_load_dwordx2 s[24:25], s[0:1], 0x38
	v_cmp_gt_i32_e32 vcc, s8, v1
	v_lshlrev_b32_e32 v1, 3, v3
	v_lshl_or_b32 v23, v21, 8, v1
	v_lshlrev_b32_e32 v1, 3, v19
	v_add_u32_e32 v0, s21, v2
	v_lshl_or_b32 v1, v2, 6, v1
	v_mov_b32_e32 v2, 0x800
	v_lshl_add_u32 v28, v17, 6, v2
	v_add_u32_e32 v2, s20, v3
	s_waitcnt lgkmcnt(0)
	v_mad_i64_i32 v[2:3], s[26:27], s26, v2, 0
	s_mul_i32 s13, s13, s4
	s_mul_hi_u32 s26, s12, s4
	s_add_i32 s13, s26, s13
	s_mul_i32 s12, s12, s4
	s_lshl_b64 s[12:13], s[12:13], 3
	v_lshl_add_u64 v[2:3], v[2:3], 3, s[12:13]
	v_lshlrev_b32_e32 v8, 3, v21
	v_mov_b32_e32 v9, 0
	v_lshl_add_u64 v[2:3], v[2:3], 0, v[8:9]
	v_lshl_add_u64 v[10:11], s[22:23], 0, v[2:3]
	s_mul_i32 s12, s25, s4
	s_mul_hi_u32 s13, s24, s4
	v_mad_i64_i32 v[2:3], s[22:23], s18, v19, 0
	s_add_i32 s13, s13, s12
	s_mul_i32 s12, s24, s4
	v_lshlrev_b64 v[2:3], 3, v[2:3]
	v_add_u32_e32 v25, 0x800, v1
	v_ashrrev_i32_e32 v1, 31, v0
	v_lshl_add_u64 v[2:3], s[12:13], 3, v[2:3]
	v_cmp_gt_i32_e64 s[2:3], s8, v0
	v_lshl_add_u64 v[0:1], v[0:1], 3, v[2:3]
	s_ashr_i32 s19, s18, 31
	v_lshl_add_u64 v[0:1], s[14:15], 0, v[0:1]
	v_lshlrev_b32_e32 v27, 3, v15
	v_lshl_add_u64 v[12:13], v[0:1], 0, 4
	s_lshl_b64 s[12:13], s[18:19], 6
	s_xor_b64 s[14:15], vcc, -1
	s_xor_b64 s[2:3], s[2:3], -1
	v_mov_b32_e32 v14, 0
	v_mov_b32_e32 v8, 0
	;; [unrolled: 1-line block ×8, first 2 shown]
	s_branch .LBB98_8
.LBB98_7:                               ;   in Loop: Header=BB98_8 Depth=1
	s_or_b64 exec, exec, s[18:19]
	ds_write_b32 v25, v0 offset:4
	s_waitcnt lgkmcnt(0)
	s_barrier
	ds_read2_b64 v[30:33], v27 offset1:16
	ds_read_b128 v[34:37], v28
	ds_read_b128 v[38:41], v28 offset:16
	ds_read_b128 v[4:7], v28 offset:32
	;; [unrolled: 1-line block ×3, first 2 shown]
	ds_read2_b64 v[50:53], v27 offset0:32 offset1:48
	s_waitcnt lgkmcnt(4)
	v_mul_f32_e32 v42, v34, v31
	v_fmac_f32_e32 v42, v35, v30
	v_add_f32_e32 v26, v26, v42
	ds_read_b128 v[42:45], v28 offset:1024
	ds_read_b128 v[46:49], v28 offset:1040
	v_mul_f32_e32 v29, v35, v31
	v_fma_f32 v29, v34, v30, -v29
	v_add_f32_e32 v24, v24, v29
	v_mul_f32_e32 v29, v35, v33
	v_fma_f32 v29, v34, v32, -v29
	v_add_f32_e32 v20, v20, v29
	s_waitcnt lgkmcnt(1)
	v_mul_f32_e32 v29, v43, v31
	v_mul_f32_e32 v31, v42, v31
	v_fma_f32 v29, v42, v30, -v29
	v_fmac_f32_e32 v31, v43, v30
	v_mul_f32_e32 v30, v42, v33
	v_fmac_f32_e32 v30, v43, v32
	v_add_f32_e32 v14, v14, v30
	v_mul_f32_e32 v30, v36, v51
	v_mul_f32_e32 v34, v34, v33
	v_fmac_f32_e32 v30, v37, v50
	v_fmac_f32_e32 v34, v35, v32
	v_add_f32_e32 v26, v26, v30
	v_mul_f32_e32 v30, v36, v53
	v_add_f32_e32 v22, v22, v34
	v_add_f32_e32 v16, v16, v29
	v_mul_f32_e32 v29, v43, v33
	v_fmac_f32_e32 v30, v37, v52
	v_fma_f32 v29, v42, v32, -v29
	v_add_f32_e32 v22, v22, v30
	v_mul_f32_e32 v30, v44, v51
	v_add_f32_e32 v18, v18, v31
	v_add_f32_e32 v8, v8, v29
	v_mul_f32_e32 v29, v37, v51
	v_fmac_f32_e32 v30, v45, v50
	v_fma_f32 v29, v36, v50, -v29
	v_add_f32_e32 v18, v18, v30
	ds_read2_b64 v[30:33], v27 offset0:64 offset1:80
	v_add_f32_e32 v24, v24, v29
	v_mul_f32_e32 v29, v37, v53
	v_fma_f32 v29, v36, v52, -v29
	v_add_f32_e32 v20, v20, v29
	v_mul_f32_e32 v29, v45, v51
	v_mul_f32_e32 v34, v44, v53
	v_fma_f32 v29, v44, v50, -v29
	v_fmac_f32_e32 v34, v45, v52
	v_add_f32_e32 v16, v16, v29
	v_mul_f32_e32 v29, v45, v53
	v_add_f32_e32 v14, v14, v34
	s_waitcnt lgkmcnt(0)
	v_mul_f32_e32 v34, v38, v31
	v_fma_f32 v29, v44, v52, -v29
	v_fmac_f32_e32 v34, v39, v30
	v_add_f32_e32 v8, v8, v29
	v_mul_f32_e32 v29, v39, v31
	v_add_f32_e32 v26, v26, v34
	v_mul_f32_e32 v34, v38, v33
	v_fma_f32 v29, v38, v30, -v29
	v_fmac_f32_e32 v34, v39, v32
	v_add_f32_e32 v24, v24, v29
	v_mul_f32_e32 v29, v39, v33
	v_add_f32_e32 v22, v22, v34
	ds_read2_b64 v[34:37], v27 offset0:96 offset1:112
	v_fma_f32 v29, v38, v32, -v29
	v_add_f32_e32 v20, v20, v29
	v_mul_f32_e32 v29, v47, v31
	v_mul_f32_e32 v31, v46, v31
	v_fma_f32 v29, v46, v30, -v29
	v_fmac_f32_e32 v31, v47, v30
	v_mul_f32_e32 v30, v46, v33
	v_fmac_f32_e32 v30, v47, v32
	v_add_f32_e32 v14, v14, v30
	s_waitcnt lgkmcnt(0)
	v_mul_f32_e32 v30, v40, v35
	v_fmac_f32_e32 v30, v41, v34
	v_add_f32_e32 v16, v16, v29
	v_mul_f32_e32 v29, v47, v33
	v_add_f32_e32 v26, v26, v30
	v_mul_f32_e32 v30, v40, v37
	v_fma_f32 v29, v46, v32, -v29
	v_fmac_f32_e32 v30, v41, v36
	v_add_f32_e32 v8, v8, v29
	v_mul_f32_e32 v29, v41, v35
	v_add_f32_e32 v22, v22, v30
	v_mul_f32_e32 v30, v48, v35
	v_add_f32_e32 v18, v18, v31
	v_fma_f32 v29, v40, v34, -v29
	v_fmac_f32_e32 v30, v49, v34
	v_add_f32_e32 v24, v24, v29
	v_mul_f32_e32 v29, v41, v37
	v_add_f32_e32 v18, v18, v30
	ds_read2_b64 v[30:33], v27 offset0:128 offset1:144
	v_fma_f32 v29, v40, v36, -v29
	v_add_f32_e32 v20, v20, v29
	v_mul_f32_e32 v29, v49, v35
	v_fma_f32 v29, v48, v34, -v29
	v_mul_f32_e32 v34, v48, v37
	v_fmac_f32_e32 v34, v49, v36
	v_add_f32_e32 v14, v14, v34
	s_waitcnt lgkmcnt(0)
	v_mul_f32_e32 v34, v4, v31
	v_add_f32_e32 v16, v16, v29
	v_mul_f32_e32 v29, v49, v37
	v_fmac_f32_e32 v34, v5, v30
	v_fma_f32 v29, v48, v36, -v29
	v_add_f32_e32 v26, v26, v34
	ds_read_b128 v[34:37], v28 offset:1056
	ds_read_b128 v[38:41], v28 offset:1072
	v_add_f32_e32 v8, v8, v29
	v_mul_f32_e32 v29, v5, v31
	v_fma_f32 v29, v4, v30, -v29
	v_add_f32_e32 v24, v24, v29
	v_mul_f32_e32 v29, v5, v33
	v_fma_f32 v29, v4, v32, -v29
	v_mul_f32_e32 v4, v4, v33
	ds_read2_b64 v[42:45], v27 offset0:160 offset1:176
	v_fmac_f32_e32 v4, v5, v32
	v_add_f32_e32 v5, v20, v29
	s_waitcnt lgkmcnt(2)
	v_mul_f32_e32 v20, v35, v31
	v_fma_f32 v20, v34, v30, -v20
	v_add_f32_e32 v16, v16, v20
	v_mul_f32_e32 v20, v35, v33
	v_add_f32_e32 v4, v22, v4
	v_mul_f32_e32 v22, v34, v31
	v_fma_f32 v20, v34, v32, -v20
	v_fmac_f32_e32 v22, v35, v30
	v_add_f32_e32 v8, v8, v20
	s_waitcnt lgkmcnt(0)
	v_mul_f32_e32 v20, v7, v43
	v_add_f32_e32 v18, v18, v22
	v_mul_f32_e32 v22, v34, v33
	v_fma_f32 v20, v6, v42, -v20
	v_fmac_f32_e32 v22, v35, v32
	v_add_f32_e32 v20, v24, v20
	v_mul_f32_e32 v24, v7, v45
	v_add_f32_e32 v14, v14, v22
	v_mul_f32_e32 v22, v6, v43
	v_fma_f32 v24, v6, v44, -v24
	v_mul_f32_e32 v6, v6, v45
	v_fmac_f32_e32 v22, v7, v42
	v_fmac_f32_e32 v6, v7, v44
	v_add_f32_e32 v22, v26, v22
	v_add_f32_e32 v26, v4, v6
	v_mul_f32_e32 v4, v37, v43
	v_add_f32_e32 v24, v5, v24
	v_fma_f32 v4, v36, v42, -v4
	v_mul_f32_e32 v5, v36, v43
	v_fmac_f32_e32 v5, v37, v42
	v_add_f32_e32 v16, v16, v4
	v_mul_f32_e32 v4, v37, v45
	v_add_f32_e32 v18, v18, v5
	v_fma_f32 v29, v36, v44, -v4
	ds_read2_b64 v[4:7], v27 offset0:192 offset1:208
	v_mul_f32_e32 v30, v36, v45
	v_fmac_f32_e32 v30, v37, v44
	v_add_f32_e32 v8, v8, v29
	v_add_f32_e32 v14, v14, v30
	s_waitcnt lgkmcnt(0)
	v_mul_f32_e32 v29, v1, v5
	v_fma_f32 v29, v0, v4, -v29
	v_mul_f32_e32 v30, v0, v5
	v_fmac_f32_e32 v30, v1, v4
	v_add_f32_e32 v20, v20, v29
	v_mul_f32_e32 v29, v1, v7
	v_add_f32_e32 v22, v22, v30
	v_fma_f32 v29, v0, v6, -v29
	v_mul_f32_e32 v0, v0, v7
	ds_read2_b64 v[30:33], v27 offset0:224 offset1:240
	v_fmac_f32_e32 v0, v1, v6
	v_add_f32_e32 v1, v24, v29
	v_mul_f32_e32 v24, v39, v5
	v_fma_f32 v24, v38, v4, -v24
	v_mul_f32_e32 v5, v38, v5
	v_fmac_f32_e32 v5, v39, v4
	v_add_f32_e32 v4, v16, v24
	v_mul_f32_e32 v16, v39, v7
	v_fma_f32 v16, v38, v6, -v16
	v_mul_f32_e32 v7, v38, v7
	v_fmac_f32_e32 v7, v39, v6
	v_add_f32_e32 v6, v8, v16
	s_waitcnt lgkmcnt(0)
	v_mul_f32_e32 v8, v3, v31
	v_fma_f32 v8, v2, v30, -v8
	v_add_f32_e32 v24, v20, v8
	v_mul_f32_e32 v8, v3, v33
	v_add_f32_e32 v7, v14, v7
	v_mul_f32_e32 v14, v2, v31
	v_fma_f32 v8, v2, v32, -v8
	v_mul_f32_e32 v2, v2, v33
	v_add_f32_e32 v0, v26, v0
	v_fmac_f32_e32 v14, v3, v30
	v_fmac_f32_e32 v2, v3, v32
	v_add_f32_e32 v26, v22, v14
	v_add_f32_e32 v20, v1, v8
	;; [unrolled: 1-line block ×3, first 2 shown]
	v_mul_f32_e32 v0, v41, v31
	v_mul_f32_e32 v1, v40, v31
	v_add_f32_e32 v5, v18, v5
	v_fma_f32 v0, v40, v30, -v0
	v_fmac_f32_e32 v1, v41, v30
	v_add_f32_e32 v16, v4, v0
	v_add_f32_e32 v18, v5, v1
	v_mul_f32_e32 v0, v41, v33
	v_mul_f32_e32 v1, v40, v33
	v_fma_f32 v0, v40, v32, -v0
	v_fmac_f32_e32 v1, v41, v32
	s_add_i32 s5, s5, 8
	v_add_f32_e32 v8, v6, v0
	v_add_f32_e32 v14, v7, v1
	v_lshl_add_u64 v[10:11], v[10:11], 0, 64
	s_cmp_lt_i32 s5, s9
	v_lshl_add_u64 v[12:13], v[12:13], 0, s[12:13]
	s_barrier
	s_cbranch_scc0 .LBB98_16
.LBB98_8:                               ; =>This Inner Loop Header: Depth=1
	v_add_u32_e32 v0, s5, v21
	v_cmp_le_i32_e32 vcc, s9, v0
	s_or_b64 s[18:19], s[14:15], vcc
	s_and_saveexec_b64 s[22:23], s[18:19]
	s_xor_b64 s[18:19], exec, s[22:23]
; %bb.9:                                ;   in Loop: Header=BB98_8 Depth=1
	ds_write_b32 v23, v9
; %bb.10:                               ;   in Loop: Header=BB98_8 Depth=1
	s_or_saveexec_b64 s[18:19], s[18:19]
	v_mov_b32_e32 v0, 0
	s_xor_b64 exec, exec, s[18:19]
	s_cbranch_execz .LBB98_12
; %bb.11:                               ;   in Loop: Header=BB98_8 Depth=1
	global_load_dwordx2 v[2:3], v[10:11], off
	s_waitcnt vmcnt(0)
	v_xor_b32_e32 v0, 0x80000000, v3
	ds_write_b32 v23, v2
.LBB98_12:                              ;   in Loop: Header=BB98_8 Depth=1
	s_or_b64 exec, exec, s[18:19]
	ds_write_b32 v23, v0 offset:4
	v_add_u32_e32 v0, s5, v19
	v_cmp_le_i32_e32 vcc, s9, v0
	s_or_b64 s[18:19], vcc, s[2:3]
	s_and_saveexec_b64 s[22:23], s[18:19]
	s_xor_b64 s[18:19], exec, s[22:23]
; %bb.13:                               ;   in Loop: Header=BB98_8 Depth=1
	ds_write_b32 v25, v9
; %bb.14:                               ;   in Loop: Header=BB98_8 Depth=1
	s_or_saveexec_b64 s[18:19], s[18:19]
	v_mov_b32_e32 v0, 0
	s_xor_b64 exec, exec, s[18:19]
	s_cbranch_execz .LBB98_7
; %bb.15:                               ;   in Loop: Header=BB98_8 Depth=1
	global_load_dwordx2 v[2:3], v[12:13], off offset:-4
	s_waitcnt vmcnt(0)
	v_xor_b32_e32 v0, 0x80000000, v3
	ds_write_b32 v25, v2
	s_branch .LBB98_7
.LBB98_16:
	s_load_dwordx2 s[2:3], s[0:1], 0x58
	s_load_dwordx2 s[12:13], s[0:1], 0x48
	s_load_dword s9, s[0:1], 0x50
	v_add_u32_e32 v9, s21, v17
	v_add_u32_e32 v0, s20, v15
	s_waitcnt lgkmcnt(0)
	s_mul_i32 s1, s3, s4
	s_mul_hi_u32 s3, s2, s4
	s_mul_i32 s0, s2, s4
	s_add_i32 s1, s3, s1
	s_lshl_b64 s[0:1], s[0:1], 3
	s_add_u32 s4, s12, s0
	s_addc_u32 s5, s13, s1
	v_cmp_neq_f32_e64 s[0:1], s6, 0
	s_xor_b64 s[12:13], s[16:17], -1
	v_mad_i64_i32 v[2:3], s[14:15], v9, s9, 0
	s_or_b64 s[0:1], s[0:1], s[12:13]
	v_cmp_gt_i32_e64 s[2:3], s8, v9
	v_lshl_add_u64 v[4:5], v[2:3], 3, s[4:5]
	v_cmp_le_i32_e32 vcc, v0, v9
	v_cndmask_b32_e64 v2, 0, 1, s[0:1]
	s_and_b64 s[14:15], s[2:3], vcc
	v_ashrrev_i32_e32 v1, 31, v0
	v_cmp_ne_u32_e64 s[0:1], 1, v2
	s_and_saveexec_b64 s[12:13], s[14:15]
	s_cbranch_execz .LBB98_20
; %bb.17:
	v_pk_mul_f32 v[6:7], v[26:27], s[10:11] op_sel:[0,1] op_sel_hi:[0,0]
	v_pk_fma_f32 v[2:3], v[24:25], s[10:11], v[6:7] op_sel_hi:[0,1,1] neg_lo:[0,0,1] neg_hi:[0,0,1]
	v_pk_fma_f32 v[10:11], v[24:25], s[10:11], v[6:7] op_sel_hi:[0,1,1]
	s_and_b64 vcc, exec, s[0:1]
	v_lshl_add_u64 v[6:7], v[0:1], 3, v[4:5]
	s_cbranch_vccnz .LBB98_19
; %bb.18:
	global_load_dwordx2 v[12:13], v[6:7], off
	s_mov_b32 s14, s7
	v_mov_b32_e32 v3, v11
	s_waitcnt vmcnt(0)
	v_pk_mul_f32 v[10:11], v[12:13], s[14:15] op_sel:[1,0] op_sel_hi:[0,0]
	v_pk_fma_f32 v[24:25], v[12:13], s[6:7], v[10:11] neg_lo:[0,0,1] neg_hi:[0,0,1]
	v_pk_fma_f32 v[10:11], v[12:13], s[6:7], v[10:11] op_sel_hi:[1,0,1]
	s_nop 0
	v_mov_b32_e32 v25, v11
	v_pk_add_f32 v[2:3], v[2:3], v[24:25]
	s_nop 0
	v_mov_b32_e32 v11, v3
.LBB98_19:
	v_mov_b32_e32 v3, v11
	global_store_dwordx2 v[6:7], v[2:3], off
.LBB98_20:
	s_or_b64 exec, exec, s[12:13]
	v_add_u32_e32 v2, 16, v0
	v_cmp_le_i32_e32 vcc, v2, v9
	s_and_b64 s[12:13], s[2:3], vcc
	v_ashrrev_i32_e32 v3, 31, v2
	s_and_saveexec_b64 s[2:3], s[12:13]
	s_cbranch_execz .LBB98_24
; %bb.21:
	v_pk_mul_f32 v[10:11], v[22:23], s[10:11] op_sel:[0,1] op_sel_hi:[0,0]
	v_pk_fma_f32 v[6:7], v[20:21], s[10:11], v[10:11] op_sel_hi:[0,1,1] neg_lo:[0,0,1] neg_hi:[0,0,1]
	v_pk_fma_f32 v[10:11], v[20:21], s[10:11], v[10:11] op_sel_hi:[0,1,1]
	s_and_b64 vcc, exec, s[0:1]
	v_lshl_add_u64 v[4:5], v[2:3], 3, v[4:5]
	s_cbranch_vccnz .LBB98_23
; %bb.22:
	global_load_dwordx2 v[12:13], v[4:5], off
	s_mov_b32 s12, s7
	v_mov_b32_e32 v7, v11
	s_waitcnt vmcnt(0)
	v_pk_mul_f32 v[10:11], v[12:13], s[12:13] op_sel:[1,0] op_sel_hi:[0,0]
	v_pk_fma_f32 v[20:21], v[12:13], s[6:7], v[10:11] neg_lo:[0,0,1] neg_hi:[0,0,1]
	v_pk_fma_f32 v[10:11], v[12:13], s[6:7], v[10:11] op_sel_hi:[1,0,1]
	s_nop 0
	v_mov_b32_e32 v21, v11
	v_pk_add_f32 v[6:7], v[6:7], v[20:21]
	s_nop 0
	v_mov_b32_e32 v11, v7
.LBB98_23:
	v_mov_b32_e32 v7, v11
	global_store_dwordx2 v[4:5], v[6:7], off
.LBB98_24:
	s_or_b64 exec, exec, s[2:3]
	v_add_u32_e32 v9, 16, v9
	v_cmp_gt_i32_e64 s[2:3], s8, v9
	v_mad_i64_i32 v[4:5], s[8:9], v9, s9, 0
	v_cmp_le_i32_e32 vcc, v0, v9
	v_lshl_add_u64 v[4:5], v[4:5], 3, s[4:5]
	s_and_b64 s[8:9], s[2:3], vcc
	s_and_saveexec_b64 s[4:5], s[8:9]
	s_cbranch_execz .LBB98_28
; %bb.25:
	v_pk_mul_f32 v[10:11], v[18:19], s[10:11] op_sel:[0,1] op_sel_hi:[0,0]
	v_pk_fma_f32 v[6:7], v[16:17], s[10:11], v[10:11] op_sel_hi:[0,1,1] neg_lo:[0,0,1] neg_hi:[0,0,1]
	v_pk_fma_f32 v[10:11], v[16:17], s[10:11], v[10:11] op_sel_hi:[0,1,1]
	s_and_b64 vcc, exec, s[0:1]
	v_lshl_add_u64 v[0:1], v[0:1], 3, v[4:5]
	s_cbranch_vccnz .LBB98_27
; %bb.26:
	global_load_dwordx2 v[12:13], v[0:1], off
	s_mov_b32 s8, s7
	v_mov_b32_e32 v7, v11
	s_waitcnt vmcnt(0)
	v_pk_mul_f32 v[10:11], v[12:13], s[8:9] op_sel:[1,0] op_sel_hi:[0,0]
	v_pk_fma_f32 v[16:17], v[12:13], s[6:7], v[10:11] neg_lo:[0,0,1] neg_hi:[0,0,1]
	v_pk_fma_f32 v[10:11], v[12:13], s[6:7], v[10:11] op_sel_hi:[1,0,1]
	s_nop 0
	v_mov_b32_e32 v17, v11
	v_pk_add_f32 v[6:7], v[6:7], v[16:17]
	s_nop 0
	v_mov_b32_e32 v11, v7
.LBB98_27:
	v_mov_b32_e32 v7, v11
	global_store_dwordx2 v[0:1], v[6:7], off
.LBB98_28:
	s_or_b64 exec, exec, s[4:5]
	v_cmp_le_i32_e32 vcc, v2, v9
	s_and_b64 s[2:3], s[2:3], vcc
	s_and_saveexec_b64 s[4:5], s[2:3]
	s_cbranch_execz .LBB98_32
; %bb.29:
	v_pk_mul_f32 v[6:7], v[14:15], s[10:11] op_sel:[0,1] op_sel_hi:[0,0]
	v_pk_fma_f32 v[0:1], v[8:9], s[10:11], v[6:7] op_sel_hi:[0,1,1] neg_lo:[0,0,1] neg_hi:[0,0,1]
	v_pk_fma_f32 v[6:7], v[8:9], s[10:11], v[6:7] op_sel_hi:[0,1,1]
	s_and_b64 vcc, exec, s[0:1]
	v_lshl_add_u64 v[2:3], v[2:3], 3, v[4:5]
	s_cbranch_vccnz .LBB98_31
; %bb.30:
	global_load_dwordx2 v[4:5], v[2:3], off
	s_mov_b32 s0, s7
	v_mov_b32_e32 v1, v7
	s_waitcnt vmcnt(0)
	v_pk_mul_f32 v[6:7], v[4:5], s[0:1] op_sel:[1,0] op_sel_hi:[0,0]
	v_pk_fma_f32 v[8:9], v[4:5], s[6:7], v[6:7] neg_lo:[0,0,1] neg_hi:[0,0,1]
	v_pk_fma_f32 v[4:5], v[4:5], s[6:7], v[6:7] op_sel_hi:[1,0,1]
	s_nop 0
	v_mov_b32_e32 v9, v5
	v_pk_add_f32 v[0:1], v[0:1], v[8:9]
	s_nop 0
	v_mov_b32_e32 v7, v1
.LBB98_31:
	v_mov_b32_e32 v1, v7
	global_store_dwordx2 v[2:3], v[0:1], off
.LBB98_32:
	s_endpgm
	.section	.rodata,"a",@progbits
	.p2align	6, 0x0
	.amdhsa_kernel _ZL29rocblas_internal_gemmt_kernelIiLi16ELi32ELi8ELc67ELc67ELc85ELb1ELb1E19rocblas_complex_numIfES1_PKS1_PS1_EviT_T9_T10_S5_lS7_S5_lS6_T11_S5_li
		.amdhsa_group_segment_fixed_size 4096
		.amdhsa_private_segment_fixed_size 0
		.amdhsa_kernarg_size 100
		.amdhsa_user_sgpr_count 2
		.amdhsa_user_sgpr_dispatch_ptr 0
		.amdhsa_user_sgpr_queue_ptr 0
		.amdhsa_user_sgpr_kernarg_segment_ptr 1
		.amdhsa_user_sgpr_dispatch_id 0
		.amdhsa_user_sgpr_kernarg_preload_length 0
		.amdhsa_user_sgpr_kernarg_preload_offset 0
		.amdhsa_user_sgpr_private_segment_size 0
		.amdhsa_uses_dynamic_stack 0
		.amdhsa_enable_private_segment 0
		.amdhsa_system_sgpr_workgroup_id_x 1
		.amdhsa_system_sgpr_workgroup_id_y 1
		.amdhsa_system_sgpr_workgroup_id_z 1
		.amdhsa_system_sgpr_workgroup_info 0
		.amdhsa_system_vgpr_workitem_id 1
		.amdhsa_next_free_vgpr 54
		.amdhsa_next_free_sgpr 28
		.amdhsa_accum_offset 56
		.amdhsa_reserve_vcc 1
		.amdhsa_float_round_mode_32 0
		.amdhsa_float_round_mode_16_64 0
		.amdhsa_float_denorm_mode_32 3
		.amdhsa_float_denorm_mode_16_64 3
		.amdhsa_dx10_clamp 1
		.amdhsa_ieee_mode 1
		.amdhsa_fp16_overflow 0
		.amdhsa_tg_split 0
		.amdhsa_exception_fp_ieee_invalid_op 0
		.amdhsa_exception_fp_denorm_src 0
		.amdhsa_exception_fp_ieee_div_zero 0
		.amdhsa_exception_fp_ieee_overflow 0
		.amdhsa_exception_fp_ieee_underflow 0
		.amdhsa_exception_fp_ieee_inexact 0
		.amdhsa_exception_int_div_zero 0
	.end_amdhsa_kernel
	.section	.text._ZL29rocblas_internal_gemmt_kernelIiLi16ELi32ELi8ELc67ELc67ELc85ELb1ELb1E19rocblas_complex_numIfES1_PKS1_PS1_EviT_T9_T10_S5_lS7_S5_lS6_T11_S5_li,"axG",@progbits,_ZL29rocblas_internal_gemmt_kernelIiLi16ELi32ELi8ELc67ELc67ELc85ELb1ELb1E19rocblas_complex_numIfES1_PKS1_PS1_EviT_T9_T10_S5_lS7_S5_lS6_T11_S5_li,comdat
.Lfunc_end98:
	.size	_ZL29rocblas_internal_gemmt_kernelIiLi16ELi32ELi8ELc67ELc67ELc85ELb1ELb1E19rocblas_complex_numIfES1_PKS1_PS1_EviT_T9_T10_S5_lS7_S5_lS6_T11_S5_li, .Lfunc_end98-_ZL29rocblas_internal_gemmt_kernelIiLi16ELi32ELi8ELc67ELc67ELc85ELb1ELb1E19rocblas_complex_numIfES1_PKS1_PS1_EviT_T9_T10_S5_lS7_S5_lS6_T11_S5_li
                                        ; -- End function
	.set _ZL29rocblas_internal_gemmt_kernelIiLi16ELi32ELi8ELc67ELc67ELc85ELb1ELb1E19rocblas_complex_numIfES1_PKS1_PS1_EviT_T9_T10_S5_lS7_S5_lS6_T11_S5_li.num_vgpr, 54
	.set _ZL29rocblas_internal_gemmt_kernelIiLi16ELi32ELi8ELc67ELc67ELc85ELb1ELb1E19rocblas_complex_numIfES1_PKS1_PS1_EviT_T9_T10_S5_lS7_S5_lS6_T11_S5_li.num_agpr, 0
	.set _ZL29rocblas_internal_gemmt_kernelIiLi16ELi32ELi8ELc67ELc67ELc85ELb1ELb1E19rocblas_complex_numIfES1_PKS1_PS1_EviT_T9_T10_S5_lS7_S5_lS6_T11_S5_li.numbered_sgpr, 28
	.set _ZL29rocblas_internal_gemmt_kernelIiLi16ELi32ELi8ELc67ELc67ELc85ELb1ELb1E19rocblas_complex_numIfES1_PKS1_PS1_EviT_T9_T10_S5_lS7_S5_lS6_T11_S5_li.num_named_barrier, 0
	.set _ZL29rocblas_internal_gemmt_kernelIiLi16ELi32ELi8ELc67ELc67ELc85ELb1ELb1E19rocblas_complex_numIfES1_PKS1_PS1_EviT_T9_T10_S5_lS7_S5_lS6_T11_S5_li.private_seg_size, 0
	.set _ZL29rocblas_internal_gemmt_kernelIiLi16ELi32ELi8ELc67ELc67ELc85ELb1ELb1E19rocblas_complex_numIfES1_PKS1_PS1_EviT_T9_T10_S5_lS7_S5_lS6_T11_S5_li.uses_vcc, 1
	.set _ZL29rocblas_internal_gemmt_kernelIiLi16ELi32ELi8ELc67ELc67ELc85ELb1ELb1E19rocblas_complex_numIfES1_PKS1_PS1_EviT_T9_T10_S5_lS7_S5_lS6_T11_S5_li.uses_flat_scratch, 0
	.set _ZL29rocblas_internal_gemmt_kernelIiLi16ELi32ELi8ELc67ELc67ELc85ELb1ELb1E19rocblas_complex_numIfES1_PKS1_PS1_EviT_T9_T10_S5_lS7_S5_lS6_T11_S5_li.has_dyn_sized_stack, 0
	.set _ZL29rocblas_internal_gemmt_kernelIiLi16ELi32ELi8ELc67ELc67ELc85ELb1ELb1E19rocblas_complex_numIfES1_PKS1_PS1_EviT_T9_T10_S5_lS7_S5_lS6_T11_S5_li.has_recursion, 0
	.set _ZL29rocblas_internal_gemmt_kernelIiLi16ELi32ELi8ELc67ELc67ELc85ELb1ELb1E19rocblas_complex_numIfES1_PKS1_PS1_EviT_T9_T10_S5_lS7_S5_lS6_T11_S5_li.has_indirect_call, 0
	.section	.AMDGPU.csdata,"",@progbits
; Kernel info:
; codeLenInByte = 2528
; TotalNumSgprs: 34
; NumVgprs: 54
; NumAgprs: 0
; TotalNumVgprs: 54
; ScratchSize: 0
; MemoryBound: 0
; FloatMode: 240
; IeeeMode: 1
; LDSByteSize: 4096 bytes/workgroup (compile time only)
; SGPRBlocks: 4
; VGPRBlocks: 6
; NumSGPRsForWavesPerEU: 34
; NumVGPRsForWavesPerEU: 54
; AccumOffset: 56
; Occupancy: 8
; WaveLimiterHint : 0
; COMPUTE_PGM_RSRC2:SCRATCH_EN: 0
; COMPUTE_PGM_RSRC2:USER_SGPR: 2
; COMPUTE_PGM_RSRC2:TRAP_HANDLER: 0
; COMPUTE_PGM_RSRC2:TGID_X_EN: 1
; COMPUTE_PGM_RSRC2:TGID_Y_EN: 1
; COMPUTE_PGM_RSRC2:TGID_Z_EN: 1
; COMPUTE_PGM_RSRC2:TIDIG_COMP_CNT: 1
; COMPUTE_PGM_RSRC3_GFX90A:ACCUM_OFFSET: 13
; COMPUTE_PGM_RSRC3_GFX90A:TG_SPLIT: 0
	.section	.text._ZL29rocblas_internal_gemmt_kernelIiLi16ELi32ELi8ELc78ELc78ELc76ELb0ELb0E19rocblas_complex_numIfES1_PKS1_PS1_EviT_T9_T10_S5_lS7_S5_lS6_T11_S5_li,"axG",@progbits,_ZL29rocblas_internal_gemmt_kernelIiLi16ELi32ELi8ELc78ELc78ELc76ELb0ELb0E19rocblas_complex_numIfES1_PKS1_PS1_EviT_T9_T10_S5_lS7_S5_lS6_T11_S5_li,comdat
	.globl	_ZL29rocblas_internal_gemmt_kernelIiLi16ELi32ELi8ELc78ELc78ELc76ELb0ELb0E19rocblas_complex_numIfES1_PKS1_PS1_EviT_T9_T10_S5_lS7_S5_lS6_T11_S5_li ; -- Begin function _ZL29rocblas_internal_gemmt_kernelIiLi16ELi32ELi8ELc78ELc78ELc76ELb0ELb0E19rocblas_complex_numIfES1_PKS1_PS1_EviT_T9_T10_S5_lS7_S5_lS6_T11_S5_li
	.p2align	8
	.type	_ZL29rocblas_internal_gemmt_kernelIiLi16ELi32ELi8ELc78ELc78ELc76ELb0ELb0E19rocblas_complex_numIfES1_PKS1_PS1_EviT_T9_T10_S5_lS7_S5_lS6_T11_S5_li,@function
_ZL29rocblas_internal_gemmt_kernelIiLi16ELi32ELi8ELc78ELc78ELc76ELb0ELb0E19rocblas_complex_numIfES1_PKS1_PS1_EviT_T9_T10_S5_lS7_S5_lS6_T11_S5_li: ; @_ZL29rocblas_internal_gemmt_kernelIiLi16ELi32ELi8ELc78ELc78ELc76ELb0ELb0E19rocblas_complex_numIfES1_PKS1_PS1_EviT_T9_T10_S5_lS7_S5_lS6_T11_S5_li
; %bb.0:
	s_load_dwordx2 s[16:17], s[0:1], 0x40
	s_load_dwordx4 s[8:11], s[0:1], 0x0
	s_waitcnt lgkmcnt(0)
	s_and_b32 s5, s17, 0x7fffffff
	s_cmp_eq_u32 s5, 0
	v_cmp_eq_f32_e64 s[6:7], s16, 1.0
	s_cselect_b64 s[18:19], -1, 0
	s_and_b64 s[6:7], s[6:7], s[18:19]
	s_and_b64 vcc, exec, s[6:7]
	s_cbranch_vccnz .LBB99_2
; %bb.1:
	s_mov_b64 s[6:7], -1
	s_cbranch_execz .LBB99_3
	s_branch .LBB99_4
.LBB99_2:
	s_mov_b64 s[6:7], 0
.LBB99_3:
	s_cmp_lg_u32 s9, 0
	v_cmp_neq_f32_e64 s[12:13], s10, 0
	v_cmp_neq_f32_e64 s[14:15], s11, 0
	s_cselect_b64 s[6:7], -1, 0
	s_or_b64 s[12:13], s[12:13], s[14:15]
	s_and_b64 s[6:7], s[6:7], s[12:13]
.LBB99_4:
	s_andn2_b64 vcc, exec, s[6:7]
	s_cbranch_vccnz .LBB99_28
; %bb.5:
	s_lshl_b32 s5, s2, 5
	s_lshl_b32 s20, s3, 5
	v_cmp_eq_f32_e64 s[2:3], s10, 0
	v_cmp_eq_f32_e64 s[6:7], s11, 0
	s_and_b64 s[2:3], s[2:3], s[6:7]
	s_cmp_lt_i32 s9, 1
	s_cselect_b64 s[6:7], -1, 0
	s_or_b64 s[2:3], s[2:3], s[6:7]
	v_and_b32_e32 v13, 0x3ff, v0
	v_bfe_u32 v15, v0, 10, 10
	s_mov_b32 s21, 0
	v_mov_b32_e32 v24, 0
	s_and_b64 vcc, exec, s[2:3]
	v_mov_b32_e32 v26, 0
	v_mov_b32_e32 v20, 0
	;; [unrolled: 1-line block ×7, first 2 shown]
	s_cbranch_vccnz .LBB99_12
; %bb.6:
	s_load_dwordx2 s[6:7], s[0:1], 0x10
	s_load_dword s22, s[0:1], 0x18
	v_lshl_add_u32 v0, v15, 4, v13
	s_load_dwordx4 s[12:15], s[0:1], 0x20
	s_load_dword s28, s[0:1], 0x30
	s_load_dwordx2 s[24:25], s[0:1], 0x38
	v_lshrrev_b32_e32 v19, 5, v0
	v_and_b32_e32 v4, 31, v0
	s_waitcnt lgkmcnt(0)
	v_mad_i64_i32 v[2:3], s[26:27], v19, s22, 0
	s_mul_i32 s13, s13, s4
	s_mul_hi_u32 s26, s12, s4
	v_lshrrev_b32_e32 v1, 3, v0
	v_or_b32_e32 v0, s5, v4
	s_add_i32 s13, s26, s13
	s_mul_i32 s12, s12, s4
	v_cmp_gt_i32_e32 vcc, s8, v0
	v_lshlrev_b32_e32 v0, 3, v4
	s_lshl_b64 s[12:13], s[12:13], 3
	v_add_u32_e32 v4, s5, v4
	v_lshl_add_u64 v[2:3], v[2:3], 3, s[12:13]
	v_ashrrev_i32_e32 v5, 31, v4
	v_add_u32_e32 v6, s20, v1
	v_lshl_add_u64 v[2:3], v[4:5], 3, v[2:3]
	v_and_b32_e32 v17, 7, v13
	v_lshl_add_u64 v[8:9], s[6:7], 0, v[2:3]
	v_mad_i64_i32 v[2:3], s[6:7], s28, v6, 0
	v_lshl_or_b32 v21, v19, 8, v0
	v_lshlrev_b32_e32 v0, 3, v17
	s_mul_i32 s6, s25, s4
	s_mul_hi_u32 s7, s24, s4
	v_lshl_or_b32 v1, v1, 6, v0
	s_add_i32 s7, s7, s6
	s_mul_i32 s6, s24, s4
	v_add_u32_e32 v23, 0x800, v1
	v_mov_b32_e32 v1, 0x800
	s_lshl_b64 s[6:7], s[6:7], 3
	v_lshl_add_u32 v27, v15, 6, v1
	v_lshl_add_u64 v[2:3], v[2:3], 3, s[6:7]
	v_mov_b32_e32 v1, 0
	s_ashr_i32 s23, s22, 31
	v_lshl_add_u64 v[2:3], v[2:3], 0, v[0:1]
	v_cmp_gt_i32_e64 s[2:3], s8, v6
	v_lshlrev_b32_e32 v25, 3, v13
	s_lshl_b64 s[12:13], s[22:23], 6
	v_lshl_add_u64 v[10:11], s[14:15], 0, v[2:3]
	v_mov_b32_e32 v14, v1
	v_mov_b32_e32 v12, v1
	;; [unrolled: 1-line block ×8, first 2 shown]
	s_branch .LBB99_8
.LBB99_7:                               ;   in Loop: Header=BB99_8 Depth=1
	s_or_b64 exec, exec, s[6:7]
	s_waitcnt vmcnt(0)
	ds_write_b64 v23, v[0:1]
	s_waitcnt lgkmcnt(0)
	s_barrier
	ds_read2_b64 v[28:31], v25 offset1:16
	ds_read_b128 v[32:35], v27
	ds_read_b128 v[36:39], v27 offset:16
	ds_read_b128 v[4:7], v27 offset:32
	;; [unrolled: 1-line block ×3, first 2 shown]
	ds_read2_b64 v[48:51], v25 offset0:32 offset1:48
	s_waitcnt lgkmcnt(4)
	v_mul_f32_e32 v40, v33, v29
	v_fma_f32 v40, v32, v28, -v40
	v_mul_f32_e32 v41, v32, v29
	v_fmac_f32_e32 v41, v33, v28
	v_add_f32_e32 v24, v24, v40
	v_mul_f32_e32 v40, v33, v31
	v_add_f32_e32 v26, v26, v41
	v_fma_f32 v44, v32, v30, -v40
	ds_read_b128 v[40:43], v27 offset:1024
	v_mul_f32_e32 v32, v32, v31
	v_fmac_f32_e32 v32, v33, v30
	v_add_f32_e32 v20, v20, v44
	v_add_f32_e32 v22, v22, v32
	ds_read_b128 v[44:47], v27 offset:1040
	s_waitcnt lgkmcnt(1)
	v_mul_f32_e32 v32, v41, v29
	v_mul_f32_e32 v29, v40, v29
	v_fma_f32 v32, v40, v28, -v32
	v_fmac_f32_e32 v29, v41, v28
	v_mul_f32_e32 v28, v41, v31
	v_add_f32_e32 v18, v18, v29
	v_fma_f32 v28, v40, v30, -v28
	v_mul_f32_e32 v29, v40, v31
	v_fmac_f32_e32 v29, v41, v30
	v_add_f32_e32 v12, v12, v28
	v_mul_f32_e32 v28, v35, v49
	v_add_f32_e32 v14, v14, v29
	v_fma_f32 v28, v34, v48, -v28
	v_mul_f32_e32 v29, v34, v49
	v_fmac_f32_e32 v29, v35, v48
	v_add_f32_e32 v24, v24, v28
	;; [unrolled: 6-line block ×3, first 2 shown]
	v_mul_f32_e32 v28, v43, v49
	v_add_f32_e32 v16, v16, v32
	v_add_f32_e32 v22, v22, v29
	v_fma_f32 v28, v42, v48, -v28
	v_mul_f32_e32 v29, v42, v49
	v_fmac_f32_e32 v29, v43, v48
	v_add_f32_e32 v16, v16, v28
	v_mul_f32_e32 v28, v43, v51
	v_add_f32_e32 v18, v18, v29
	v_fma_f32 v32, v42, v50, -v28
	ds_read2_b64 v[28:31], v25 offset0:64 offset1:80
	v_mul_f32_e32 v33, v42, v51
	v_add_f32_e32 v12, v12, v32
	v_fmac_f32_e32 v33, v43, v50
	v_add_f32_e32 v14, v14, v33
	s_waitcnt lgkmcnt(0)
	v_mul_f32_e32 v32, v37, v29
	v_fma_f32 v32, v36, v28, -v32
	v_mul_f32_e32 v33, v36, v29
	v_add_f32_e32 v24, v24, v32
	v_mul_f32_e32 v32, v37, v31
	v_fmac_f32_e32 v33, v37, v28
	v_fma_f32 v32, v36, v30, -v32
	v_add_f32_e32 v26, v26, v33
	v_mul_f32_e32 v33, v36, v31
	v_add_f32_e32 v20, v20, v32
	v_mul_f32_e32 v32, v45, v29
	v_fmac_f32_e32 v33, v37, v30
	v_fma_f32 v32, v44, v28, -v32
	v_add_f32_e32 v22, v22, v33
	v_add_f32_e32 v16, v16, v32
	ds_read2_b64 v[32:35], v25 offset0:96 offset1:112
	v_mul_f32_e32 v29, v44, v29
	v_fmac_f32_e32 v29, v45, v28
	v_mul_f32_e32 v28, v45, v31
	v_add_f32_e32 v18, v18, v29
	v_fma_f32 v28, v44, v30, -v28
	v_mul_f32_e32 v29, v44, v31
	v_fmac_f32_e32 v29, v45, v30
	v_add_f32_e32 v12, v12, v28
	s_waitcnt lgkmcnt(0)
	v_mul_f32_e32 v28, v39, v33
	v_add_f32_e32 v14, v14, v29
	v_fma_f32 v28, v38, v32, -v28
	v_mul_f32_e32 v29, v38, v33
	v_fmac_f32_e32 v29, v39, v32
	v_add_f32_e32 v24, v24, v28
	v_mul_f32_e32 v28, v39, v35
	v_add_f32_e32 v26, v26, v29
	v_fma_f32 v28, v38, v34, -v28
	v_mul_f32_e32 v29, v38, v35
	v_fmac_f32_e32 v29, v39, v34
	v_add_f32_e32 v20, v20, v28
	;; [unrolled: 6-line block ×3, first 2 shown]
	v_mul_f32_e32 v28, v47, v35
	v_add_f32_e32 v18, v18, v29
	v_fma_f32 v32, v46, v34, -v28
	ds_read2_b64 v[28:31], v25 offset0:128 offset1:144
	v_mul_f32_e32 v33, v46, v35
	v_fmac_f32_e32 v33, v47, v34
	v_add_f32_e32 v12, v12, v32
	v_add_f32_e32 v14, v14, v33
	s_waitcnt lgkmcnt(0)
	v_mul_f32_e32 v32, v5, v29
	v_fma_f32 v32, v4, v28, -v32
	v_mul_f32_e32 v33, v4, v29
	v_fmac_f32_e32 v33, v5, v28
	v_add_f32_e32 v24, v24, v32
	v_mul_f32_e32 v32, v5, v31
	v_add_f32_e32 v26, v26, v33
	v_fma_f32 v36, v4, v30, -v32
	ds_read_b128 v[32:35], v27 offset:1056
	v_mul_f32_e32 v4, v4, v31
	ds_read2_b64 v[40:43], v25 offset0:160 offset1:176
	v_fmac_f32_e32 v4, v5, v30
	v_add_f32_e32 v5, v20, v36
	ds_read_b128 v[36:39], v27 offset:1072
	s_waitcnt lgkmcnt(2)
	v_mul_f32_e32 v20, v33, v29
	v_fma_f32 v20, v32, v28, -v20
	v_add_f32_e32 v16, v16, v20
	v_mul_f32_e32 v20, v33, v31
	v_add_f32_e32 v4, v22, v4
	v_mul_f32_e32 v22, v32, v29
	v_fma_f32 v20, v32, v30, -v20
	v_fmac_f32_e32 v22, v33, v28
	v_add_f32_e32 v12, v12, v20
	s_waitcnt lgkmcnt(1)
	v_mul_f32_e32 v20, v7, v41
	v_add_f32_e32 v18, v18, v22
	v_mul_f32_e32 v22, v32, v31
	v_fma_f32 v20, v6, v40, -v20
	v_fmac_f32_e32 v22, v33, v30
	v_add_f32_e32 v20, v24, v20
	v_mul_f32_e32 v24, v7, v43
	v_add_f32_e32 v14, v14, v22
	v_mul_f32_e32 v22, v6, v41
	v_fma_f32 v24, v6, v42, -v24
	v_mul_f32_e32 v6, v6, v43
	v_fmac_f32_e32 v22, v7, v40
	v_fmac_f32_e32 v6, v7, v42
	v_add_f32_e32 v22, v26, v22
	v_add_f32_e32 v26, v4, v6
	v_mul_f32_e32 v4, v35, v41
	v_add_f32_e32 v24, v5, v24
	v_fma_f32 v4, v34, v40, -v4
	v_mul_f32_e32 v5, v34, v41
	v_fmac_f32_e32 v5, v35, v40
	v_add_f32_e32 v16, v16, v4
	v_mul_f32_e32 v4, v35, v43
	v_add_f32_e32 v18, v18, v5
	v_fma_f32 v28, v34, v42, -v4
	ds_read2_b64 v[4:7], v25 offset0:192 offset1:208
	v_mul_f32_e32 v29, v34, v43
	v_add_f32_e32 v12, v12, v28
	v_fmac_f32_e32 v29, v35, v42
	v_add_f32_e32 v14, v14, v29
	s_waitcnt lgkmcnt(0)
	v_mul_f32_e32 v28, v1, v5
	v_fma_f32 v28, v0, v4, -v28
	v_mul_f32_e32 v29, v0, v5
	v_add_f32_e32 v20, v20, v28
	v_mul_f32_e32 v28, v1, v7
	v_fmac_f32_e32 v29, v1, v4
	v_fma_f32 v28, v0, v6, -v28
	v_mul_f32_e32 v0, v0, v7
	v_add_f32_e32 v22, v22, v29
	v_fmac_f32_e32 v0, v1, v6
	v_add_f32_e32 v1, v24, v28
	ds_read2_b64 v[28:31], v25 offset0:224 offset1:240
	v_mul_f32_e32 v24, v37, v5
	v_fma_f32 v24, v36, v4, -v24
	v_mul_f32_e32 v5, v36, v5
	v_fmac_f32_e32 v5, v37, v4
	v_add_f32_e32 v4, v16, v24
	v_mul_f32_e32 v16, v37, v7
	v_fma_f32 v16, v36, v6, -v16
	v_mul_f32_e32 v7, v36, v7
	v_fmac_f32_e32 v7, v37, v6
	v_add_f32_e32 v6, v12, v16
	s_waitcnt lgkmcnt(0)
	v_mul_f32_e32 v12, v3, v29
	v_fma_f32 v12, v2, v28, -v12
	v_add_f32_e32 v24, v20, v12
	v_mul_f32_e32 v12, v3, v31
	v_add_f32_e32 v7, v14, v7
	v_mul_f32_e32 v14, v2, v29
	v_fma_f32 v12, v2, v30, -v12
	v_mul_f32_e32 v2, v2, v31
	v_add_f32_e32 v0, v26, v0
	v_fmac_f32_e32 v14, v3, v28
	v_fmac_f32_e32 v2, v3, v30
	v_add_f32_e32 v26, v22, v14
	v_add_f32_e32 v20, v1, v12
	;; [unrolled: 1-line block ×3, first 2 shown]
	v_mul_f32_e32 v0, v39, v29
	v_mul_f32_e32 v1, v38, v29
	v_add_f32_e32 v5, v18, v5
	v_fma_f32 v0, v38, v28, -v0
	v_fmac_f32_e32 v1, v39, v28
	v_add_f32_e32 v16, v4, v0
	v_add_f32_e32 v18, v5, v1
	v_mul_f32_e32 v0, v39, v31
	v_mul_f32_e32 v1, v38, v31
	v_fma_f32 v0, v38, v30, -v0
	v_fmac_f32_e32 v1, v39, v30
	s_add_i32 s21, s21, 8
	v_add_f32_e32 v12, v6, v0
	v_add_f32_e32 v14, v7, v1
	v_lshl_add_u64 v[8:9], v[8:9], 0, s[12:13]
	s_cmp_lt_i32 s21, s9
	v_lshl_add_u64 v[10:11], v[10:11], 0, 64
	s_barrier
	s_cbranch_scc0 .LBB99_12
.LBB99_8:                               ; =>This Inner Loop Header: Depth=1
	v_add_u32_e32 v0, s21, v19
	v_cmp_gt_i32_e64 s[6:7], s9, v0
	s_and_b64 s[14:15], vcc, s[6:7]
	v_mov_b32_e32 v0, 0
	v_mov_b32_e32 v1, 0
	s_and_saveexec_b64 s[6:7], s[14:15]
	s_cbranch_execz .LBB99_10
; %bb.9:                                ;   in Loop: Header=BB99_8 Depth=1
	global_load_dwordx2 v[0:1], v[8:9], off
.LBB99_10:                              ;   in Loop: Header=BB99_8 Depth=1
	s_or_b64 exec, exec, s[6:7]
	s_waitcnt vmcnt(0)
	ds_write_b64 v21, v[0:1]
	v_add_u32_e32 v0, s21, v17
	v_cmp_gt_i32_e64 s[6:7], s9, v0
	s_and_b64 s[14:15], s[6:7], s[2:3]
	v_mov_b32_e32 v0, 0
	v_mov_b32_e32 v1, 0
	s_and_saveexec_b64 s[6:7], s[14:15]
	s_cbranch_execz .LBB99_7
; %bb.11:                               ;   in Loop: Header=BB99_8 Depth=1
	global_load_dwordx2 v[0:1], v[10:11], off
	s_branch .LBB99_7
.LBB99_12:
	s_load_dwordx2 s[2:3], s[0:1], 0x58
	s_load_dwordx2 s[6:7], s[0:1], 0x48
	s_load_dword s12, s[0:1], 0x50
	v_add_u32_e32 v0, s5, v13
	v_add_u32_e32 v10, s20, v15
	s_waitcnt lgkmcnt(0)
	s_mul_i32 s1, s3, s4
	s_mul_hi_u32 s3, s2, s4
	s_mul_i32 s0, s2, s4
	s_add_i32 s1, s3, s1
	s_lshl_b64 s[0:1], s[0:1], 3
	s_add_u32 s6, s6, s0
	s_addc_u32 s7, s7, s1
	v_cmp_neq_f32_e64 s[0:1], s16, 0
	s_xor_b64 s[4:5], s[18:19], -1
	v_mad_i64_i32 v[2:3], s[2:3], v10, s12, 0
	s_or_b64 s[0:1], s[0:1], s[4:5]
	v_lshl_add_u64 v[4:5], v[2:3], 3, s[6:7]
	v_cmp_le_i32_e32 vcc, v10, v0
	v_cmp_gt_i32_e64 s[2:3], s8, v0
	v_cndmask_b32_e64 v2, 0, 1, s[0:1]
	s_and_b64 s[14:15], vcc, s[2:3]
	v_ashrrev_i32_e32 v1, 31, v0
	v_cmp_ne_u32_e64 s[0:1], 1, v2
	s_and_saveexec_b64 s[4:5], s[14:15]
	s_cbranch_execz .LBB99_16
; %bb.13:
	v_pk_mul_f32 v[6:7], v[26:27], s[10:11] op_sel:[0,1] op_sel_hi:[0,0]
	v_pk_fma_f32 v[2:3], v[24:25], s[10:11], v[6:7] op_sel_hi:[0,1,1] neg_lo:[0,0,1] neg_hi:[0,0,1]
	v_pk_fma_f32 v[8:9], v[24:25], s[10:11], v[6:7] op_sel_hi:[0,1,1]
	s_and_b64 vcc, exec, s[0:1]
	v_lshl_add_u64 v[6:7], v[0:1], 3, v[4:5]
	s_cbranch_vccnz .LBB99_15
; %bb.14:
	global_load_dwordx2 v[24:25], v[6:7], off
	s_mov_b32 s14, s17
	v_mov_b32_e32 v3, v9
	s_waitcnt vmcnt(0)
	v_pk_mul_f32 v[8:9], v[24:25], s[14:15] op_sel:[1,0] op_sel_hi:[0,0]
	v_pk_fma_f32 v[26:27], v[24:25], s[16:17], v[8:9] neg_lo:[0,0,1] neg_hi:[0,0,1]
	v_pk_fma_f32 v[8:9], v[24:25], s[16:17], v[8:9] op_sel_hi:[1,0,1]
	s_nop 0
	v_mov_b32_e32 v27, v9
	v_pk_add_f32 v[2:3], v[2:3], v[26:27]
	s_nop 0
	v_mov_b32_e32 v9, v3
.LBB99_15:
	v_mov_b32_e32 v3, v9
	global_store_dwordx2 v[6:7], v[2:3], off
.LBB99_16:
	s_or_b64 exec, exec, s[4:5]
	v_add_u32_e32 v2, 16, v0
	v_cmp_le_i32_e32 vcc, v10, v2
	v_cmp_gt_i32_e64 s[4:5], s8, v2
	s_and_b64 s[14:15], vcc, s[4:5]
	v_ashrrev_i32_e32 v3, 31, v2
	s_and_saveexec_b64 s[8:9], s[14:15]
	s_cbranch_execz .LBB99_20
; %bb.17:
	v_pk_mul_f32 v[8:9], v[22:23], s[10:11] op_sel:[0,1] op_sel_hi:[0,0]
	v_pk_fma_f32 v[6:7], v[20:21], s[10:11], v[8:9] op_sel_hi:[0,1,1] neg_lo:[0,0,1] neg_hi:[0,0,1]
	v_pk_fma_f32 v[8:9], v[20:21], s[10:11], v[8:9] op_sel_hi:[0,1,1]
	s_and_b64 vcc, exec, s[0:1]
	v_lshl_add_u64 v[4:5], v[2:3], 3, v[4:5]
	s_cbranch_vccnz .LBB99_19
; %bb.18:
	global_load_dwordx2 v[20:21], v[4:5], off
	s_mov_b32 s14, s17
	v_mov_b32_e32 v7, v9
	s_waitcnt vmcnt(0)
	v_pk_mul_f32 v[8:9], v[20:21], s[14:15] op_sel:[1,0] op_sel_hi:[0,0]
	v_pk_fma_f32 v[22:23], v[20:21], s[16:17], v[8:9] neg_lo:[0,0,1] neg_hi:[0,0,1]
	v_pk_fma_f32 v[8:9], v[20:21], s[16:17], v[8:9] op_sel_hi:[1,0,1]
	s_nop 0
	v_mov_b32_e32 v23, v9
	v_pk_add_f32 v[6:7], v[6:7], v[22:23]
	s_nop 0
	v_mov_b32_e32 v9, v7
.LBB99_19:
	v_mov_b32_e32 v7, v9
	global_store_dwordx2 v[4:5], v[6:7], off
.LBB99_20:
	s_or_b64 exec, exec, s[8:9]
	v_add_u32_e32 v10, 16, v10
	v_mad_i64_i32 v[4:5], s[8:9], v10, s12, 0
	v_cmp_le_i32_e32 vcc, v10, v0
	v_lshl_add_u64 v[4:5], v[4:5], 3, s[6:7]
	s_and_b64 s[6:7], vcc, s[2:3]
	s_and_saveexec_b64 s[2:3], s[6:7]
	s_cbranch_execz .LBB99_24
; %bb.21:
	v_pk_mul_f32 v[8:9], v[18:19], s[10:11] op_sel:[0,1] op_sel_hi:[0,0]
	v_pk_fma_f32 v[6:7], v[16:17], s[10:11], v[8:9] op_sel_hi:[0,1,1] neg_lo:[0,0,1] neg_hi:[0,0,1]
	v_pk_fma_f32 v[8:9], v[16:17], s[10:11], v[8:9] op_sel_hi:[0,1,1]
	s_and_b64 vcc, exec, s[0:1]
	v_lshl_add_u64 v[0:1], v[0:1], 3, v[4:5]
	s_cbranch_vccnz .LBB99_23
; %bb.22:
	global_load_dwordx2 v[16:17], v[0:1], off
	s_mov_b32 s6, s17
	v_mov_b32_e32 v7, v9
	s_waitcnt vmcnt(0)
	v_pk_mul_f32 v[8:9], v[16:17], s[6:7] op_sel:[1,0] op_sel_hi:[0,0]
	v_pk_fma_f32 v[18:19], v[16:17], s[16:17], v[8:9] neg_lo:[0,0,1] neg_hi:[0,0,1]
	v_pk_fma_f32 v[8:9], v[16:17], s[16:17], v[8:9] op_sel_hi:[1,0,1]
	s_nop 0
	v_mov_b32_e32 v19, v9
	v_pk_add_f32 v[6:7], v[6:7], v[18:19]
	s_nop 0
	v_mov_b32_e32 v9, v7
.LBB99_23:
	v_mov_b32_e32 v7, v9
	global_store_dwordx2 v[0:1], v[6:7], off
.LBB99_24:
	s_or_b64 exec, exec, s[2:3]
	v_cmp_le_i32_e32 vcc, v10, v2
	s_and_b64 s[2:3], vcc, s[4:5]
	s_and_saveexec_b64 s[4:5], s[2:3]
	s_cbranch_execz .LBB99_28
; %bb.25:
	v_pk_mul_f32 v[6:7], v[14:15], s[10:11] op_sel:[0,1] op_sel_hi:[0,0]
	v_pk_fma_f32 v[0:1], v[12:13], s[10:11], v[6:7] op_sel_hi:[0,1,1] neg_lo:[0,0,1] neg_hi:[0,0,1]
	v_pk_fma_f32 v[6:7], v[12:13], s[10:11], v[6:7] op_sel_hi:[0,1,1]
	s_and_b64 vcc, exec, s[0:1]
	v_lshl_add_u64 v[2:3], v[2:3], 3, v[4:5]
	s_cbranch_vccnz .LBB99_27
; %bb.26:
	global_load_dwordx2 v[4:5], v[2:3], off
	s_mov_b32 s0, s17
	v_mov_b32_e32 v1, v7
	s_waitcnt vmcnt(0)
	v_pk_mul_f32 v[6:7], v[4:5], s[0:1] op_sel:[1,0] op_sel_hi:[0,0]
	v_pk_fma_f32 v[8:9], v[4:5], s[16:17], v[6:7] neg_lo:[0,0,1] neg_hi:[0,0,1]
	v_pk_fma_f32 v[4:5], v[4:5], s[16:17], v[6:7] op_sel_hi:[1,0,1]
	s_nop 0
	v_mov_b32_e32 v9, v5
	v_pk_add_f32 v[0:1], v[0:1], v[8:9]
	s_nop 0
	v_mov_b32_e32 v7, v1
.LBB99_27:
	v_mov_b32_e32 v1, v7
	global_store_dwordx2 v[2:3], v[0:1], off
.LBB99_28:
	s_endpgm
	.section	.rodata,"a",@progbits
	.p2align	6, 0x0
	.amdhsa_kernel _ZL29rocblas_internal_gemmt_kernelIiLi16ELi32ELi8ELc78ELc78ELc76ELb0ELb0E19rocblas_complex_numIfES1_PKS1_PS1_EviT_T9_T10_S5_lS7_S5_lS6_T11_S5_li
		.amdhsa_group_segment_fixed_size 4096
		.amdhsa_private_segment_fixed_size 0
		.amdhsa_kernarg_size 100
		.amdhsa_user_sgpr_count 2
		.amdhsa_user_sgpr_dispatch_ptr 0
		.amdhsa_user_sgpr_queue_ptr 0
		.amdhsa_user_sgpr_kernarg_segment_ptr 1
		.amdhsa_user_sgpr_dispatch_id 0
		.amdhsa_user_sgpr_kernarg_preload_length 0
		.amdhsa_user_sgpr_kernarg_preload_offset 0
		.amdhsa_user_sgpr_private_segment_size 0
		.amdhsa_uses_dynamic_stack 0
		.amdhsa_enable_private_segment 0
		.amdhsa_system_sgpr_workgroup_id_x 1
		.amdhsa_system_sgpr_workgroup_id_y 1
		.amdhsa_system_sgpr_workgroup_id_z 1
		.amdhsa_system_sgpr_workgroup_info 0
		.amdhsa_system_vgpr_workitem_id 1
		.amdhsa_next_free_vgpr 52
		.amdhsa_next_free_sgpr 29
		.amdhsa_accum_offset 52
		.amdhsa_reserve_vcc 1
		.amdhsa_float_round_mode_32 0
		.amdhsa_float_round_mode_16_64 0
		.amdhsa_float_denorm_mode_32 3
		.amdhsa_float_denorm_mode_16_64 3
		.amdhsa_dx10_clamp 1
		.amdhsa_ieee_mode 1
		.amdhsa_fp16_overflow 0
		.amdhsa_tg_split 0
		.amdhsa_exception_fp_ieee_invalid_op 0
		.amdhsa_exception_fp_denorm_src 0
		.amdhsa_exception_fp_ieee_div_zero 0
		.amdhsa_exception_fp_ieee_overflow 0
		.amdhsa_exception_fp_ieee_underflow 0
		.amdhsa_exception_fp_ieee_inexact 0
		.amdhsa_exception_int_div_zero 0
	.end_amdhsa_kernel
	.section	.text._ZL29rocblas_internal_gemmt_kernelIiLi16ELi32ELi8ELc78ELc78ELc76ELb0ELb0E19rocblas_complex_numIfES1_PKS1_PS1_EviT_T9_T10_S5_lS7_S5_lS6_T11_S5_li,"axG",@progbits,_ZL29rocblas_internal_gemmt_kernelIiLi16ELi32ELi8ELc78ELc78ELc76ELb0ELb0E19rocblas_complex_numIfES1_PKS1_PS1_EviT_T9_T10_S5_lS7_S5_lS6_T11_S5_li,comdat
.Lfunc_end99:
	.size	_ZL29rocblas_internal_gemmt_kernelIiLi16ELi32ELi8ELc78ELc78ELc76ELb0ELb0E19rocblas_complex_numIfES1_PKS1_PS1_EviT_T9_T10_S5_lS7_S5_lS6_T11_S5_li, .Lfunc_end99-_ZL29rocblas_internal_gemmt_kernelIiLi16ELi32ELi8ELc78ELc78ELc76ELb0ELb0E19rocblas_complex_numIfES1_PKS1_PS1_EviT_T9_T10_S5_lS7_S5_lS6_T11_S5_li
                                        ; -- End function
	.set _ZL29rocblas_internal_gemmt_kernelIiLi16ELi32ELi8ELc78ELc78ELc76ELb0ELb0E19rocblas_complex_numIfES1_PKS1_PS1_EviT_T9_T10_S5_lS7_S5_lS6_T11_S5_li.num_vgpr, 52
	.set _ZL29rocblas_internal_gemmt_kernelIiLi16ELi32ELi8ELc78ELc78ELc76ELb0ELb0E19rocblas_complex_numIfES1_PKS1_PS1_EviT_T9_T10_S5_lS7_S5_lS6_T11_S5_li.num_agpr, 0
	.set _ZL29rocblas_internal_gemmt_kernelIiLi16ELi32ELi8ELc78ELc78ELc76ELb0ELb0E19rocblas_complex_numIfES1_PKS1_PS1_EviT_T9_T10_S5_lS7_S5_lS6_T11_S5_li.numbered_sgpr, 29
	.set _ZL29rocblas_internal_gemmt_kernelIiLi16ELi32ELi8ELc78ELc78ELc76ELb0ELb0E19rocblas_complex_numIfES1_PKS1_PS1_EviT_T9_T10_S5_lS7_S5_lS6_T11_S5_li.num_named_barrier, 0
	.set _ZL29rocblas_internal_gemmt_kernelIiLi16ELi32ELi8ELc78ELc78ELc76ELb0ELb0E19rocblas_complex_numIfES1_PKS1_PS1_EviT_T9_T10_S5_lS7_S5_lS6_T11_S5_li.private_seg_size, 0
	.set _ZL29rocblas_internal_gemmt_kernelIiLi16ELi32ELi8ELc78ELc78ELc76ELb0ELb0E19rocblas_complex_numIfES1_PKS1_PS1_EviT_T9_T10_S5_lS7_S5_lS6_T11_S5_li.uses_vcc, 1
	.set _ZL29rocblas_internal_gemmt_kernelIiLi16ELi32ELi8ELc78ELc78ELc76ELb0ELb0E19rocblas_complex_numIfES1_PKS1_PS1_EviT_T9_T10_S5_lS7_S5_lS6_T11_S5_li.uses_flat_scratch, 0
	.set _ZL29rocblas_internal_gemmt_kernelIiLi16ELi32ELi8ELc78ELc78ELc76ELb0ELb0E19rocblas_complex_numIfES1_PKS1_PS1_EviT_T9_T10_S5_lS7_S5_lS6_T11_S5_li.has_dyn_sized_stack, 0
	.set _ZL29rocblas_internal_gemmt_kernelIiLi16ELi32ELi8ELc78ELc78ELc76ELb0ELb0E19rocblas_complex_numIfES1_PKS1_PS1_EviT_T9_T10_S5_lS7_S5_lS6_T11_S5_li.has_recursion, 0
	.set _ZL29rocblas_internal_gemmt_kernelIiLi16ELi32ELi8ELc78ELc78ELc76ELb0ELb0E19rocblas_complex_numIfES1_PKS1_PS1_EviT_T9_T10_S5_lS7_S5_lS6_T11_S5_li.has_indirect_call, 0
	.section	.AMDGPU.csdata,"",@progbits
; Kernel info:
; codeLenInByte = 2448
; TotalNumSgprs: 35
; NumVgprs: 52
; NumAgprs: 0
; TotalNumVgprs: 52
; ScratchSize: 0
; MemoryBound: 0
; FloatMode: 240
; IeeeMode: 1
; LDSByteSize: 4096 bytes/workgroup (compile time only)
; SGPRBlocks: 4
; VGPRBlocks: 6
; NumSGPRsForWavesPerEU: 35
; NumVGPRsForWavesPerEU: 52
; AccumOffset: 52
; Occupancy: 8
; WaveLimiterHint : 0
; COMPUTE_PGM_RSRC2:SCRATCH_EN: 0
; COMPUTE_PGM_RSRC2:USER_SGPR: 2
; COMPUTE_PGM_RSRC2:TRAP_HANDLER: 0
; COMPUTE_PGM_RSRC2:TGID_X_EN: 1
; COMPUTE_PGM_RSRC2:TGID_Y_EN: 1
; COMPUTE_PGM_RSRC2:TGID_Z_EN: 1
; COMPUTE_PGM_RSRC2:TIDIG_COMP_CNT: 1
; COMPUTE_PGM_RSRC3_GFX90A:ACCUM_OFFSET: 12
; COMPUTE_PGM_RSRC3_GFX90A:TG_SPLIT: 0
	.section	.text._ZL29rocblas_internal_gemmt_kernelIiLi16ELi32ELi8ELc78ELc84ELc76ELb0ELb0E19rocblas_complex_numIfES1_PKS1_PS1_EviT_T9_T10_S5_lS7_S5_lS6_T11_S5_li,"axG",@progbits,_ZL29rocblas_internal_gemmt_kernelIiLi16ELi32ELi8ELc78ELc84ELc76ELb0ELb0E19rocblas_complex_numIfES1_PKS1_PS1_EviT_T9_T10_S5_lS7_S5_lS6_T11_S5_li,comdat
	.globl	_ZL29rocblas_internal_gemmt_kernelIiLi16ELi32ELi8ELc78ELc84ELc76ELb0ELb0E19rocblas_complex_numIfES1_PKS1_PS1_EviT_T9_T10_S5_lS7_S5_lS6_T11_S5_li ; -- Begin function _ZL29rocblas_internal_gemmt_kernelIiLi16ELi32ELi8ELc78ELc84ELc76ELb0ELb0E19rocblas_complex_numIfES1_PKS1_PS1_EviT_T9_T10_S5_lS7_S5_lS6_T11_S5_li
	.p2align	8
	.type	_ZL29rocblas_internal_gemmt_kernelIiLi16ELi32ELi8ELc78ELc84ELc76ELb0ELb0E19rocblas_complex_numIfES1_PKS1_PS1_EviT_T9_T10_S5_lS7_S5_lS6_T11_S5_li,@function
_ZL29rocblas_internal_gemmt_kernelIiLi16ELi32ELi8ELc78ELc84ELc76ELb0ELb0E19rocblas_complex_numIfES1_PKS1_PS1_EviT_T9_T10_S5_lS7_S5_lS6_T11_S5_li: ; @_ZL29rocblas_internal_gemmt_kernelIiLi16ELi32ELi8ELc78ELc84ELc76ELb0ELb0E19rocblas_complex_numIfES1_PKS1_PS1_EviT_T9_T10_S5_lS7_S5_lS6_T11_S5_li
; %bb.0:
	s_load_dwordx2 s[16:17], s[0:1], 0x40
	s_load_dwordx4 s[8:11], s[0:1], 0x0
	s_waitcnt lgkmcnt(0)
	s_and_b32 s5, s17, 0x7fffffff
	s_cmp_eq_u32 s5, 0
	v_cmp_eq_f32_e64 s[6:7], s16, 1.0
	s_cselect_b64 s[18:19], -1, 0
	s_and_b64 s[6:7], s[6:7], s[18:19]
	s_and_b64 vcc, exec, s[6:7]
	s_cbranch_vccnz .LBB100_2
; %bb.1:
	s_mov_b64 s[6:7], -1
	s_cbranch_execz .LBB100_3
	s_branch .LBB100_4
.LBB100_2:
	s_mov_b64 s[6:7], 0
.LBB100_3:
	s_cmp_lg_u32 s9, 0
	v_cmp_neq_f32_e64 s[12:13], s10, 0
	v_cmp_neq_f32_e64 s[14:15], s11, 0
	s_cselect_b64 s[6:7], -1, 0
	s_or_b64 s[12:13], s[12:13], s[14:15]
	s_and_b64 s[6:7], s[6:7], s[12:13]
.LBB100_4:
	s_andn2_b64 vcc, exec, s[6:7]
	s_cbranch_vccnz .LBB100_28
; %bb.5:
	s_lshl_b32 s5, s2, 5
	s_lshl_b32 s20, s3, 5
	v_cmp_eq_f32_e64 s[2:3], s10, 0
	v_cmp_eq_f32_e64 s[6:7], s11, 0
	s_and_b64 s[2:3], s[2:3], s[6:7]
	s_cmp_lt_i32 s9, 1
	s_cselect_b64 s[6:7], -1, 0
	s_or_b64 s[2:3], s[2:3], s[6:7]
	v_and_b32_e32 v13, 0x3ff, v0
	v_bfe_u32 v15, v0, 10, 10
	s_mov_b32 s21, 0
	v_mov_b32_e32 v24, 0
	s_and_b64 vcc, exec, s[2:3]
	v_mov_b32_e32 v26, 0
	v_mov_b32_e32 v20, 0
	;; [unrolled: 1-line block ×7, first 2 shown]
	s_cbranch_vccnz .LBB100_12
; %bb.6:
	v_lshl_add_u32 v1, v15, 4, v13
	v_and_b32_e32 v4, 31, v1
	v_lshrrev_b32_e32 v19, 5, v1
	v_lshrrev_b32_e32 v2, 3, v1
	v_or_b32_e32 v1, s5, v4
	s_load_dwordx2 s[6:7], s[0:1], 0x10
	s_load_dword s22, s[0:1], 0x18
	s_load_dwordx4 s[12:15], s[0:1], 0x20
	s_load_dword s24, s[0:1], 0x30
	v_and_b32_e32 v17, 7, v13
	v_cmp_gt_i32_e32 vcc, s8, v1
	v_lshlrev_b32_e32 v1, 3, v4
	v_lshl_or_b32 v21, v19, 8, v1
	v_lshlrev_b32_e32 v1, 3, v17
	v_add_u32_e32 v0, s20, v2
	v_lshl_or_b32 v1, v2, 6, v1
	v_mov_b32_e32 v2, 0x800
	v_lshl_add_u32 v27, v15, 6, v2
	s_waitcnt lgkmcnt(0)
	v_mad_i64_i32 v[2:3], s[28:29], v19, s22, 0
	s_load_dwordx2 s[26:27], s[0:1], 0x38
	s_mul_i32 s13, s13, s4
	s_mul_hi_u32 s28, s12, s4
	s_add_i32 s13, s28, s13
	s_mul_i32 s12, s12, s4
	s_lshl_b64 s[12:13], s[12:13], 3
	v_add_u32_e32 v4, s5, v4
	v_lshl_add_u64 v[2:3], v[2:3], 3, s[12:13]
	v_ashrrev_i32_e32 v5, 31, v4
	s_ashr_i32 s23, s22, 31
	v_lshl_add_u64 v[2:3], v[4:5], 3, v[2:3]
	v_lshl_add_u64 v[8:9], s[6:7], 0, v[2:3]
	s_lshl_b64 s[12:13], s[22:23], 6
	s_waitcnt lgkmcnt(0)
	s_mul_i32 s6, s27, s4
	s_mul_hi_u32 s7, s26, s4
	v_mad_i64_i32 v[2:3], s[22:23], s24, v17, 0
	s_add_i32 s7, s7, s6
	s_mul_i32 s6, s26, s4
	v_lshlrev_b64 v[2:3], 3, v[2:3]
	v_add_u32_e32 v23, 0x800, v1
	v_ashrrev_i32_e32 v1, 31, v0
	v_lshl_add_u64 v[2:3], s[6:7], 3, v[2:3]
	s_ashr_i32 s25, s24, 31
	v_cmp_gt_i32_e64 s[2:3], s8, v0
	v_lshl_add_u64 v[0:1], v[0:1], 3, v[2:3]
	v_lshlrev_b32_e32 v25, 3, v13
	v_lshl_add_u64 v[10:11], s[14:15], 0, v[0:1]
	s_lshl_b64 s[14:15], s[24:25], 6
	v_mov_b32_e32 v12, 0
	v_mov_b32_e32 v14, 0
	;; [unrolled: 1-line block ×8, first 2 shown]
	s_branch .LBB100_8
.LBB100_7:                              ;   in Loop: Header=BB100_8 Depth=1
	s_or_b64 exec, exec, s[6:7]
	s_waitcnt vmcnt(0)
	ds_write_b64 v23, v[0:1]
	s_waitcnt lgkmcnt(0)
	s_barrier
	ds_read2_b64 v[28:31], v25 offset1:16
	ds_read_b128 v[32:35], v27
	ds_read_b128 v[36:39], v27 offset:16
	ds_read_b128 v[4:7], v27 offset:32
	;; [unrolled: 1-line block ×3, first 2 shown]
	ds_read2_b64 v[48:51], v25 offset0:32 offset1:48
	s_waitcnt lgkmcnt(4)
	v_mul_f32_e32 v40, v33, v29
	v_fma_f32 v40, v32, v28, -v40
	v_mul_f32_e32 v41, v32, v29
	v_fmac_f32_e32 v41, v33, v28
	v_add_f32_e32 v24, v24, v40
	v_mul_f32_e32 v40, v33, v31
	v_add_f32_e32 v26, v26, v41
	v_fma_f32 v44, v32, v30, -v40
	ds_read_b128 v[40:43], v27 offset:1024
	v_mul_f32_e32 v32, v32, v31
	v_fmac_f32_e32 v32, v33, v30
	v_add_f32_e32 v20, v20, v44
	v_add_f32_e32 v22, v22, v32
	ds_read_b128 v[44:47], v27 offset:1040
	s_waitcnt lgkmcnt(1)
	v_mul_f32_e32 v32, v41, v29
	v_mul_f32_e32 v29, v40, v29
	v_fma_f32 v32, v40, v28, -v32
	v_fmac_f32_e32 v29, v41, v28
	v_mul_f32_e32 v28, v41, v31
	v_add_f32_e32 v18, v18, v29
	v_fma_f32 v28, v40, v30, -v28
	v_mul_f32_e32 v29, v40, v31
	v_fmac_f32_e32 v29, v41, v30
	v_add_f32_e32 v14, v14, v28
	v_mul_f32_e32 v28, v35, v49
	v_add_f32_e32 v12, v12, v29
	v_fma_f32 v28, v34, v48, -v28
	v_mul_f32_e32 v29, v34, v49
	v_fmac_f32_e32 v29, v35, v48
	v_add_f32_e32 v24, v24, v28
	;; [unrolled: 6-line block ×3, first 2 shown]
	v_mul_f32_e32 v28, v43, v49
	v_add_f32_e32 v16, v16, v32
	v_add_f32_e32 v22, v22, v29
	v_fma_f32 v28, v42, v48, -v28
	v_mul_f32_e32 v29, v42, v49
	v_fmac_f32_e32 v29, v43, v48
	v_add_f32_e32 v16, v16, v28
	v_mul_f32_e32 v28, v43, v51
	v_add_f32_e32 v18, v18, v29
	v_fma_f32 v32, v42, v50, -v28
	ds_read2_b64 v[28:31], v25 offset0:64 offset1:80
	v_mul_f32_e32 v33, v42, v51
	v_add_f32_e32 v14, v14, v32
	v_fmac_f32_e32 v33, v43, v50
	v_add_f32_e32 v12, v12, v33
	s_waitcnt lgkmcnt(0)
	v_mul_f32_e32 v32, v37, v29
	v_fma_f32 v32, v36, v28, -v32
	v_mul_f32_e32 v33, v36, v29
	v_add_f32_e32 v24, v24, v32
	v_mul_f32_e32 v32, v37, v31
	v_fmac_f32_e32 v33, v37, v28
	v_fma_f32 v32, v36, v30, -v32
	v_add_f32_e32 v26, v26, v33
	v_mul_f32_e32 v33, v36, v31
	v_add_f32_e32 v20, v20, v32
	v_mul_f32_e32 v32, v45, v29
	v_fmac_f32_e32 v33, v37, v30
	v_fma_f32 v32, v44, v28, -v32
	v_add_f32_e32 v22, v22, v33
	v_add_f32_e32 v16, v16, v32
	ds_read2_b64 v[32:35], v25 offset0:96 offset1:112
	v_mul_f32_e32 v29, v44, v29
	v_fmac_f32_e32 v29, v45, v28
	v_mul_f32_e32 v28, v45, v31
	v_add_f32_e32 v18, v18, v29
	v_fma_f32 v28, v44, v30, -v28
	v_mul_f32_e32 v29, v44, v31
	v_fmac_f32_e32 v29, v45, v30
	v_add_f32_e32 v14, v14, v28
	s_waitcnt lgkmcnt(0)
	v_mul_f32_e32 v28, v39, v33
	v_add_f32_e32 v12, v12, v29
	v_fma_f32 v28, v38, v32, -v28
	v_mul_f32_e32 v29, v38, v33
	v_fmac_f32_e32 v29, v39, v32
	v_add_f32_e32 v24, v24, v28
	v_mul_f32_e32 v28, v39, v35
	v_add_f32_e32 v26, v26, v29
	v_fma_f32 v28, v38, v34, -v28
	v_mul_f32_e32 v29, v38, v35
	v_fmac_f32_e32 v29, v39, v34
	v_add_f32_e32 v20, v20, v28
	;; [unrolled: 6-line block ×3, first 2 shown]
	v_mul_f32_e32 v28, v47, v35
	v_add_f32_e32 v18, v18, v29
	v_fma_f32 v32, v46, v34, -v28
	ds_read2_b64 v[28:31], v25 offset0:128 offset1:144
	v_mul_f32_e32 v33, v46, v35
	v_fmac_f32_e32 v33, v47, v34
	v_add_f32_e32 v14, v14, v32
	v_add_f32_e32 v12, v12, v33
	s_waitcnt lgkmcnt(0)
	v_mul_f32_e32 v32, v5, v29
	v_fma_f32 v32, v4, v28, -v32
	v_mul_f32_e32 v33, v4, v29
	v_fmac_f32_e32 v33, v5, v28
	v_add_f32_e32 v24, v24, v32
	v_mul_f32_e32 v32, v5, v31
	v_add_f32_e32 v26, v26, v33
	v_fma_f32 v36, v4, v30, -v32
	ds_read_b128 v[32:35], v27 offset:1056
	v_mul_f32_e32 v4, v4, v31
	ds_read2_b64 v[40:43], v25 offset0:160 offset1:176
	v_fmac_f32_e32 v4, v5, v30
	v_add_f32_e32 v5, v20, v36
	ds_read_b128 v[36:39], v27 offset:1072
	s_waitcnt lgkmcnt(2)
	v_mul_f32_e32 v20, v33, v29
	v_fma_f32 v20, v32, v28, -v20
	v_add_f32_e32 v16, v16, v20
	v_mul_f32_e32 v20, v33, v31
	v_add_f32_e32 v4, v22, v4
	v_mul_f32_e32 v22, v32, v29
	v_fma_f32 v20, v32, v30, -v20
	v_fmac_f32_e32 v22, v33, v28
	v_add_f32_e32 v14, v14, v20
	s_waitcnt lgkmcnt(1)
	v_mul_f32_e32 v20, v7, v41
	v_add_f32_e32 v18, v18, v22
	v_mul_f32_e32 v22, v32, v31
	v_fma_f32 v20, v6, v40, -v20
	v_fmac_f32_e32 v22, v33, v30
	v_add_f32_e32 v20, v24, v20
	v_mul_f32_e32 v24, v7, v43
	v_add_f32_e32 v12, v12, v22
	v_mul_f32_e32 v22, v6, v41
	v_fma_f32 v24, v6, v42, -v24
	v_mul_f32_e32 v6, v6, v43
	v_fmac_f32_e32 v22, v7, v40
	v_fmac_f32_e32 v6, v7, v42
	v_add_f32_e32 v22, v26, v22
	v_add_f32_e32 v26, v4, v6
	v_mul_f32_e32 v4, v35, v41
	v_add_f32_e32 v24, v5, v24
	v_fma_f32 v4, v34, v40, -v4
	v_mul_f32_e32 v5, v34, v41
	v_fmac_f32_e32 v5, v35, v40
	v_add_f32_e32 v16, v16, v4
	v_mul_f32_e32 v4, v35, v43
	v_add_f32_e32 v18, v18, v5
	v_fma_f32 v28, v34, v42, -v4
	ds_read2_b64 v[4:7], v25 offset0:192 offset1:208
	v_mul_f32_e32 v29, v34, v43
	v_add_f32_e32 v14, v14, v28
	v_fmac_f32_e32 v29, v35, v42
	v_add_f32_e32 v12, v12, v29
	s_waitcnt lgkmcnt(0)
	v_mul_f32_e32 v28, v1, v5
	v_fma_f32 v28, v0, v4, -v28
	v_mul_f32_e32 v29, v0, v5
	v_add_f32_e32 v20, v20, v28
	v_mul_f32_e32 v28, v1, v7
	v_fmac_f32_e32 v29, v1, v4
	v_fma_f32 v28, v0, v6, -v28
	v_mul_f32_e32 v0, v0, v7
	v_add_f32_e32 v22, v22, v29
	v_fmac_f32_e32 v0, v1, v6
	v_add_f32_e32 v1, v24, v28
	ds_read2_b64 v[28:31], v25 offset0:224 offset1:240
	v_mul_f32_e32 v24, v37, v5
	v_fma_f32 v24, v36, v4, -v24
	v_mul_f32_e32 v5, v36, v5
	v_fmac_f32_e32 v5, v37, v4
	v_add_f32_e32 v4, v16, v24
	v_mul_f32_e32 v16, v37, v7
	v_mul_f32_e32 v7, v36, v7
	v_fmac_f32_e32 v7, v37, v6
	v_add_f32_e32 v7, v12, v7
	s_waitcnt lgkmcnt(0)
	v_mul_f32_e32 v12, v3, v29
	v_fma_f32 v12, v2, v28, -v12
	v_fma_f32 v16, v36, v6, -v16
	v_add_f32_e32 v24, v20, v12
	v_mul_f32_e32 v12, v3, v31
	v_add_f32_e32 v6, v14, v16
	v_mul_f32_e32 v14, v2, v29
	v_fma_f32 v12, v2, v30, -v12
	v_mul_f32_e32 v2, v2, v31
	v_add_f32_e32 v0, v26, v0
	v_fmac_f32_e32 v14, v3, v28
	v_fmac_f32_e32 v2, v3, v30
	v_add_f32_e32 v26, v22, v14
	v_add_f32_e32 v20, v1, v12
	;; [unrolled: 1-line block ×3, first 2 shown]
	v_mul_f32_e32 v0, v39, v29
	v_mul_f32_e32 v1, v38, v29
	v_add_f32_e32 v5, v18, v5
	v_fma_f32 v0, v38, v28, -v0
	v_fmac_f32_e32 v1, v39, v28
	v_add_f32_e32 v16, v4, v0
	v_add_f32_e32 v18, v5, v1
	v_mul_f32_e32 v0, v39, v31
	v_mul_f32_e32 v1, v38, v31
	v_fma_f32 v0, v38, v30, -v0
	v_fmac_f32_e32 v1, v39, v30
	s_add_i32 s21, s21, 8
	v_add_f32_e32 v14, v6, v0
	v_add_f32_e32 v12, v7, v1
	v_lshl_add_u64 v[8:9], v[8:9], 0, s[12:13]
	s_cmp_lt_i32 s21, s9
	v_lshl_add_u64 v[10:11], v[10:11], 0, s[14:15]
	s_barrier
	s_cbranch_scc0 .LBB100_12
.LBB100_8:                              ; =>This Inner Loop Header: Depth=1
	v_add_u32_e32 v0, s21, v19
	v_cmp_gt_i32_e64 s[6:7], s9, v0
	s_and_b64 s[22:23], vcc, s[6:7]
	v_mov_b32_e32 v0, 0
	v_mov_b32_e32 v1, 0
	s_and_saveexec_b64 s[6:7], s[22:23]
	s_cbranch_execz .LBB100_10
; %bb.9:                                ;   in Loop: Header=BB100_8 Depth=1
	global_load_dwordx2 v[0:1], v[8:9], off
.LBB100_10:                             ;   in Loop: Header=BB100_8 Depth=1
	s_or_b64 exec, exec, s[6:7]
	s_waitcnt vmcnt(0)
	ds_write_b64 v21, v[0:1]
	v_add_u32_e32 v0, s21, v17
	v_cmp_gt_i32_e64 s[6:7], s9, v0
	s_and_b64 s[22:23], s[6:7], s[2:3]
	v_mov_b32_e32 v0, 0
	v_mov_b32_e32 v1, 0
	s_and_saveexec_b64 s[6:7], s[22:23]
	s_cbranch_execz .LBB100_7
; %bb.11:                               ;   in Loop: Header=BB100_8 Depth=1
	global_load_dwordx2 v[0:1], v[10:11], off
	s_branch .LBB100_7
.LBB100_12:
	s_load_dwordx2 s[2:3], s[0:1], 0x58
	s_load_dwordx2 s[6:7], s[0:1], 0x48
	s_load_dword s12, s[0:1], 0x50
	v_add_u32_e32 v0, s5, v13
	v_add_u32_e32 v10, s20, v15
	s_waitcnt lgkmcnt(0)
	s_mul_i32 s1, s3, s4
	s_mul_hi_u32 s3, s2, s4
	s_mul_i32 s0, s2, s4
	s_add_i32 s1, s3, s1
	s_lshl_b64 s[0:1], s[0:1], 3
	s_add_u32 s6, s6, s0
	s_addc_u32 s7, s7, s1
	v_cmp_neq_f32_e64 s[0:1], s16, 0
	s_xor_b64 s[4:5], s[18:19], -1
	v_mad_i64_i32 v[2:3], s[2:3], v10, s12, 0
	s_or_b64 s[0:1], s[0:1], s[4:5]
	v_lshl_add_u64 v[4:5], v[2:3], 3, s[6:7]
	v_cmp_le_i32_e32 vcc, v10, v0
	v_cmp_gt_i32_e64 s[2:3], s8, v0
	v_cndmask_b32_e64 v2, 0, 1, s[0:1]
	s_and_b64 s[14:15], vcc, s[2:3]
	v_ashrrev_i32_e32 v1, 31, v0
	v_cmp_ne_u32_e64 s[0:1], 1, v2
	s_and_saveexec_b64 s[4:5], s[14:15]
	s_cbranch_execz .LBB100_16
; %bb.13:
	v_pk_mul_f32 v[6:7], v[26:27], s[10:11] op_sel:[0,1] op_sel_hi:[0,0]
	v_pk_fma_f32 v[2:3], v[24:25], s[10:11], v[6:7] op_sel_hi:[0,1,1] neg_lo:[0,0,1] neg_hi:[0,0,1]
	v_pk_fma_f32 v[8:9], v[24:25], s[10:11], v[6:7] op_sel_hi:[0,1,1]
	s_and_b64 vcc, exec, s[0:1]
	v_lshl_add_u64 v[6:7], v[0:1], 3, v[4:5]
	s_cbranch_vccnz .LBB100_15
; %bb.14:
	global_load_dwordx2 v[24:25], v[6:7], off
	s_mov_b32 s14, s17
	v_mov_b32_e32 v3, v9
	s_waitcnt vmcnt(0)
	v_pk_mul_f32 v[8:9], v[24:25], s[14:15] op_sel:[1,0] op_sel_hi:[0,0]
	v_pk_fma_f32 v[26:27], v[24:25], s[16:17], v[8:9] neg_lo:[0,0,1] neg_hi:[0,0,1]
	v_pk_fma_f32 v[8:9], v[24:25], s[16:17], v[8:9] op_sel_hi:[1,0,1]
	s_nop 0
	v_mov_b32_e32 v27, v9
	v_pk_add_f32 v[2:3], v[2:3], v[26:27]
	s_nop 0
	v_mov_b32_e32 v9, v3
.LBB100_15:
	v_mov_b32_e32 v3, v9
	global_store_dwordx2 v[6:7], v[2:3], off
.LBB100_16:
	s_or_b64 exec, exec, s[4:5]
	v_add_u32_e32 v2, 16, v0
	v_cmp_le_i32_e32 vcc, v10, v2
	v_cmp_gt_i32_e64 s[4:5], s8, v2
	s_and_b64 s[14:15], vcc, s[4:5]
	v_ashrrev_i32_e32 v3, 31, v2
	s_and_saveexec_b64 s[8:9], s[14:15]
	s_cbranch_execz .LBB100_20
; %bb.17:
	v_pk_mul_f32 v[8:9], v[22:23], s[10:11] op_sel:[0,1] op_sel_hi:[0,0]
	v_pk_fma_f32 v[6:7], v[20:21], s[10:11], v[8:9] op_sel_hi:[0,1,1] neg_lo:[0,0,1] neg_hi:[0,0,1]
	v_pk_fma_f32 v[8:9], v[20:21], s[10:11], v[8:9] op_sel_hi:[0,1,1]
	s_and_b64 vcc, exec, s[0:1]
	v_lshl_add_u64 v[4:5], v[2:3], 3, v[4:5]
	s_cbranch_vccnz .LBB100_19
; %bb.18:
	global_load_dwordx2 v[20:21], v[4:5], off
	s_mov_b32 s14, s17
	v_mov_b32_e32 v7, v9
	s_waitcnt vmcnt(0)
	v_pk_mul_f32 v[8:9], v[20:21], s[14:15] op_sel:[1,0] op_sel_hi:[0,0]
	v_pk_fma_f32 v[22:23], v[20:21], s[16:17], v[8:9] neg_lo:[0,0,1] neg_hi:[0,0,1]
	v_pk_fma_f32 v[8:9], v[20:21], s[16:17], v[8:9] op_sel_hi:[1,0,1]
	s_nop 0
	v_mov_b32_e32 v23, v9
	v_pk_add_f32 v[6:7], v[6:7], v[22:23]
	s_nop 0
	v_mov_b32_e32 v9, v7
.LBB100_19:
	v_mov_b32_e32 v7, v9
	global_store_dwordx2 v[4:5], v[6:7], off
.LBB100_20:
	s_or_b64 exec, exec, s[8:9]
	v_add_u32_e32 v10, 16, v10
	v_mad_i64_i32 v[4:5], s[8:9], v10, s12, 0
	v_cmp_le_i32_e32 vcc, v10, v0
	v_lshl_add_u64 v[4:5], v[4:5], 3, s[6:7]
	s_and_b64 s[6:7], vcc, s[2:3]
	s_and_saveexec_b64 s[2:3], s[6:7]
	s_cbranch_execz .LBB100_24
; %bb.21:
	v_pk_mul_f32 v[8:9], v[18:19], s[10:11] op_sel:[0,1] op_sel_hi:[0,0]
	v_pk_fma_f32 v[6:7], v[16:17], s[10:11], v[8:9] op_sel_hi:[0,1,1] neg_lo:[0,0,1] neg_hi:[0,0,1]
	v_pk_fma_f32 v[8:9], v[16:17], s[10:11], v[8:9] op_sel_hi:[0,1,1]
	s_and_b64 vcc, exec, s[0:1]
	v_lshl_add_u64 v[0:1], v[0:1], 3, v[4:5]
	s_cbranch_vccnz .LBB100_23
; %bb.22:
	global_load_dwordx2 v[16:17], v[0:1], off
	s_mov_b32 s6, s17
	v_mov_b32_e32 v7, v9
	s_waitcnt vmcnt(0)
	v_pk_mul_f32 v[8:9], v[16:17], s[6:7] op_sel:[1,0] op_sel_hi:[0,0]
	v_pk_fma_f32 v[18:19], v[16:17], s[16:17], v[8:9] neg_lo:[0,0,1] neg_hi:[0,0,1]
	v_pk_fma_f32 v[8:9], v[16:17], s[16:17], v[8:9] op_sel_hi:[1,0,1]
	s_nop 0
	v_mov_b32_e32 v19, v9
	v_pk_add_f32 v[6:7], v[6:7], v[18:19]
	s_nop 0
	v_mov_b32_e32 v9, v7
.LBB100_23:
	v_mov_b32_e32 v7, v9
	global_store_dwordx2 v[0:1], v[6:7], off
.LBB100_24:
	s_or_b64 exec, exec, s[2:3]
	v_cmp_le_i32_e32 vcc, v10, v2
	s_and_b64 s[2:3], vcc, s[4:5]
	s_and_saveexec_b64 s[4:5], s[2:3]
	s_cbranch_execz .LBB100_28
; %bb.25:
	v_pk_mul_f32 v[6:7], v[12:13], s[10:11] op_sel:[0,1] op_sel_hi:[0,0]
	v_pk_fma_f32 v[0:1], v[14:15], s[10:11], v[6:7] op_sel_hi:[0,1,1] neg_lo:[0,0,1] neg_hi:[0,0,1]
	v_pk_fma_f32 v[6:7], v[14:15], s[10:11], v[6:7] op_sel_hi:[0,1,1]
	s_and_b64 vcc, exec, s[0:1]
	v_lshl_add_u64 v[2:3], v[2:3], 3, v[4:5]
	s_cbranch_vccnz .LBB100_27
; %bb.26:
	global_load_dwordx2 v[4:5], v[2:3], off
	s_mov_b32 s0, s17
	v_mov_b32_e32 v1, v7
	s_waitcnt vmcnt(0)
	v_pk_mul_f32 v[6:7], v[4:5], s[0:1] op_sel:[1,0] op_sel_hi:[0,0]
	v_pk_fma_f32 v[8:9], v[4:5], s[16:17], v[6:7] neg_lo:[0,0,1] neg_hi:[0,0,1]
	v_pk_fma_f32 v[4:5], v[4:5], s[16:17], v[6:7] op_sel_hi:[1,0,1]
	s_nop 0
	v_mov_b32_e32 v9, v5
	v_pk_add_f32 v[0:1], v[0:1], v[8:9]
	s_nop 0
	v_mov_b32_e32 v7, v1
.LBB100_27:
	v_mov_b32_e32 v1, v7
	global_store_dwordx2 v[2:3], v[0:1], off
.LBB100_28:
	s_endpgm
	.section	.rodata,"a",@progbits
	.p2align	6, 0x0
	.amdhsa_kernel _ZL29rocblas_internal_gemmt_kernelIiLi16ELi32ELi8ELc78ELc84ELc76ELb0ELb0E19rocblas_complex_numIfES1_PKS1_PS1_EviT_T9_T10_S5_lS7_S5_lS6_T11_S5_li
		.amdhsa_group_segment_fixed_size 4096
		.amdhsa_private_segment_fixed_size 0
		.amdhsa_kernarg_size 100
		.amdhsa_user_sgpr_count 2
		.amdhsa_user_sgpr_dispatch_ptr 0
		.amdhsa_user_sgpr_queue_ptr 0
		.amdhsa_user_sgpr_kernarg_segment_ptr 1
		.amdhsa_user_sgpr_dispatch_id 0
		.amdhsa_user_sgpr_kernarg_preload_length 0
		.amdhsa_user_sgpr_kernarg_preload_offset 0
		.amdhsa_user_sgpr_private_segment_size 0
		.amdhsa_uses_dynamic_stack 0
		.amdhsa_enable_private_segment 0
		.amdhsa_system_sgpr_workgroup_id_x 1
		.amdhsa_system_sgpr_workgroup_id_y 1
		.amdhsa_system_sgpr_workgroup_id_z 1
		.amdhsa_system_sgpr_workgroup_info 0
		.amdhsa_system_vgpr_workitem_id 1
		.amdhsa_next_free_vgpr 52
		.amdhsa_next_free_sgpr 30
		.amdhsa_accum_offset 52
		.amdhsa_reserve_vcc 1
		.amdhsa_float_round_mode_32 0
		.amdhsa_float_round_mode_16_64 0
		.amdhsa_float_denorm_mode_32 3
		.amdhsa_float_denorm_mode_16_64 3
		.amdhsa_dx10_clamp 1
		.amdhsa_ieee_mode 1
		.amdhsa_fp16_overflow 0
		.amdhsa_tg_split 0
		.amdhsa_exception_fp_ieee_invalid_op 0
		.amdhsa_exception_fp_denorm_src 0
		.amdhsa_exception_fp_ieee_div_zero 0
		.amdhsa_exception_fp_ieee_overflow 0
		.amdhsa_exception_fp_ieee_underflow 0
		.amdhsa_exception_fp_ieee_inexact 0
		.amdhsa_exception_int_div_zero 0
	.end_amdhsa_kernel
	.section	.text._ZL29rocblas_internal_gemmt_kernelIiLi16ELi32ELi8ELc78ELc84ELc76ELb0ELb0E19rocblas_complex_numIfES1_PKS1_PS1_EviT_T9_T10_S5_lS7_S5_lS6_T11_S5_li,"axG",@progbits,_ZL29rocblas_internal_gemmt_kernelIiLi16ELi32ELi8ELc78ELc84ELc76ELb0ELb0E19rocblas_complex_numIfES1_PKS1_PS1_EviT_T9_T10_S5_lS7_S5_lS6_T11_S5_li,comdat
.Lfunc_end100:
	.size	_ZL29rocblas_internal_gemmt_kernelIiLi16ELi32ELi8ELc78ELc84ELc76ELb0ELb0E19rocblas_complex_numIfES1_PKS1_PS1_EviT_T9_T10_S5_lS7_S5_lS6_T11_S5_li, .Lfunc_end100-_ZL29rocblas_internal_gemmt_kernelIiLi16ELi32ELi8ELc78ELc84ELc76ELb0ELb0E19rocblas_complex_numIfES1_PKS1_PS1_EviT_T9_T10_S5_lS7_S5_lS6_T11_S5_li
                                        ; -- End function
	.set _ZL29rocblas_internal_gemmt_kernelIiLi16ELi32ELi8ELc78ELc84ELc76ELb0ELb0E19rocblas_complex_numIfES1_PKS1_PS1_EviT_T9_T10_S5_lS7_S5_lS6_T11_S5_li.num_vgpr, 52
	.set _ZL29rocblas_internal_gemmt_kernelIiLi16ELi32ELi8ELc78ELc84ELc76ELb0ELb0E19rocblas_complex_numIfES1_PKS1_PS1_EviT_T9_T10_S5_lS7_S5_lS6_T11_S5_li.num_agpr, 0
	.set _ZL29rocblas_internal_gemmt_kernelIiLi16ELi32ELi8ELc78ELc84ELc76ELb0ELb0E19rocblas_complex_numIfES1_PKS1_PS1_EviT_T9_T10_S5_lS7_S5_lS6_T11_S5_li.numbered_sgpr, 30
	.set _ZL29rocblas_internal_gemmt_kernelIiLi16ELi32ELi8ELc78ELc84ELc76ELb0ELb0E19rocblas_complex_numIfES1_PKS1_PS1_EviT_T9_T10_S5_lS7_S5_lS6_T11_S5_li.num_named_barrier, 0
	.set _ZL29rocblas_internal_gemmt_kernelIiLi16ELi32ELi8ELc78ELc84ELc76ELb0ELb0E19rocblas_complex_numIfES1_PKS1_PS1_EviT_T9_T10_S5_lS7_S5_lS6_T11_S5_li.private_seg_size, 0
	.set _ZL29rocblas_internal_gemmt_kernelIiLi16ELi32ELi8ELc78ELc84ELc76ELb0ELb0E19rocblas_complex_numIfES1_PKS1_PS1_EviT_T9_T10_S5_lS7_S5_lS6_T11_S5_li.uses_vcc, 1
	.set _ZL29rocblas_internal_gemmt_kernelIiLi16ELi32ELi8ELc78ELc84ELc76ELb0ELb0E19rocblas_complex_numIfES1_PKS1_PS1_EviT_T9_T10_S5_lS7_S5_lS6_T11_S5_li.uses_flat_scratch, 0
	.set _ZL29rocblas_internal_gemmt_kernelIiLi16ELi32ELi8ELc78ELc84ELc76ELb0ELb0E19rocblas_complex_numIfES1_PKS1_PS1_EviT_T9_T10_S5_lS7_S5_lS6_T11_S5_li.has_dyn_sized_stack, 0
	.set _ZL29rocblas_internal_gemmt_kernelIiLi16ELi32ELi8ELc78ELc84ELc76ELb0ELb0E19rocblas_complex_numIfES1_PKS1_PS1_EviT_T9_T10_S5_lS7_S5_lS6_T11_S5_li.has_recursion, 0
	.set _ZL29rocblas_internal_gemmt_kernelIiLi16ELi32ELi8ELc78ELc84ELc76ELb0ELb0E19rocblas_complex_numIfES1_PKS1_PS1_EviT_T9_T10_S5_lS7_S5_lS6_T11_S5_li.has_indirect_call, 0
	.section	.AMDGPU.csdata,"",@progbits
; Kernel info:
; codeLenInByte = 2464
; TotalNumSgprs: 36
; NumVgprs: 52
; NumAgprs: 0
; TotalNumVgprs: 52
; ScratchSize: 0
; MemoryBound: 0
; FloatMode: 240
; IeeeMode: 1
; LDSByteSize: 4096 bytes/workgroup (compile time only)
; SGPRBlocks: 4
; VGPRBlocks: 6
; NumSGPRsForWavesPerEU: 36
; NumVGPRsForWavesPerEU: 52
; AccumOffset: 52
; Occupancy: 8
; WaveLimiterHint : 0
; COMPUTE_PGM_RSRC2:SCRATCH_EN: 0
; COMPUTE_PGM_RSRC2:USER_SGPR: 2
; COMPUTE_PGM_RSRC2:TRAP_HANDLER: 0
; COMPUTE_PGM_RSRC2:TGID_X_EN: 1
; COMPUTE_PGM_RSRC2:TGID_Y_EN: 1
; COMPUTE_PGM_RSRC2:TGID_Z_EN: 1
; COMPUTE_PGM_RSRC2:TIDIG_COMP_CNT: 1
; COMPUTE_PGM_RSRC3_GFX90A:ACCUM_OFFSET: 12
; COMPUTE_PGM_RSRC3_GFX90A:TG_SPLIT: 0
	.section	.text._ZL29rocblas_internal_gemmt_kernelIiLi16ELi32ELi8ELc78ELc67ELc76ELb0ELb1E19rocblas_complex_numIfES1_PKS1_PS1_EviT_T9_T10_S5_lS7_S5_lS6_T11_S5_li,"axG",@progbits,_ZL29rocblas_internal_gemmt_kernelIiLi16ELi32ELi8ELc78ELc67ELc76ELb0ELb1E19rocblas_complex_numIfES1_PKS1_PS1_EviT_T9_T10_S5_lS7_S5_lS6_T11_S5_li,comdat
	.globl	_ZL29rocblas_internal_gemmt_kernelIiLi16ELi32ELi8ELc78ELc67ELc76ELb0ELb1E19rocblas_complex_numIfES1_PKS1_PS1_EviT_T9_T10_S5_lS7_S5_lS6_T11_S5_li ; -- Begin function _ZL29rocblas_internal_gemmt_kernelIiLi16ELi32ELi8ELc78ELc67ELc76ELb0ELb1E19rocblas_complex_numIfES1_PKS1_PS1_EviT_T9_T10_S5_lS7_S5_lS6_T11_S5_li
	.p2align	8
	.type	_ZL29rocblas_internal_gemmt_kernelIiLi16ELi32ELi8ELc78ELc67ELc76ELb0ELb1E19rocblas_complex_numIfES1_PKS1_PS1_EviT_T9_T10_S5_lS7_S5_lS6_T11_S5_li,@function
_ZL29rocblas_internal_gemmt_kernelIiLi16ELi32ELi8ELc78ELc67ELc76ELb0ELb1E19rocblas_complex_numIfES1_PKS1_PS1_EviT_T9_T10_S5_lS7_S5_lS6_T11_S5_li: ; @_ZL29rocblas_internal_gemmt_kernelIiLi16ELi32ELi8ELc78ELc67ELc76ELb0ELb1E19rocblas_complex_numIfES1_PKS1_PS1_EviT_T9_T10_S5_lS7_S5_lS6_T11_S5_li
; %bb.0:
	s_load_dwordx2 s[6:7], s[0:1], 0x40
	s_load_dwordx4 s[8:11], s[0:1], 0x0
	s_waitcnt lgkmcnt(0)
	s_and_b32 s5, s7, 0x7fffffff
	s_cmp_eq_u32 s5, 0
	v_cmp_eq_f32_e64 s[12:13], s6, 1.0
	s_cselect_b64 s[16:17], -1, 0
	s_and_b64 s[12:13], s[12:13], s[16:17]
	s_and_b64 vcc, exec, s[12:13]
	s_cbranch_vccnz .LBB101_2
; %bb.1:
	s_mov_b64 s[12:13], -1
	s_cbranch_execz .LBB101_3
	s_branch .LBB101_4
.LBB101_2:
	s_mov_b64 s[12:13], 0
.LBB101_3:
	s_cmp_lg_u32 s9, 0
	v_cmp_neq_f32_e64 s[14:15], s10, 0
	v_cmp_neq_f32_e64 s[18:19], s11, 0
	s_cselect_b64 s[12:13], -1, 0
	s_or_b64 s[14:15], s[14:15], s[18:19]
	s_and_b64 s[12:13], s[12:13], s[14:15]
.LBB101_4:
	s_andn2_b64 vcc, exec, s[12:13]
	s_cbranch_vccnz .LBB101_30
; %bb.5:
	s_lshl_b32 s5, s2, 5
	s_lshl_b32 s20, s3, 5
	v_cmp_eq_f32_e64 s[2:3], s10, 0
	v_cmp_eq_f32_e64 s[12:13], s11, 0
	s_and_b64 s[2:3], s[2:3], s[12:13]
	s_cmp_lt_i32 s9, 1
	s_cselect_b64 s[12:13], -1, 0
	s_or_b64 s[2:3], s[2:3], s[12:13]
	v_and_b32_e32 v13, 0x3ff, v0
	v_bfe_u32 v15, v0, 10, 10
	s_mov_b32 s21, 0
	v_mov_b32_e32 v24, 0
	s_and_b64 vcc, exec, s[2:3]
	v_mov_b32_e32 v26, 0
	v_mov_b32_e32 v20, 0
	;; [unrolled: 1-line block ×7, first 2 shown]
	s_cbranch_vccnz .LBB101_14
; %bb.6:
	v_lshl_add_u32 v1, v15, 4, v13
	v_and_b32_e32 v4, 31, v1
	v_lshrrev_b32_e32 v19, 5, v1
	v_lshrrev_b32_e32 v2, 3, v1
	v_or_b32_e32 v1, s5, v4
	s_load_dwordx2 s[18:19], s[0:1], 0x10
	s_load_dword s22, s[0:1], 0x18
	s_load_dwordx4 s[12:15], s[0:1], 0x20
	s_load_dword s24, s[0:1], 0x30
	v_and_b32_e32 v17, 7, v13
	v_cmp_gt_i32_e32 vcc, s8, v1
	v_lshlrev_b32_e32 v1, 3, v4
	v_lshl_or_b32 v21, v19, 8, v1
	v_lshlrev_b32_e32 v1, 3, v17
	v_add_u32_e32 v0, s20, v2
	v_lshl_or_b32 v1, v2, 6, v1
	v_mov_b32_e32 v2, 0x800
	v_lshl_add_u32 v27, v15, 6, v2
	s_waitcnt lgkmcnt(0)
	v_mad_i64_i32 v[2:3], s[28:29], v19, s22, 0
	s_load_dwordx2 s[26:27], s[0:1], 0x38
	s_mul_i32 s13, s13, s4
	s_mul_hi_u32 s28, s12, s4
	s_add_i32 s13, s28, s13
	s_mul_i32 s12, s12, s4
	s_lshl_b64 s[12:13], s[12:13], 3
	v_add_u32_e32 v4, s5, v4
	v_lshl_add_u64 v[2:3], v[2:3], 3, s[12:13]
	v_ashrrev_i32_e32 v5, 31, v4
	s_ashr_i32 s23, s22, 31
	v_lshl_add_u64 v[2:3], v[4:5], 3, v[2:3]
	v_lshl_add_u64 v[8:9], s[18:19], 0, v[2:3]
	s_lshl_b64 s[12:13], s[22:23], 6
	s_waitcnt lgkmcnt(0)
	s_mul_i32 s18, s27, s4
	s_mul_hi_u32 s19, s26, s4
	v_mad_i64_i32 v[2:3], s[22:23], s24, v17, 0
	s_add_i32 s19, s19, s18
	s_mul_i32 s18, s26, s4
	v_lshlrev_b64 v[2:3], 3, v[2:3]
	v_add_u32_e32 v23, 0x800, v1
	v_ashrrev_i32_e32 v1, 31, v0
	v_lshl_add_u64 v[2:3], s[18:19], 3, v[2:3]
	v_cmp_gt_i32_e64 s[2:3], s8, v0
	v_lshl_add_u64 v[0:1], v[0:1], 3, v[2:3]
	s_ashr_i32 s25, s24, 31
	v_lshl_add_u64 v[0:1], s[14:15], 0, v[0:1]
	v_lshlrev_b32_e32 v25, 3, v13
	v_lshl_add_u64 v[10:11], v[0:1], 0, 4
	s_lshl_b64 s[14:15], s[24:25], 6
	v_mov_b32_e32 v28, 0
	s_xor_b64 s[18:19], s[2:3], -1
	v_mov_b32_e32 v14, 0
	v_mov_b32_e32 v12, 0
	;; [unrolled: 1-line block ×8, first 2 shown]
	s_branch .LBB101_8
.LBB101_7:                              ;   in Loop: Header=BB101_8 Depth=1
	s_or_b64 exec, exec, s[2:3]
	ds_write_b32 v23, v0 offset:4
	s_waitcnt lgkmcnt(0)
	s_barrier
	ds_read2_b64 v[30:33], v25 offset1:16
	ds_read_b128 v[34:37], v27
	ds_read_b128 v[38:41], v27 offset:16
	ds_read_b128 v[4:7], v27 offset:32
	;; [unrolled: 1-line block ×3, first 2 shown]
	ds_read2_b64 v[50:53], v25 offset0:32 offset1:48
	s_waitcnt lgkmcnt(4)
	v_mul_f32_e32 v42, v34, v31
	v_fmac_f32_e32 v42, v35, v30
	v_add_f32_e32 v26, v26, v42
	ds_read_b128 v[42:45], v27 offset:1024
	ds_read_b128 v[46:49], v27 offset:1040
	v_mul_f32_e32 v29, v35, v31
	v_fma_f32 v29, v34, v30, -v29
	v_add_f32_e32 v24, v24, v29
	v_mul_f32_e32 v29, v35, v33
	v_fma_f32 v29, v34, v32, -v29
	v_add_f32_e32 v20, v20, v29
	s_waitcnt lgkmcnt(1)
	v_mul_f32_e32 v29, v43, v31
	v_mul_f32_e32 v31, v42, v31
	v_fma_f32 v29, v42, v30, -v29
	v_fmac_f32_e32 v31, v43, v30
	v_mul_f32_e32 v30, v42, v33
	v_fmac_f32_e32 v30, v43, v32
	v_add_f32_e32 v14, v14, v30
	v_mul_f32_e32 v30, v36, v51
	v_mul_f32_e32 v34, v34, v33
	v_fmac_f32_e32 v30, v37, v50
	v_fmac_f32_e32 v34, v35, v32
	v_add_f32_e32 v26, v26, v30
	v_mul_f32_e32 v30, v36, v53
	v_add_f32_e32 v22, v22, v34
	v_add_f32_e32 v16, v16, v29
	v_mul_f32_e32 v29, v43, v33
	v_fmac_f32_e32 v30, v37, v52
	v_fma_f32 v29, v42, v32, -v29
	v_add_f32_e32 v22, v22, v30
	v_mul_f32_e32 v30, v44, v51
	v_add_f32_e32 v18, v18, v31
	v_add_f32_e32 v12, v12, v29
	v_mul_f32_e32 v29, v37, v51
	v_fmac_f32_e32 v30, v45, v50
	v_fma_f32 v29, v36, v50, -v29
	v_add_f32_e32 v18, v18, v30
	ds_read2_b64 v[30:33], v25 offset0:64 offset1:80
	v_add_f32_e32 v24, v24, v29
	v_mul_f32_e32 v29, v37, v53
	v_fma_f32 v29, v36, v52, -v29
	v_add_f32_e32 v20, v20, v29
	v_mul_f32_e32 v29, v45, v51
	v_mul_f32_e32 v34, v44, v53
	v_fma_f32 v29, v44, v50, -v29
	v_fmac_f32_e32 v34, v45, v52
	v_add_f32_e32 v16, v16, v29
	v_mul_f32_e32 v29, v45, v53
	v_add_f32_e32 v14, v14, v34
	s_waitcnt lgkmcnt(0)
	v_mul_f32_e32 v34, v38, v31
	v_fma_f32 v29, v44, v52, -v29
	v_fmac_f32_e32 v34, v39, v30
	v_add_f32_e32 v12, v12, v29
	v_mul_f32_e32 v29, v39, v31
	v_add_f32_e32 v26, v26, v34
	v_mul_f32_e32 v34, v38, v33
	v_fma_f32 v29, v38, v30, -v29
	v_fmac_f32_e32 v34, v39, v32
	v_add_f32_e32 v24, v24, v29
	v_mul_f32_e32 v29, v39, v33
	v_add_f32_e32 v22, v22, v34
	ds_read2_b64 v[34:37], v25 offset0:96 offset1:112
	v_fma_f32 v29, v38, v32, -v29
	v_add_f32_e32 v20, v20, v29
	v_mul_f32_e32 v29, v47, v31
	v_mul_f32_e32 v31, v46, v31
	v_fma_f32 v29, v46, v30, -v29
	v_fmac_f32_e32 v31, v47, v30
	v_mul_f32_e32 v30, v46, v33
	v_fmac_f32_e32 v30, v47, v32
	v_add_f32_e32 v14, v14, v30
	s_waitcnt lgkmcnt(0)
	v_mul_f32_e32 v30, v40, v35
	v_fmac_f32_e32 v30, v41, v34
	v_add_f32_e32 v16, v16, v29
	v_mul_f32_e32 v29, v47, v33
	v_add_f32_e32 v26, v26, v30
	v_mul_f32_e32 v30, v40, v37
	v_fma_f32 v29, v46, v32, -v29
	v_fmac_f32_e32 v30, v41, v36
	v_add_f32_e32 v12, v12, v29
	v_mul_f32_e32 v29, v41, v35
	v_add_f32_e32 v22, v22, v30
	v_mul_f32_e32 v30, v48, v35
	v_add_f32_e32 v18, v18, v31
	v_fma_f32 v29, v40, v34, -v29
	v_fmac_f32_e32 v30, v49, v34
	v_add_f32_e32 v24, v24, v29
	v_mul_f32_e32 v29, v41, v37
	v_add_f32_e32 v18, v18, v30
	ds_read2_b64 v[30:33], v25 offset0:128 offset1:144
	v_fma_f32 v29, v40, v36, -v29
	v_add_f32_e32 v20, v20, v29
	v_mul_f32_e32 v29, v49, v35
	v_fma_f32 v29, v48, v34, -v29
	v_mul_f32_e32 v34, v48, v37
	v_fmac_f32_e32 v34, v49, v36
	v_add_f32_e32 v14, v14, v34
	s_waitcnt lgkmcnt(0)
	v_mul_f32_e32 v34, v4, v31
	v_add_f32_e32 v16, v16, v29
	v_mul_f32_e32 v29, v49, v37
	v_fmac_f32_e32 v34, v5, v30
	v_fma_f32 v29, v48, v36, -v29
	v_add_f32_e32 v26, v26, v34
	ds_read_b128 v[34:37], v27 offset:1056
	ds_read_b128 v[38:41], v27 offset:1072
	v_add_f32_e32 v12, v12, v29
	v_mul_f32_e32 v29, v5, v31
	v_fma_f32 v29, v4, v30, -v29
	v_add_f32_e32 v24, v24, v29
	v_mul_f32_e32 v29, v5, v33
	v_fma_f32 v29, v4, v32, -v29
	v_mul_f32_e32 v4, v4, v33
	ds_read2_b64 v[42:45], v25 offset0:160 offset1:176
	v_fmac_f32_e32 v4, v5, v32
	v_add_f32_e32 v5, v20, v29
	s_waitcnt lgkmcnt(2)
	v_mul_f32_e32 v20, v35, v31
	v_fma_f32 v20, v34, v30, -v20
	v_add_f32_e32 v16, v16, v20
	v_mul_f32_e32 v20, v35, v33
	v_add_f32_e32 v4, v22, v4
	v_mul_f32_e32 v22, v34, v31
	v_fma_f32 v20, v34, v32, -v20
	v_fmac_f32_e32 v22, v35, v30
	v_add_f32_e32 v12, v12, v20
	s_waitcnt lgkmcnt(0)
	v_mul_f32_e32 v20, v7, v43
	v_add_f32_e32 v18, v18, v22
	v_mul_f32_e32 v22, v34, v33
	v_fma_f32 v20, v6, v42, -v20
	v_fmac_f32_e32 v22, v35, v32
	v_add_f32_e32 v20, v24, v20
	v_mul_f32_e32 v24, v7, v45
	v_add_f32_e32 v14, v14, v22
	v_mul_f32_e32 v22, v6, v43
	v_fma_f32 v24, v6, v44, -v24
	v_mul_f32_e32 v6, v6, v45
	v_fmac_f32_e32 v22, v7, v42
	v_fmac_f32_e32 v6, v7, v44
	v_add_f32_e32 v22, v26, v22
	v_add_f32_e32 v26, v4, v6
	v_mul_f32_e32 v4, v37, v43
	v_add_f32_e32 v24, v5, v24
	v_fma_f32 v4, v36, v42, -v4
	v_mul_f32_e32 v5, v36, v43
	v_fmac_f32_e32 v5, v37, v42
	v_add_f32_e32 v16, v16, v4
	v_mul_f32_e32 v4, v37, v45
	v_add_f32_e32 v18, v18, v5
	v_fma_f32 v29, v36, v44, -v4
	ds_read2_b64 v[4:7], v25 offset0:192 offset1:208
	v_mul_f32_e32 v30, v36, v45
	v_fmac_f32_e32 v30, v37, v44
	v_add_f32_e32 v12, v12, v29
	v_add_f32_e32 v14, v14, v30
	s_waitcnt lgkmcnt(0)
	v_mul_f32_e32 v29, v1, v5
	v_fma_f32 v29, v0, v4, -v29
	v_mul_f32_e32 v30, v0, v5
	v_fmac_f32_e32 v30, v1, v4
	v_add_f32_e32 v20, v20, v29
	v_mul_f32_e32 v29, v1, v7
	v_add_f32_e32 v22, v22, v30
	v_fma_f32 v29, v0, v6, -v29
	v_mul_f32_e32 v0, v0, v7
	ds_read2_b64 v[30:33], v25 offset0:224 offset1:240
	v_fmac_f32_e32 v0, v1, v6
	v_add_f32_e32 v1, v24, v29
	v_mul_f32_e32 v24, v39, v5
	v_fma_f32 v24, v38, v4, -v24
	v_mul_f32_e32 v5, v38, v5
	v_fmac_f32_e32 v5, v39, v4
	v_add_f32_e32 v4, v16, v24
	v_mul_f32_e32 v16, v39, v7
	v_fma_f32 v16, v38, v6, -v16
	v_mul_f32_e32 v7, v38, v7
	v_fmac_f32_e32 v7, v39, v6
	v_add_f32_e32 v6, v12, v16
	s_waitcnt lgkmcnt(0)
	v_mul_f32_e32 v12, v3, v31
	v_fma_f32 v12, v2, v30, -v12
	v_add_f32_e32 v24, v20, v12
	v_mul_f32_e32 v12, v3, v33
	v_add_f32_e32 v7, v14, v7
	v_mul_f32_e32 v14, v2, v31
	v_fma_f32 v12, v2, v32, -v12
	v_mul_f32_e32 v2, v2, v33
	v_add_f32_e32 v0, v26, v0
	v_fmac_f32_e32 v14, v3, v30
	v_fmac_f32_e32 v2, v3, v32
	v_add_f32_e32 v26, v22, v14
	v_add_f32_e32 v20, v1, v12
	;; [unrolled: 1-line block ×3, first 2 shown]
	v_mul_f32_e32 v0, v41, v31
	v_mul_f32_e32 v1, v40, v31
	v_add_f32_e32 v5, v18, v5
	v_fma_f32 v0, v40, v30, -v0
	v_fmac_f32_e32 v1, v41, v30
	v_add_f32_e32 v16, v4, v0
	v_add_f32_e32 v18, v5, v1
	v_mul_f32_e32 v0, v41, v33
	v_mul_f32_e32 v1, v40, v33
	v_fma_f32 v0, v40, v32, -v0
	v_fmac_f32_e32 v1, v41, v32
	s_add_i32 s21, s21, 8
	v_add_f32_e32 v12, v6, v0
	v_add_f32_e32 v14, v7, v1
	v_lshl_add_u64 v[8:9], v[8:9], 0, s[12:13]
	s_cmp_lt_i32 s21, s9
	v_lshl_add_u64 v[10:11], v[10:11], 0, s[14:15]
	s_barrier
	s_cbranch_scc0 .LBB101_14
.LBB101_8:                              ; =>This Inner Loop Header: Depth=1
	v_add_u32_e32 v0, s21, v19
	v_cmp_gt_i32_e64 s[2:3], s9, v0
	s_and_b64 s[22:23], vcc, s[2:3]
	v_mov_b32_e32 v0, 0
	v_mov_b32_e32 v1, 0
	s_and_saveexec_b64 s[2:3], s[22:23]
	s_cbranch_execz .LBB101_10
; %bb.9:                                ;   in Loop: Header=BB101_8 Depth=1
	global_load_dwordx2 v[0:1], v[8:9], off
.LBB101_10:                             ;   in Loop: Header=BB101_8 Depth=1
	s_or_b64 exec, exec, s[2:3]
	s_waitcnt vmcnt(0)
	ds_write_b64 v21, v[0:1]
	v_add_u32_e32 v0, s21, v17
	v_cmp_le_i32_e64 s[2:3], s9, v0
	s_or_b64 s[2:3], s[2:3], s[18:19]
	s_and_saveexec_b64 s[22:23], s[2:3]
	s_xor_b64 s[2:3], exec, s[22:23]
; %bb.11:                               ;   in Loop: Header=BB101_8 Depth=1
	ds_write_b32 v23, v28
; %bb.12:                               ;   in Loop: Header=BB101_8 Depth=1
	s_or_saveexec_b64 s[2:3], s[2:3]
	v_mov_b32_e32 v0, 0
	s_xor_b64 exec, exec, s[2:3]
	s_cbranch_execz .LBB101_7
; %bb.13:                               ;   in Loop: Header=BB101_8 Depth=1
	global_load_dwordx2 v[2:3], v[10:11], off offset:-4
	s_waitcnt vmcnt(0)
	v_xor_b32_e32 v0, 0x80000000, v3
	ds_write_b32 v23, v2
	s_branch .LBB101_7
.LBB101_14:
	s_load_dwordx2 s[2:3], s[0:1], 0x58
	s_load_dwordx2 s[12:13], s[0:1], 0x48
	s_load_dword s14, s[0:1], 0x50
	v_add_u32_e32 v0, s5, v13
	v_add_u32_e32 v10, s20, v15
	s_waitcnt lgkmcnt(0)
	s_mul_i32 s1, s3, s4
	s_mul_hi_u32 s3, s2, s4
	s_mul_i32 s0, s2, s4
	s_add_i32 s1, s3, s1
	s_lshl_b64 s[0:1], s[0:1], 3
	s_add_u32 s12, s12, s0
	s_addc_u32 s13, s13, s1
	v_cmp_neq_f32_e64 s[0:1], s6, 0
	s_xor_b64 s[4:5], s[16:17], -1
	v_mad_i64_i32 v[2:3], s[2:3], v10, s14, 0
	s_or_b64 s[0:1], s[0:1], s[4:5]
	v_lshl_add_u64 v[4:5], v[2:3], 3, s[12:13]
	v_cmp_le_i32_e32 vcc, v10, v0
	v_cmp_gt_i32_e64 s[2:3], s8, v0
	v_cndmask_b32_e64 v2, 0, 1, s[0:1]
	s_and_b64 s[16:17], vcc, s[2:3]
	v_ashrrev_i32_e32 v1, 31, v0
	v_cmp_ne_u32_e64 s[0:1], 1, v2
	s_and_saveexec_b64 s[4:5], s[16:17]
	s_cbranch_execz .LBB101_18
; %bb.15:
	v_pk_mul_f32 v[6:7], v[26:27], s[10:11] op_sel:[0,1] op_sel_hi:[0,0]
	v_pk_fma_f32 v[2:3], v[24:25], s[10:11], v[6:7] op_sel_hi:[0,1,1] neg_lo:[0,0,1] neg_hi:[0,0,1]
	v_pk_fma_f32 v[8:9], v[24:25], s[10:11], v[6:7] op_sel_hi:[0,1,1]
	s_and_b64 vcc, exec, s[0:1]
	v_lshl_add_u64 v[6:7], v[0:1], 3, v[4:5]
	s_cbranch_vccnz .LBB101_17
; %bb.16:
	global_load_dwordx2 v[24:25], v[6:7], off
	s_mov_b32 s16, s7
	v_mov_b32_e32 v3, v9
	s_waitcnt vmcnt(0)
	v_pk_mul_f32 v[8:9], v[24:25], s[16:17] op_sel:[1,0] op_sel_hi:[0,0]
	v_pk_fma_f32 v[26:27], v[24:25], s[6:7], v[8:9] neg_lo:[0,0,1] neg_hi:[0,0,1]
	v_pk_fma_f32 v[8:9], v[24:25], s[6:7], v[8:9] op_sel_hi:[1,0,1]
	s_nop 0
	v_mov_b32_e32 v27, v9
	v_pk_add_f32 v[2:3], v[2:3], v[26:27]
	s_nop 0
	v_mov_b32_e32 v9, v3
.LBB101_17:
	v_mov_b32_e32 v3, v9
	global_store_dwordx2 v[6:7], v[2:3], off
.LBB101_18:
	s_or_b64 exec, exec, s[4:5]
	v_add_u32_e32 v2, 16, v0
	v_cmp_le_i32_e32 vcc, v10, v2
	v_cmp_gt_i32_e64 s[4:5], s8, v2
	s_and_b64 s[16:17], vcc, s[4:5]
	v_ashrrev_i32_e32 v3, 31, v2
	s_and_saveexec_b64 s[8:9], s[16:17]
	s_cbranch_execz .LBB101_22
; %bb.19:
	v_pk_mul_f32 v[8:9], v[22:23], s[10:11] op_sel:[0,1] op_sel_hi:[0,0]
	v_pk_fma_f32 v[6:7], v[20:21], s[10:11], v[8:9] op_sel_hi:[0,1,1] neg_lo:[0,0,1] neg_hi:[0,0,1]
	v_pk_fma_f32 v[8:9], v[20:21], s[10:11], v[8:9] op_sel_hi:[0,1,1]
	s_and_b64 vcc, exec, s[0:1]
	v_lshl_add_u64 v[4:5], v[2:3], 3, v[4:5]
	s_cbranch_vccnz .LBB101_21
; %bb.20:
	global_load_dwordx2 v[20:21], v[4:5], off
	s_mov_b32 s16, s7
	v_mov_b32_e32 v7, v9
	s_waitcnt vmcnt(0)
	v_pk_mul_f32 v[8:9], v[20:21], s[16:17] op_sel:[1,0] op_sel_hi:[0,0]
	v_pk_fma_f32 v[22:23], v[20:21], s[6:7], v[8:9] neg_lo:[0,0,1] neg_hi:[0,0,1]
	v_pk_fma_f32 v[8:9], v[20:21], s[6:7], v[8:9] op_sel_hi:[1,0,1]
	s_nop 0
	v_mov_b32_e32 v23, v9
	v_pk_add_f32 v[6:7], v[6:7], v[22:23]
	s_nop 0
	v_mov_b32_e32 v9, v7
.LBB101_21:
	v_mov_b32_e32 v7, v9
	global_store_dwordx2 v[4:5], v[6:7], off
.LBB101_22:
	s_or_b64 exec, exec, s[8:9]
	v_add_u32_e32 v10, 16, v10
	v_mad_i64_i32 v[4:5], s[8:9], v10, s14, 0
	v_cmp_le_i32_e32 vcc, v10, v0
	v_lshl_add_u64 v[4:5], v[4:5], 3, s[12:13]
	s_and_b64 s[8:9], vcc, s[2:3]
	s_and_saveexec_b64 s[2:3], s[8:9]
	s_cbranch_execz .LBB101_26
; %bb.23:
	v_pk_mul_f32 v[8:9], v[18:19], s[10:11] op_sel:[0,1] op_sel_hi:[0,0]
	v_pk_fma_f32 v[6:7], v[16:17], s[10:11], v[8:9] op_sel_hi:[0,1,1] neg_lo:[0,0,1] neg_hi:[0,0,1]
	v_pk_fma_f32 v[8:9], v[16:17], s[10:11], v[8:9] op_sel_hi:[0,1,1]
	s_and_b64 vcc, exec, s[0:1]
	v_lshl_add_u64 v[0:1], v[0:1], 3, v[4:5]
	s_cbranch_vccnz .LBB101_25
; %bb.24:
	global_load_dwordx2 v[16:17], v[0:1], off
	s_mov_b32 s8, s7
	v_mov_b32_e32 v7, v9
	s_waitcnt vmcnt(0)
	v_pk_mul_f32 v[8:9], v[16:17], s[8:9] op_sel:[1,0] op_sel_hi:[0,0]
	v_pk_fma_f32 v[18:19], v[16:17], s[6:7], v[8:9] neg_lo:[0,0,1] neg_hi:[0,0,1]
	v_pk_fma_f32 v[8:9], v[16:17], s[6:7], v[8:9] op_sel_hi:[1,0,1]
	s_nop 0
	v_mov_b32_e32 v19, v9
	v_pk_add_f32 v[6:7], v[6:7], v[18:19]
	s_nop 0
	v_mov_b32_e32 v9, v7
.LBB101_25:
	v_mov_b32_e32 v7, v9
	global_store_dwordx2 v[0:1], v[6:7], off
.LBB101_26:
	s_or_b64 exec, exec, s[2:3]
	v_cmp_le_i32_e32 vcc, v10, v2
	s_and_b64 s[2:3], vcc, s[4:5]
	s_and_saveexec_b64 s[4:5], s[2:3]
	s_cbranch_execz .LBB101_30
; %bb.27:
	v_pk_mul_f32 v[6:7], v[14:15], s[10:11] op_sel:[0,1] op_sel_hi:[0,0]
	v_pk_fma_f32 v[0:1], v[12:13], s[10:11], v[6:7] op_sel_hi:[0,1,1] neg_lo:[0,0,1] neg_hi:[0,0,1]
	v_pk_fma_f32 v[6:7], v[12:13], s[10:11], v[6:7] op_sel_hi:[0,1,1]
	s_and_b64 vcc, exec, s[0:1]
	v_lshl_add_u64 v[2:3], v[2:3], 3, v[4:5]
	s_cbranch_vccnz .LBB101_29
; %bb.28:
	global_load_dwordx2 v[4:5], v[2:3], off
	s_mov_b32 s0, s7
	v_mov_b32_e32 v1, v7
	s_waitcnt vmcnt(0)
	v_pk_mul_f32 v[6:7], v[4:5], s[0:1] op_sel:[1,0] op_sel_hi:[0,0]
	v_pk_fma_f32 v[8:9], v[4:5], s[6:7], v[6:7] neg_lo:[0,0,1] neg_hi:[0,0,1]
	v_pk_fma_f32 v[4:5], v[4:5], s[6:7], v[6:7] op_sel_hi:[1,0,1]
	s_nop 0
	v_mov_b32_e32 v9, v5
	v_pk_add_f32 v[0:1], v[0:1], v[8:9]
	s_nop 0
	v_mov_b32_e32 v7, v1
.LBB101_29:
	v_mov_b32_e32 v1, v7
	global_store_dwordx2 v[2:3], v[0:1], off
.LBB101_30:
	s_endpgm
	.section	.rodata,"a",@progbits
	.p2align	6, 0x0
	.amdhsa_kernel _ZL29rocblas_internal_gemmt_kernelIiLi16ELi32ELi8ELc78ELc67ELc76ELb0ELb1E19rocblas_complex_numIfES1_PKS1_PS1_EviT_T9_T10_S5_lS7_S5_lS6_T11_S5_li
		.amdhsa_group_segment_fixed_size 4096
		.amdhsa_private_segment_fixed_size 0
		.amdhsa_kernarg_size 100
		.amdhsa_user_sgpr_count 2
		.amdhsa_user_sgpr_dispatch_ptr 0
		.amdhsa_user_sgpr_queue_ptr 0
		.amdhsa_user_sgpr_kernarg_segment_ptr 1
		.amdhsa_user_sgpr_dispatch_id 0
		.amdhsa_user_sgpr_kernarg_preload_length 0
		.amdhsa_user_sgpr_kernarg_preload_offset 0
		.amdhsa_user_sgpr_private_segment_size 0
		.amdhsa_uses_dynamic_stack 0
		.amdhsa_enable_private_segment 0
		.amdhsa_system_sgpr_workgroup_id_x 1
		.amdhsa_system_sgpr_workgroup_id_y 1
		.amdhsa_system_sgpr_workgroup_id_z 1
		.amdhsa_system_sgpr_workgroup_info 0
		.amdhsa_system_vgpr_workitem_id 1
		.amdhsa_next_free_vgpr 54
		.amdhsa_next_free_sgpr 30
		.amdhsa_accum_offset 56
		.amdhsa_reserve_vcc 1
		.amdhsa_float_round_mode_32 0
		.amdhsa_float_round_mode_16_64 0
		.amdhsa_float_denorm_mode_32 3
		.amdhsa_float_denorm_mode_16_64 3
		.amdhsa_dx10_clamp 1
		.amdhsa_ieee_mode 1
		.amdhsa_fp16_overflow 0
		.amdhsa_tg_split 0
		.amdhsa_exception_fp_ieee_invalid_op 0
		.amdhsa_exception_fp_denorm_src 0
		.amdhsa_exception_fp_ieee_div_zero 0
		.amdhsa_exception_fp_ieee_overflow 0
		.amdhsa_exception_fp_ieee_underflow 0
		.amdhsa_exception_fp_ieee_inexact 0
		.amdhsa_exception_int_div_zero 0
	.end_amdhsa_kernel
	.section	.text._ZL29rocblas_internal_gemmt_kernelIiLi16ELi32ELi8ELc78ELc67ELc76ELb0ELb1E19rocblas_complex_numIfES1_PKS1_PS1_EviT_T9_T10_S5_lS7_S5_lS6_T11_S5_li,"axG",@progbits,_ZL29rocblas_internal_gemmt_kernelIiLi16ELi32ELi8ELc78ELc67ELc76ELb0ELb1E19rocblas_complex_numIfES1_PKS1_PS1_EviT_T9_T10_S5_lS7_S5_lS6_T11_S5_li,comdat
.Lfunc_end101:
	.size	_ZL29rocblas_internal_gemmt_kernelIiLi16ELi32ELi8ELc78ELc67ELc76ELb0ELb1E19rocblas_complex_numIfES1_PKS1_PS1_EviT_T9_T10_S5_lS7_S5_lS6_T11_S5_li, .Lfunc_end101-_ZL29rocblas_internal_gemmt_kernelIiLi16ELi32ELi8ELc78ELc67ELc76ELb0ELb1E19rocblas_complex_numIfES1_PKS1_PS1_EviT_T9_T10_S5_lS7_S5_lS6_T11_S5_li
                                        ; -- End function
	.set _ZL29rocblas_internal_gemmt_kernelIiLi16ELi32ELi8ELc78ELc67ELc76ELb0ELb1E19rocblas_complex_numIfES1_PKS1_PS1_EviT_T9_T10_S5_lS7_S5_lS6_T11_S5_li.num_vgpr, 54
	.set _ZL29rocblas_internal_gemmt_kernelIiLi16ELi32ELi8ELc78ELc67ELc76ELb0ELb1E19rocblas_complex_numIfES1_PKS1_PS1_EviT_T9_T10_S5_lS7_S5_lS6_T11_S5_li.num_agpr, 0
	.set _ZL29rocblas_internal_gemmt_kernelIiLi16ELi32ELi8ELc78ELc67ELc76ELb0ELb1E19rocblas_complex_numIfES1_PKS1_PS1_EviT_T9_T10_S5_lS7_S5_lS6_T11_S5_li.numbered_sgpr, 30
	.set _ZL29rocblas_internal_gemmt_kernelIiLi16ELi32ELi8ELc78ELc67ELc76ELb0ELb1E19rocblas_complex_numIfES1_PKS1_PS1_EviT_T9_T10_S5_lS7_S5_lS6_T11_S5_li.num_named_barrier, 0
	.set _ZL29rocblas_internal_gemmt_kernelIiLi16ELi32ELi8ELc78ELc67ELc76ELb0ELb1E19rocblas_complex_numIfES1_PKS1_PS1_EviT_T9_T10_S5_lS7_S5_lS6_T11_S5_li.private_seg_size, 0
	.set _ZL29rocblas_internal_gemmt_kernelIiLi16ELi32ELi8ELc78ELc67ELc76ELb0ELb1E19rocblas_complex_numIfES1_PKS1_PS1_EviT_T9_T10_S5_lS7_S5_lS6_T11_S5_li.uses_vcc, 1
	.set _ZL29rocblas_internal_gemmt_kernelIiLi16ELi32ELi8ELc78ELc67ELc76ELb0ELb1E19rocblas_complex_numIfES1_PKS1_PS1_EviT_T9_T10_S5_lS7_S5_lS6_T11_S5_li.uses_flat_scratch, 0
	.set _ZL29rocblas_internal_gemmt_kernelIiLi16ELi32ELi8ELc78ELc67ELc76ELb0ELb1E19rocblas_complex_numIfES1_PKS1_PS1_EviT_T9_T10_S5_lS7_S5_lS6_T11_S5_li.has_dyn_sized_stack, 0
	.set _ZL29rocblas_internal_gemmt_kernelIiLi16ELi32ELi8ELc78ELc67ELc76ELb0ELb1E19rocblas_complex_numIfES1_PKS1_PS1_EviT_T9_T10_S5_lS7_S5_lS6_T11_S5_li.has_recursion, 0
	.set _ZL29rocblas_internal_gemmt_kernelIiLi16ELi32ELi8ELc78ELc67ELc76ELb0ELb1E19rocblas_complex_numIfES1_PKS1_PS1_EviT_T9_T10_S5_lS7_S5_lS6_T11_S5_li.has_indirect_call, 0
	.section	.AMDGPU.csdata,"",@progbits
; Kernel info:
; codeLenInByte = 2512
; TotalNumSgprs: 36
; NumVgprs: 54
; NumAgprs: 0
; TotalNumVgprs: 54
; ScratchSize: 0
; MemoryBound: 0
; FloatMode: 240
; IeeeMode: 1
; LDSByteSize: 4096 bytes/workgroup (compile time only)
; SGPRBlocks: 4
; VGPRBlocks: 6
; NumSGPRsForWavesPerEU: 36
; NumVGPRsForWavesPerEU: 54
; AccumOffset: 56
; Occupancy: 8
; WaveLimiterHint : 0
; COMPUTE_PGM_RSRC2:SCRATCH_EN: 0
; COMPUTE_PGM_RSRC2:USER_SGPR: 2
; COMPUTE_PGM_RSRC2:TRAP_HANDLER: 0
; COMPUTE_PGM_RSRC2:TGID_X_EN: 1
; COMPUTE_PGM_RSRC2:TGID_Y_EN: 1
; COMPUTE_PGM_RSRC2:TGID_Z_EN: 1
; COMPUTE_PGM_RSRC2:TIDIG_COMP_CNT: 1
; COMPUTE_PGM_RSRC3_GFX90A:ACCUM_OFFSET: 13
; COMPUTE_PGM_RSRC3_GFX90A:TG_SPLIT: 0
	.section	.text._ZL29rocblas_internal_gemmt_kernelIiLi16ELi32ELi8ELc84ELc78ELc76ELb0ELb0E19rocblas_complex_numIfES1_PKS1_PS1_EviT_T9_T10_S5_lS7_S5_lS6_T11_S5_li,"axG",@progbits,_ZL29rocblas_internal_gemmt_kernelIiLi16ELi32ELi8ELc84ELc78ELc76ELb0ELb0E19rocblas_complex_numIfES1_PKS1_PS1_EviT_T9_T10_S5_lS7_S5_lS6_T11_S5_li,comdat
	.globl	_ZL29rocblas_internal_gemmt_kernelIiLi16ELi32ELi8ELc84ELc78ELc76ELb0ELb0E19rocblas_complex_numIfES1_PKS1_PS1_EviT_T9_T10_S5_lS7_S5_lS6_T11_S5_li ; -- Begin function _ZL29rocblas_internal_gemmt_kernelIiLi16ELi32ELi8ELc84ELc78ELc76ELb0ELb0E19rocblas_complex_numIfES1_PKS1_PS1_EviT_T9_T10_S5_lS7_S5_lS6_T11_S5_li
	.p2align	8
	.type	_ZL29rocblas_internal_gemmt_kernelIiLi16ELi32ELi8ELc84ELc78ELc76ELb0ELb0E19rocblas_complex_numIfES1_PKS1_PS1_EviT_T9_T10_S5_lS7_S5_lS6_T11_S5_li,@function
_ZL29rocblas_internal_gemmt_kernelIiLi16ELi32ELi8ELc84ELc78ELc76ELb0ELb0E19rocblas_complex_numIfES1_PKS1_PS1_EviT_T9_T10_S5_lS7_S5_lS6_T11_S5_li: ; @_ZL29rocblas_internal_gemmt_kernelIiLi16ELi32ELi8ELc84ELc78ELc76ELb0ELb0E19rocblas_complex_numIfES1_PKS1_PS1_EviT_T9_T10_S5_lS7_S5_lS6_T11_S5_li
; %bb.0:
	s_load_dwordx2 s[16:17], s[0:1], 0x40
	s_load_dwordx4 s[8:11], s[0:1], 0x0
	s_waitcnt lgkmcnt(0)
	s_and_b32 s5, s17, 0x7fffffff
	s_cmp_eq_u32 s5, 0
	v_cmp_eq_f32_e64 s[6:7], s16, 1.0
	s_cselect_b64 s[18:19], -1, 0
	s_and_b64 s[6:7], s[6:7], s[18:19]
	s_and_b64 vcc, exec, s[6:7]
	s_cbranch_vccnz .LBB102_2
; %bb.1:
	s_mov_b64 s[6:7], -1
	s_cbranch_execz .LBB102_3
	s_branch .LBB102_4
.LBB102_2:
	s_mov_b64 s[6:7], 0
.LBB102_3:
	s_cmp_lg_u32 s9, 0
	v_cmp_neq_f32_e64 s[12:13], s10, 0
	v_cmp_neq_f32_e64 s[14:15], s11, 0
	s_cselect_b64 s[6:7], -1, 0
	s_or_b64 s[12:13], s[12:13], s[14:15]
	s_and_b64 s[6:7], s[6:7], s[12:13]
.LBB102_4:
	s_andn2_b64 vcc, exec, s[6:7]
	s_cbranch_vccnz .LBB102_28
; %bb.5:
	s_lshl_b32 s5, s2, 5
	s_lshl_b32 s20, s3, 5
	v_cmp_eq_f32_e64 s[2:3], s10, 0
	v_cmp_eq_f32_e64 s[6:7], s11, 0
	s_and_b64 s[2:3], s[2:3], s[6:7]
	s_cmp_lt_i32 s9, 1
	s_cselect_b64 s[6:7], -1, 0
	s_or_b64 s[2:3], s[2:3], s[6:7]
	v_and_b32_e32 v13, 0x3ff, v0
	v_bfe_u32 v15, v0, 10, 10
	s_mov_b32 s21, 0
	v_mov_b32_e32 v24, 0
	s_and_b64 vcc, exec, s[2:3]
	v_mov_b32_e32 v26, 0
	v_mov_b32_e32 v20, 0
	;; [unrolled: 1-line block ×7, first 2 shown]
	s_cbranch_vccnz .LBB102_12
; %bb.6:
	v_lshl_add_u32 v0, v15, 4, v13
	v_and_b32_e32 v2, 31, v0
	v_lshrrev_b32_e32 v19, 5, v0
	v_lshrrev_b32_e32 v1, 3, v0
	v_or_b32_e32 v0, s5, v2
	v_and_b32_e32 v17, 7, v13
	v_cmp_gt_i32_e32 vcc, s8, v0
	v_lshlrev_b32_e32 v0, 3, v2
	v_lshl_or_b32 v21, v19, 8, v0
	v_lshlrev_b32_e32 v0, 3, v17
	v_add_u32_e32 v6, s20, v1
	v_lshl_or_b32 v1, v1, 6, v0
	s_load_dwordx2 s[6:7], s[0:1], 0x10
	s_load_dword s24, s[0:1], 0x18
	s_load_dwordx4 s[12:15], s[0:1], 0x20
	s_load_dword s26, s[0:1], 0x30
	s_load_dwordx2 s[22:23], s[0:1], 0x38
	v_add_u32_e32 v23, 0x800, v1
	v_mov_b32_e32 v1, 0x800
	v_lshl_add_u32 v27, v15, 6, v1
	v_add_u32_e32 v1, s5, v2
	s_waitcnt lgkmcnt(0)
	v_mad_i64_i32 v[2:3], s[24:25], s24, v1, 0
	s_mul_i32 s13, s13, s4
	s_mul_hi_u32 s24, s12, s4
	s_add_i32 s13, s24, s13
	s_mul_i32 s12, s12, s4
	s_lshl_b64 s[12:13], s[12:13], 3
	v_lshl_add_u64 v[2:3], v[2:3], 3, s[12:13]
	v_lshlrev_b32_e32 v4, 3, v19
	v_mov_b32_e32 v5, 0
	v_lshl_add_u64 v[2:3], v[2:3], 0, v[4:5]
	v_lshl_add_u64 v[8:9], s[6:7], 0, v[2:3]
	v_mad_i64_i32 v[2:3], s[6:7], s26, v6, 0
	s_mul_i32 s6, s23, s4
	s_mul_hi_u32 s7, s22, s4
	s_add_i32 s7, s7, s6
	s_mul_i32 s6, s22, s4
	s_lshl_b64 s[6:7], s[6:7], 3
	v_lshl_add_u64 v[2:3], v[2:3], 3, s[6:7]
	v_mov_b32_e32 v1, v5
	v_lshl_add_u64 v[0:1], v[2:3], 0, v[0:1]
	v_cmp_gt_i32_e64 s[2:3], s8, v6
	v_lshlrev_b32_e32 v25, 3, v13
	v_lshl_add_u64 v[10:11], s[14:15], 0, v[0:1]
	v_mov_b32_e32 v14, v5
	v_mov_b32_e32 v12, v5
	;; [unrolled: 1-line block ×8, first 2 shown]
	s_branch .LBB102_8
.LBB102_7:                              ;   in Loop: Header=BB102_8 Depth=1
	s_or_b64 exec, exec, s[6:7]
	s_waitcnt vmcnt(0)
	ds_write_b64 v23, v[0:1]
	s_waitcnt lgkmcnt(0)
	s_barrier
	ds_read2_b64 v[28:31], v25 offset1:16
	ds_read_b128 v[32:35], v27
	ds_read_b128 v[36:39], v27 offset:16
	ds_read_b128 v[4:7], v27 offset:32
	;; [unrolled: 1-line block ×3, first 2 shown]
	ds_read2_b64 v[48:51], v25 offset0:32 offset1:48
	s_waitcnt lgkmcnt(4)
	v_mul_f32_e32 v40, v33, v29
	v_fma_f32 v40, v32, v28, -v40
	v_mul_f32_e32 v41, v32, v29
	v_fmac_f32_e32 v41, v33, v28
	v_add_f32_e32 v24, v24, v40
	v_mul_f32_e32 v40, v33, v31
	v_add_f32_e32 v26, v26, v41
	v_fma_f32 v44, v32, v30, -v40
	ds_read_b128 v[40:43], v27 offset:1024
	v_mul_f32_e32 v32, v32, v31
	v_fmac_f32_e32 v32, v33, v30
	v_add_f32_e32 v20, v20, v44
	v_add_f32_e32 v22, v22, v32
	ds_read_b128 v[44:47], v27 offset:1040
	s_waitcnt lgkmcnt(1)
	v_mul_f32_e32 v32, v41, v29
	v_mul_f32_e32 v29, v40, v29
	v_fma_f32 v32, v40, v28, -v32
	v_fmac_f32_e32 v29, v41, v28
	v_mul_f32_e32 v28, v41, v31
	v_add_f32_e32 v18, v18, v29
	v_fma_f32 v28, v40, v30, -v28
	v_mul_f32_e32 v29, v40, v31
	v_fmac_f32_e32 v29, v41, v30
	v_add_f32_e32 v12, v12, v28
	v_mul_f32_e32 v28, v35, v49
	v_add_f32_e32 v14, v14, v29
	v_fma_f32 v28, v34, v48, -v28
	v_mul_f32_e32 v29, v34, v49
	v_fmac_f32_e32 v29, v35, v48
	v_add_f32_e32 v24, v24, v28
	;; [unrolled: 6-line block ×3, first 2 shown]
	v_mul_f32_e32 v28, v43, v49
	v_add_f32_e32 v16, v16, v32
	v_add_f32_e32 v22, v22, v29
	v_fma_f32 v28, v42, v48, -v28
	v_mul_f32_e32 v29, v42, v49
	v_fmac_f32_e32 v29, v43, v48
	v_add_f32_e32 v16, v16, v28
	v_mul_f32_e32 v28, v43, v51
	v_add_f32_e32 v18, v18, v29
	v_fma_f32 v32, v42, v50, -v28
	ds_read2_b64 v[28:31], v25 offset0:64 offset1:80
	v_mul_f32_e32 v33, v42, v51
	v_add_f32_e32 v12, v12, v32
	v_fmac_f32_e32 v33, v43, v50
	v_add_f32_e32 v14, v14, v33
	s_waitcnt lgkmcnt(0)
	v_mul_f32_e32 v32, v37, v29
	v_fma_f32 v32, v36, v28, -v32
	v_mul_f32_e32 v33, v36, v29
	v_add_f32_e32 v24, v24, v32
	v_mul_f32_e32 v32, v37, v31
	v_fmac_f32_e32 v33, v37, v28
	v_fma_f32 v32, v36, v30, -v32
	v_add_f32_e32 v26, v26, v33
	v_mul_f32_e32 v33, v36, v31
	v_add_f32_e32 v20, v20, v32
	v_mul_f32_e32 v32, v45, v29
	v_fmac_f32_e32 v33, v37, v30
	v_fma_f32 v32, v44, v28, -v32
	v_add_f32_e32 v22, v22, v33
	v_add_f32_e32 v16, v16, v32
	ds_read2_b64 v[32:35], v25 offset0:96 offset1:112
	v_mul_f32_e32 v29, v44, v29
	v_fmac_f32_e32 v29, v45, v28
	v_mul_f32_e32 v28, v45, v31
	v_add_f32_e32 v18, v18, v29
	v_fma_f32 v28, v44, v30, -v28
	v_mul_f32_e32 v29, v44, v31
	v_fmac_f32_e32 v29, v45, v30
	v_add_f32_e32 v12, v12, v28
	s_waitcnt lgkmcnt(0)
	v_mul_f32_e32 v28, v39, v33
	v_add_f32_e32 v14, v14, v29
	v_fma_f32 v28, v38, v32, -v28
	v_mul_f32_e32 v29, v38, v33
	v_fmac_f32_e32 v29, v39, v32
	v_add_f32_e32 v24, v24, v28
	v_mul_f32_e32 v28, v39, v35
	v_add_f32_e32 v26, v26, v29
	v_fma_f32 v28, v38, v34, -v28
	v_mul_f32_e32 v29, v38, v35
	v_fmac_f32_e32 v29, v39, v34
	v_add_f32_e32 v20, v20, v28
	;; [unrolled: 6-line block ×3, first 2 shown]
	v_mul_f32_e32 v28, v47, v35
	v_add_f32_e32 v18, v18, v29
	v_fma_f32 v32, v46, v34, -v28
	ds_read2_b64 v[28:31], v25 offset0:128 offset1:144
	v_mul_f32_e32 v33, v46, v35
	v_fmac_f32_e32 v33, v47, v34
	v_add_f32_e32 v12, v12, v32
	v_add_f32_e32 v14, v14, v33
	s_waitcnt lgkmcnt(0)
	v_mul_f32_e32 v32, v5, v29
	v_fma_f32 v32, v4, v28, -v32
	v_mul_f32_e32 v33, v4, v29
	v_fmac_f32_e32 v33, v5, v28
	v_add_f32_e32 v24, v24, v32
	v_mul_f32_e32 v32, v5, v31
	v_add_f32_e32 v26, v26, v33
	v_fma_f32 v36, v4, v30, -v32
	ds_read_b128 v[32:35], v27 offset:1056
	v_mul_f32_e32 v4, v4, v31
	ds_read2_b64 v[40:43], v25 offset0:160 offset1:176
	v_fmac_f32_e32 v4, v5, v30
	v_add_f32_e32 v5, v20, v36
	ds_read_b128 v[36:39], v27 offset:1072
	s_waitcnt lgkmcnt(2)
	v_mul_f32_e32 v20, v33, v29
	v_fma_f32 v20, v32, v28, -v20
	v_add_f32_e32 v16, v16, v20
	v_mul_f32_e32 v20, v33, v31
	v_add_f32_e32 v4, v22, v4
	v_mul_f32_e32 v22, v32, v29
	v_fma_f32 v20, v32, v30, -v20
	v_fmac_f32_e32 v22, v33, v28
	v_add_f32_e32 v12, v12, v20
	s_waitcnt lgkmcnt(1)
	v_mul_f32_e32 v20, v7, v41
	v_add_f32_e32 v18, v18, v22
	v_mul_f32_e32 v22, v32, v31
	v_fma_f32 v20, v6, v40, -v20
	v_fmac_f32_e32 v22, v33, v30
	v_add_f32_e32 v20, v24, v20
	v_mul_f32_e32 v24, v7, v43
	v_add_f32_e32 v14, v14, v22
	v_mul_f32_e32 v22, v6, v41
	v_fma_f32 v24, v6, v42, -v24
	v_mul_f32_e32 v6, v6, v43
	v_fmac_f32_e32 v22, v7, v40
	v_fmac_f32_e32 v6, v7, v42
	v_add_f32_e32 v22, v26, v22
	v_add_f32_e32 v26, v4, v6
	v_mul_f32_e32 v4, v35, v41
	v_add_f32_e32 v24, v5, v24
	v_fma_f32 v4, v34, v40, -v4
	v_mul_f32_e32 v5, v34, v41
	v_fmac_f32_e32 v5, v35, v40
	v_add_f32_e32 v16, v16, v4
	v_mul_f32_e32 v4, v35, v43
	v_add_f32_e32 v18, v18, v5
	v_fma_f32 v28, v34, v42, -v4
	ds_read2_b64 v[4:7], v25 offset0:192 offset1:208
	v_mul_f32_e32 v29, v34, v43
	v_add_f32_e32 v12, v12, v28
	v_fmac_f32_e32 v29, v35, v42
	v_add_f32_e32 v14, v14, v29
	s_waitcnt lgkmcnt(0)
	v_mul_f32_e32 v28, v1, v5
	v_fma_f32 v28, v0, v4, -v28
	v_mul_f32_e32 v29, v0, v5
	v_add_f32_e32 v20, v20, v28
	v_mul_f32_e32 v28, v1, v7
	v_fmac_f32_e32 v29, v1, v4
	v_fma_f32 v28, v0, v6, -v28
	v_mul_f32_e32 v0, v0, v7
	v_add_f32_e32 v22, v22, v29
	v_fmac_f32_e32 v0, v1, v6
	v_add_f32_e32 v1, v24, v28
	ds_read2_b64 v[28:31], v25 offset0:224 offset1:240
	v_mul_f32_e32 v24, v37, v5
	v_fma_f32 v24, v36, v4, -v24
	v_mul_f32_e32 v5, v36, v5
	v_fmac_f32_e32 v5, v37, v4
	v_add_f32_e32 v4, v16, v24
	v_mul_f32_e32 v16, v37, v7
	v_fma_f32 v16, v36, v6, -v16
	v_mul_f32_e32 v7, v36, v7
	v_fmac_f32_e32 v7, v37, v6
	v_add_f32_e32 v6, v12, v16
	s_waitcnt lgkmcnt(0)
	v_mul_f32_e32 v12, v3, v29
	v_fma_f32 v12, v2, v28, -v12
	v_add_f32_e32 v24, v20, v12
	v_mul_f32_e32 v12, v3, v31
	v_add_f32_e32 v7, v14, v7
	v_mul_f32_e32 v14, v2, v29
	v_fma_f32 v12, v2, v30, -v12
	v_mul_f32_e32 v2, v2, v31
	v_add_f32_e32 v0, v26, v0
	v_fmac_f32_e32 v14, v3, v28
	v_fmac_f32_e32 v2, v3, v30
	v_add_f32_e32 v26, v22, v14
	v_add_f32_e32 v20, v1, v12
	;; [unrolled: 1-line block ×3, first 2 shown]
	v_mul_f32_e32 v0, v39, v29
	v_mul_f32_e32 v1, v38, v29
	v_add_f32_e32 v5, v18, v5
	v_fma_f32 v0, v38, v28, -v0
	v_fmac_f32_e32 v1, v39, v28
	v_add_f32_e32 v16, v4, v0
	v_add_f32_e32 v18, v5, v1
	v_mul_f32_e32 v0, v39, v31
	v_mul_f32_e32 v1, v38, v31
	v_fma_f32 v0, v38, v30, -v0
	v_fmac_f32_e32 v1, v39, v30
	s_add_i32 s21, s21, 8
	v_add_f32_e32 v12, v6, v0
	v_add_f32_e32 v14, v7, v1
	v_lshl_add_u64 v[8:9], v[8:9], 0, 64
	s_cmp_lt_i32 s21, s9
	v_lshl_add_u64 v[10:11], v[10:11], 0, 64
	s_barrier
	s_cbranch_scc0 .LBB102_12
.LBB102_8:                              ; =>This Inner Loop Header: Depth=1
	v_add_u32_e32 v0, s21, v19
	v_cmp_gt_i32_e64 s[6:7], s9, v0
	s_and_b64 s[12:13], vcc, s[6:7]
	v_mov_b32_e32 v0, 0
	v_mov_b32_e32 v1, 0
	s_and_saveexec_b64 s[6:7], s[12:13]
	s_cbranch_execz .LBB102_10
; %bb.9:                                ;   in Loop: Header=BB102_8 Depth=1
	global_load_dwordx2 v[0:1], v[8:9], off
.LBB102_10:                             ;   in Loop: Header=BB102_8 Depth=1
	s_or_b64 exec, exec, s[6:7]
	s_waitcnt vmcnt(0)
	ds_write_b64 v21, v[0:1]
	v_add_u32_e32 v0, s21, v17
	v_cmp_gt_i32_e64 s[6:7], s9, v0
	s_and_b64 s[12:13], s[6:7], s[2:3]
	v_mov_b32_e32 v0, 0
	v_mov_b32_e32 v1, 0
	s_and_saveexec_b64 s[6:7], s[12:13]
	s_cbranch_execz .LBB102_7
; %bb.11:                               ;   in Loop: Header=BB102_8 Depth=1
	global_load_dwordx2 v[0:1], v[10:11], off
	s_branch .LBB102_7
.LBB102_12:
	s_load_dwordx2 s[2:3], s[0:1], 0x58
	s_load_dwordx2 s[6:7], s[0:1], 0x48
	s_load_dword s12, s[0:1], 0x50
	v_add_u32_e32 v0, s5, v13
	v_add_u32_e32 v10, s20, v15
	s_waitcnt lgkmcnt(0)
	s_mul_i32 s1, s3, s4
	s_mul_hi_u32 s3, s2, s4
	s_mul_i32 s0, s2, s4
	s_add_i32 s1, s3, s1
	s_lshl_b64 s[0:1], s[0:1], 3
	s_add_u32 s6, s6, s0
	s_addc_u32 s7, s7, s1
	v_cmp_neq_f32_e64 s[0:1], s16, 0
	s_xor_b64 s[4:5], s[18:19], -1
	v_mad_i64_i32 v[2:3], s[2:3], v10, s12, 0
	s_or_b64 s[0:1], s[0:1], s[4:5]
	v_lshl_add_u64 v[4:5], v[2:3], 3, s[6:7]
	v_cmp_le_i32_e32 vcc, v10, v0
	v_cmp_gt_i32_e64 s[2:3], s8, v0
	v_cndmask_b32_e64 v2, 0, 1, s[0:1]
	s_and_b64 s[14:15], vcc, s[2:3]
	v_ashrrev_i32_e32 v1, 31, v0
	v_cmp_ne_u32_e64 s[0:1], 1, v2
	s_and_saveexec_b64 s[4:5], s[14:15]
	s_cbranch_execz .LBB102_16
; %bb.13:
	v_pk_mul_f32 v[6:7], v[26:27], s[10:11] op_sel:[0,1] op_sel_hi:[0,0]
	v_pk_fma_f32 v[2:3], v[24:25], s[10:11], v[6:7] op_sel_hi:[0,1,1] neg_lo:[0,0,1] neg_hi:[0,0,1]
	v_pk_fma_f32 v[8:9], v[24:25], s[10:11], v[6:7] op_sel_hi:[0,1,1]
	s_and_b64 vcc, exec, s[0:1]
	v_lshl_add_u64 v[6:7], v[0:1], 3, v[4:5]
	s_cbranch_vccnz .LBB102_15
; %bb.14:
	global_load_dwordx2 v[24:25], v[6:7], off
	s_mov_b32 s14, s17
	v_mov_b32_e32 v3, v9
	s_waitcnt vmcnt(0)
	v_pk_mul_f32 v[8:9], v[24:25], s[14:15] op_sel:[1,0] op_sel_hi:[0,0]
	v_pk_fma_f32 v[26:27], v[24:25], s[16:17], v[8:9] neg_lo:[0,0,1] neg_hi:[0,0,1]
	v_pk_fma_f32 v[8:9], v[24:25], s[16:17], v[8:9] op_sel_hi:[1,0,1]
	s_nop 0
	v_mov_b32_e32 v27, v9
	v_pk_add_f32 v[2:3], v[2:3], v[26:27]
	s_nop 0
	v_mov_b32_e32 v9, v3
.LBB102_15:
	v_mov_b32_e32 v3, v9
	global_store_dwordx2 v[6:7], v[2:3], off
.LBB102_16:
	s_or_b64 exec, exec, s[4:5]
	v_add_u32_e32 v2, 16, v0
	v_cmp_le_i32_e32 vcc, v10, v2
	v_cmp_gt_i32_e64 s[4:5], s8, v2
	s_and_b64 s[14:15], vcc, s[4:5]
	v_ashrrev_i32_e32 v3, 31, v2
	s_and_saveexec_b64 s[8:9], s[14:15]
	s_cbranch_execz .LBB102_20
; %bb.17:
	v_pk_mul_f32 v[8:9], v[22:23], s[10:11] op_sel:[0,1] op_sel_hi:[0,0]
	v_pk_fma_f32 v[6:7], v[20:21], s[10:11], v[8:9] op_sel_hi:[0,1,1] neg_lo:[0,0,1] neg_hi:[0,0,1]
	v_pk_fma_f32 v[8:9], v[20:21], s[10:11], v[8:9] op_sel_hi:[0,1,1]
	s_and_b64 vcc, exec, s[0:1]
	v_lshl_add_u64 v[4:5], v[2:3], 3, v[4:5]
	s_cbranch_vccnz .LBB102_19
; %bb.18:
	global_load_dwordx2 v[20:21], v[4:5], off
	s_mov_b32 s14, s17
	v_mov_b32_e32 v7, v9
	s_waitcnt vmcnt(0)
	v_pk_mul_f32 v[8:9], v[20:21], s[14:15] op_sel:[1,0] op_sel_hi:[0,0]
	v_pk_fma_f32 v[22:23], v[20:21], s[16:17], v[8:9] neg_lo:[0,0,1] neg_hi:[0,0,1]
	v_pk_fma_f32 v[8:9], v[20:21], s[16:17], v[8:9] op_sel_hi:[1,0,1]
	s_nop 0
	v_mov_b32_e32 v23, v9
	v_pk_add_f32 v[6:7], v[6:7], v[22:23]
	s_nop 0
	v_mov_b32_e32 v9, v7
.LBB102_19:
	v_mov_b32_e32 v7, v9
	global_store_dwordx2 v[4:5], v[6:7], off
.LBB102_20:
	s_or_b64 exec, exec, s[8:9]
	v_add_u32_e32 v10, 16, v10
	v_mad_i64_i32 v[4:5], s[8:9], v10, s12, 0
	v_cmp_le_i32_e32 vcc, v10, v0
	v_lshl_add_u64 v[4:5], v[4:5], 3, s[6:7]
	s_and_b64 s[6:7], vcc, s[2:3]
	s_and_saveexec_b64 s[2:3], s[6:7]
	s_cbranch_execz .LBB102_24
; %bb.21:
	v_pk_mul_f32 v[8:9], v[18:19], s[10:11] op_sel:[0,1] op_sel_hi:[0,0]
	v_pk_fma_f32 v[6:7], v[16:17], s[10:11], v[8:9] op_sel_hi:[0,1,1] neg_lo:[0,0,1] neg_hi:[0,0,1]
	v_pk_fma_f32 v[8:9], v[16:17], s[10:11], v[8:9] op_sel_hi:[0,1,1]
	s_and_b64 vcc, exec, s[0:1]
	v_lshl_add_u64 v[0:1], v[0:1], 3, v[4:5]
	s_cbranch_vccnz .LBB102_23
; %bb.22:
	global_load_dwordx2 v[16:17], v[0:1], off
	s_mov_b32 s6, s17
	v_mov_b32_e32 v7, v9
	s_waitcnt vmcnt(0)
	v_pk_mul_f32 v[8:9], v[16:17], s[6:7] op_sel:[1,0] op_sel_hi:[0,0]
	v_pk_fma_f32 v[18:19], v[16:17], s[16:17], v[8:9] neg_lo:[0,0,1] neg_hi:[0,0,1]
	v_pk_fma_f32 v[8:9], v[16:17], s[16:17], v[8:9] op_sel_hi:[1,0,1]
	s_nop 0
	v_mov_b32_e32 v19, v9
	v_pk_add_f32 v[6:7], v[6:7], v[18:19]
	s_nop 0
	v_mov_b32_e32 v9, v7
.LBB102_23:
	v_mov_b32_e32 v7, v9
	global_store_dwordx2 v[0:1], v[6:7], off
.LBB102_24:
	s_or_b64 exec, exec, s[2:3]
	v_cmp_le_i32_e32 vcc, v10, v2
	s_and_b64 s[2:3], vcc, s[4:5]
	s_and_saveexec_b64 s[4:5], s[2:3]
	s_cbranch_execz .LBB102_28
; %bb.25:
	v_pk_mul_f32 v[6:7], v[14:15], s[10:11] op_sel:[0,1] op_sel_hi:[0,0]
	v_pk_fma_f32 v[0:1], v[12:13], s[10:11], v[6:7] op_sel_hi:[0,1,1] neg_lo:[0,0,1] neg_hi:[0,0,1]
	v_pk_fma_f32 v[6:7], v[12:13], s[10:11], v[6:7] op_sel_hi:[0,1,1]
	s_and_b64 vcc, exec, s[0:1]
	v_lshl_add_u64 v[2:3], v[2:3], 3, v[4:5]
	s_cbranch_vccnz .LBB102_27
; %bb.26:
	global_load_dwordx2 v[4:5], v[2:3], off
	s_mov_b32 s0, s17
	v_mov_b32_e32 v1, v7
	s_waitcnt vmcnt(0)
	v_pk_mul_f32 v[6:7], v[4:5], s[0:1] op_sel:[1,0] op_sel_hi:[0,0]
	v_pk_fma_f32 v[8:9], v[4:5], s[16:17], v[6:7] neg_lo:[0,0,1] neg_hi:[0,0,1]
	v_pk_fma_f32 v[4:5], v[4:5], s[16:17], v[6:7] op_sel_hi:[1,0,1]
	s_nop 0
	v_mov_b32_e32 v9, v5
	v_pk_add_f32 v[0:1], v[0:1], v[8:9]
	s_nop 0
	v_mov_b32_e32 v7, v1
.LBB102_27:
	v_mov_b32_e32 v1, v7
	global_store_dwordx2 v[2:3], v[0:1], off
.LBB102_28:
	s_endpgm
	.section	.rodata,"a",@progbits
	.p2align	6, 0x0
	.amdhsa_kernel _ZL29rocblas_internal_gemmt_kernelIiLi16ELi32ELi8ELc84ELc78ELc76ELb0ELb0E19rocblas_complex_numIfES1_PKS1_PS1_EviT_T9_T10_S5_lS7_S5_lS6_T11_S5_li
		.amdhsa_group_segment_fixed_size 4096
		.amdhsa_private_segment_fixed_size 0
		.amdhsa_kernarg_size 100
		.amdhsa_user_sgpr_count 2
		.amdhsa_user_sgpr_dispatch_ptr 0
		.amdhsa_user_sgpr_queue_ptr 0
		.amdhsa_user_sgpr_kernarg_segment_ptr 1
		.amdhsa_user_sgpr_dispatch_id 0
		.amdhsa_user_sgpr_kernarg_preload_length 0
		.amdhsa_user_sgpr_kernarg_preload_offset 0
		.amdhsa_user_sgpr_private_segment_size 0
		.amdhsa_uses_dynamic_stack 0
		.amdhsa_enable_private_segment 0
		.amdhsa_system_sgpr_workgroup_id_x 1
		.amdhsa_system_sgpr_workgroup_id_y 1
		.amdhsa_system_sgpr_workgroup_id_z 1
		.amdhsa_system_sgpr_workgroup_info 0
		.amdhsa_system_vgpr_workitem_id 1
		.amdhsa_next_free_vgpr 52
		.amdhsa_next_free_sgpr 27
		.amdhsa_accum_offset 52
		.amdhsa_reserve_vcc 1
		.amdhsa_float_round_mode_32 0
		.amdhsa_float_round_mode_16_64 0
		.amdhsa_float_denorm_mode_32 3
		.amdhsa_float_denorm_mode_16_64 3
		.amdhsa_dx10_clamp 1
		.amdhsa_ieee_mode 1
		.amdhsa_fp16_overflow 0
		.amdhsa_tg_split 0
		.amdhsa_exception_fp_ieee_invalid_op 0
		.amdhsa_exception_fp_denorm_src 0
		.amdhsa_exception_fp_ieee_div_zero 0
		.amdhsa_exception_fp_ieee_overflow 0
		.amdhsa_exception_fp_ieee_underflow 0
		.amdhsa_exception_fp_ieee_inexact 0
		.amdhsa_exception_int_div_zero 0
	.end_amdhsa_kernel
	.section	.text._ZL29rocblas_internal_gemmt_kernelIiLi16ELi32ELi8ELc84ELc78ELc76ELb0ELb0E19rocblas_complex_numIfES1_PKS1_PS1_EviT_T9_T10_S5_lS7_S5_lS6_T11_S5_li,"axG",@progbits,_ZL29rocblas_internal_gemmt_kernelIiLi16ELi32ELi8ELc84ELc78ELc76ELb0ELb0E19rocblas_complex_numIfES1_PKS1_PS1_EviT_T9_T10_S5_lS7_S5_lS6_T11_S5_li,comdat
.Lfunc_end102:
	.size	_ZL29rocblas_internal_gemmt_kernelIiLi16ELi32ELi8ELc84ELc78ELc76ELb0ELb0E19rocblas_complex_numIfES1_PKS1_PS1_EviT_T9_T10_S5_lS7_S5_lS6_T11_S5_li, .Lfunc_end102-_ZL29rocblas_internal_gemmt_kernelIiLi16ELi32ELi8ELc84ELc78ELc76ELb0ELb0E19rocblas_complex_numIfES1_PKS1_PS1_EviT_T9_T10_S5_lS7_S5_lS6_T11_S5_li
                                        ; -- End function
	.set _ZL29rocblas_internal_gemmt_kernelIiLi16ELi32ELi8ELc84ELc78ELc76ELb0ELb0E19rocblas_complex_numIfES1_PKS1_PS1_EviT_T9_T10_S5_lS7_S5_lS6_T11_S5_li.num_vgpr, 52
	.set _ZL29rocblas_internal_gemmt_kernelIiLi16ELi32ELi8ELc84ELc78ELc76ELb0ELb0E19rocblas_complex_numIfES1_PKS1_PS1_EviT_T9_T10_S5_lS7_S5_lS6_T11_S5_li.num_agpr, 0
	.set _ZL29rocblas_internal_gemmt_kernelIiLi16ELi32ELi8ELc84ELc78ELc76ELb0ELb0E19rocblas_complex_numIfES1_PKS1_PS1_EviT_T9_T10_S5_lS7_S5_lS6_T11_S5_li.numbered_sgpr, 27
	.set _ZL29rocblas_internal_gemmt_kernelIiLi16ELi32ELi8ELc84ELc78ELc76ELb0ELb0E19rocblas_complex_numIfES1_PKS1_PS1_EviT_T9_T10_S5_lS7_S5_lS6_T11_S5_li.num_named_barrier, 0
	.set _ZL29rocblas_internal_gemmt_kernelIiLi16ELi32ELi8ELc84ELc78ELc76ELb0ELb0E19rocblas_complex_numIfES1_PKS1_PS1_EviT_T9_T10_S5_lS7_S5_lS6_T11_S5_li.private_seg_size, 0
	.set _ZL29rocblas_internal_gemmt_kernelIiLi16ELi32ELi8ELc84ELc78ELc76ELb0ELb0E19rocblas_complex_numIfES1_PKS1_PS1_EviT_T9_T10_S5_lS7_S5_lS6_T11_S5_li.uses_vcc, 1
	.set _ZL29rocblas_internal_gemmt_kernelIiLi16ELi32ELi8ELc84ELc78ELc76ELb0ELb0E19rocblas_complex_numIfES1_PKS1_PS1_EviT_T9_T10_S5_lS7_S5_lS6_T11_S5_li.uses_flat_scratch, 0
	.set _ZL29rocblas_internal_gemmt_kernelIiLi16ELi32ELi8ELc84ELc78ELc76ELb0ELb0E19rocblas_complex_numIfES1_PKS1_PS1_EviT_T9_T10_S5_lS7_S5_lS6_T11_S5_li.has_dyn_sized_stack, 0
	.set _ZL29rocblas_internal_gemmt_kernelIiLi16ELi32ELi8ELc84ELc78ELc76ELb0ELb0E19rocblas_complex_numIfES1_PKS1_PS1_EviT_T9_T10_S5_lS7_S5_lS6_T11_S5_li.has_recursion, 0
	.set _ZL29rocblas_internal_gemmt_kernelIiLi16ELi32ELi8ELc84ELc78ELc76ELb0ELb0E19rocblas_complex_numIfES1_PKS1_PS1_EviT_T9_T10_S5_lS7_S5_lS6_T11_S5_li.has_indirect_call, 0
	.section	.AMDGPU.csdata,"",@progbits
; Kernel info:
; codeLenInByte = 2444
; TotalNumSgprs: 33
; NumVgprs: 52
; NumAgprs: 0
; TotalNumVgprs: 52
; ScratchSize: 0
; MemoryBound: 0
; FloatMode: 240
; IeeeMode: 1
; LDSByteSize: 4096 bytes/workgroup (compile time only)
; SGPRBlocks: 4
; VGPRBlocks: 6
; NumSGPRsForWavesPerEU: 33
; NumVGPRsForWavesPerEU: 52
; AccumOffset: 52
; Occupancy: 8
; WaveLimiterHint : 0
; COMPUTE_PGM_RSRC2:SCRATCH_EN: 0
; COMPUTE_PGM_RSRC2:USER_SGPR: 2
; COMPUTE_PGM_RSRC2:TRAP_HANDLER: 0
; COMPUTE_PGM_RSRC2:TGID_X_EN: 1
; COMPUTE_PGM_RSRC2:TGID_Y_EN: 1
; COMPUTE_PGM_RSRC2:TGID_Z_EN: 1
; COMPUTE_PGM_RSRC2:TIDIG_COMP_CNT: 1
; COMPUTE_PGM_RSRC3_GFX90A:ACCUM_OFFSET: 12
; COMPUTE_PGM_RSRC3_GFX90A:TG_SPLIT: 0
	.section	.text._ZL29rocblas_internal_gemmt_kernelIiLi16ELi32ELi8ELc84ELc84ELc76ELb0ELb0E19rocblas_complex_numIfES1_PKS1_PS1_EviT_T9_T10_S5_lS7_S5_lS6_T11_S5_li,"axG",@progbits,_ZL29rocblas_internal_gemmt_kernelIiLi16ELi32ELi8ELc84ELc84ELc76ELb0ELb0E19rocblas_complex_numIfES1_PKS1_PS1_EviT_T9_T10_S5_lS7_S5_lS6_T11_S5_li,comdat
	.globl	_ZL29rocblas_internal_gemmt_kernelIiLi16ELi32ELi8ELc84ELc84ELc76ELb0ELb0E19rocblas_complex_numIfES1_PKS1_PS1_EviT_T9_T10_S5_lS7_S5_lS6_T11_S5_li ; -- Begin function _ZL29rocblas_internal_gemmt_kernelIiLi16ELi32ELi8ELc84ELc84ELc76ELb0ELb0E19rocblas_complex_numIfES1_PKS1_PS1_EviT_T9_T10_S5_lS7_S5_lS6_T11_S5_li
	.p2align	8
	.type	_ZL29rocblas_internal_gemmt_kernelIiLi16ELi32ELi8ELc84ELc84ELc76ELb0ELb0E19rocblas_complex_numIfES1_PKS1_PS1_EviT_T9_T10_S5_lS7_S5_lS6_T11_S5_li,@function
_ZL29rocblas_internal_gemmt_kernelIiLi16ELi32ELi8ELc84ELc84ELc76ELb0ELb0E19rocblas_complex_numIfES1_PKS1_PS1_EviT_T9_T10_S5_lS7_S5_lS6_T11_S5_li: ; @_ZL29rocblas_internal_gemmt_kernelIiLi16ELi32ELi8ELc84ELc84ELc76ELb0ELb0E19rocblas_complex_numIfES1_PKS1_PS1_EviT_T9_T10_S5_lS7_S5_lS6_T11_S5_li
; %bb.0:
	s_load_dwordx2 s[16:17], s[0:1], 0x40
	s_load_dwordx4 s[8:11], s[0:1], 0x0
	s_waitcnt lgkmcnt(0)
	s_and_b32 s5, s17, 0x7fffffff
	s_cmp_eq_u32 s5, 0
	v_cmp_eq_f32_e64 s[6:7], s16, 1.0
	s_cselect_b64 s[18:19], -1, 0
	s_and_b64 s[6:7], s[6:7], s[18:19]
	s_and_b64 vcc, exec, s[6:7]
	s_cbranch_vccnz .LBB103_2
; %bb.1:
	s_mov_b64 s[6:7], -1
	s_cbranch_execz .LBB103_3
	s_branch .LBB103_4
.LBB103_2:
	s_mov_b64 s[6:7], 0
.LBB103_3:
	s_cmp_lg_u32 s9, 0
	v_cmp_neq_f32_e64 s[12:13], s10, 0
	v_cmp_neq_f32_e64 s[14:15], s11, 0
	s_cselect_b64 s[6:7], -1, 0
	s_or_b64 s[12:13], s[12:13], s[14:15]
	s_and_b64 s[6:7], s[6:7], s[12:13]
.LBB103_4:
	s_andn2_b64 vcc, exec, s[6:7]
	s_cbranch_vccnz .LBB103_28
; %bb.5:
	s_lshl_b32 s5, s2, 5
	s_lshl_b32 s20, s3, 5
	v_cmp_eq_f32_e64 s[2:3], s10, 0
	v_cmp_eq_f32_e64 s[6:7], s11, 0
	s_and_b64 s[2:3], s[2:3], s[6:7]
	s_cmp_lt_i32 s9, 1
	s_cselect_b64 s[6:7], -1, 0
	s_or_b64 s[2:3], s[2:3], s[6:7]
	v_and_b32_e32 v13, 0x3ff, v0
	v_bfe_u32 v15, v0, 10, 10
	s_mov_b32 s21, 0
	v_mov_b32_e32 v24, 0
	s_and_b64 vcc, exec, s[2:3]
	v_mov_b32_e32 v26, 0
	v_mov_b32_e32 v20, 0
	;; [unrolled: 1-line block ×7, first 2 shown]
	s_cbranch_vccnz .LBB103_12
; %bb.6:
	v_lshl_add_u32 v1, v15, 4, v13
	v_and_b32_e32 v3, 31, v1
	v_lshrrev_b32_e32 v19, 5, v1
	v_lshrrev_b32_e32 v2, 3, v1
	v_or_b32_e32 v1, s5, v3
	v_and_b32_e32 v17, 7, v13
	s_load_dwordx4 s[12:15], s[0:1], 0x20
	s_load_dword s6, s[0:1], 0x30
	s_load_dwordx2 s[22:23], s[0:1], 0x10
	s_load_dword s26, s[0:1], 0x18
	s_load_dwordx2 s[24:25], s[0:1], 0x38
	v_cmp_gt_i32_e32 vcc, s8, v1
	v_lshlrev_b32_e32 v1, 3, v3
	v_lshl_or_b32 v21, v19, 8, v1
	v_lshlrev_b32_e32 v1, 3, v17
	v_add_u32_e32 v0, s20, v2
	v_lshl_or_b32 v1, v2, 6, v1
	v_mov_b32_e32 v2, 0x800
	v_lshl_add_u32 v27, v15, 6, v2
	v_add_u32_e32 v2, s5, v3
	s_waitcnt lgkmcnt(0)
	v_mad_i64_i32 v[2:3], s[26:27], s26, v2, 0
	s_mul_i32 s13, s13, s4
	s_mul_hi_u32 s26, s12, s4
	s_add_i32 s13, s26, s13
	s_mul_i32 s12, s12, s4
	s_lshl_b64 s[12:13], s[12:13], 3
	v_lshl_add_u64 v[2:3], v[2:3], 3, s[12:13]
	v_lshlrev_b32_e32 v4, 3, v19
	v_mov_b32_e32 v5, 0
	v_lshl_add_u64 v[2:3], v[2:3], 0, v[4:5]
	v_lshl_add_u64 v[8:9], s[22:23], 0, v[2:3]
	s_mul_i32 s12, s25, s4
	s_mul_hi_u32 s13, s24, s4
	v_mad_i64_i32 v[2:3], s[22:23], s6, v17, 0
	s_add_i32 s13, s13, s12
	s_mul_i32 s12, s24, s4
	v_lshlrev_b64 v[2:3], 3, v[2:3]
	v_add_u32_e32 v23, 0x800, v1
	v_ashrrev_i32_e32 v1, 31, v0
	v_lshl_add_u64 v[2:3], s[12:13], 3, v[2:3]
	s_ashr_i32 s7, s6, 31
	v_cmp_gt_i32_e64 s[2:3], s8, v0
	v_lshl_add_u64 v[0:1], v[0:1], 3, v[2:3]
	v_lshlrev_b32_e32 v25, 3, v13
	v_lshl_add_u64 v[10:11], s[14:15], 0, v[0:1]
	s_lshl_b64 s[12:13], s[6:7], 6
	v_mov_b32_e32 v14, v5
	v_mov_b32_e32 v12, v5
	;; [unrolled: 1-line block ×8, first 2 shown]
	s_branch .LBB103_8
.LBB103_7:                              ;   in Loop: Header=BB103_8 Depth=1
	s_or_b64 exec, exec, s[6:7]
	s_waitcnt vmcnt(0)
	ds_write_b64 v23, v[0:1]
	s_waitcnt lgkmcnt(0)
	s_barrier
	ds_read2_b64 v[28:31], v25 offset1:16
	ds_read_b128 v[32:35], v27
	ds_read_b128 v[36:39], v27 offset:16
	ds_read_b128 v[4:7], v27 offset:32
	;; [unrolled: 1-line block ×3, first 2 shown]
	ds_read2_b64 v[48:51], v25 offset0:32 offset1:48
	s_waitcnt lgkmcnt(4)
	v_mul_f32_e32 v40, v33, v29
	v_fma_f32 v40, v32, v28, -v40
	v_mul_f32_e32 v41, v32, v29
	v_fmac_f32_e32 v41, v33, v28
	v_add_f32_e32 v24, v24, v40
	v_mul_f32_e32 v40, v33, v31
	v_add_f32_e32 v26, v26, v41
	v_fma_f32 v44, v32, v30, -v40
	ds_read_b128 v[40:43], v27 offset:1024
	v_mul_f32_e32 v32, v32, v31
	v_fmac_f32_e32 v32, v33, v30
	v_add_f32_e32 v20, v20, v44
	v_add_f32_e32 v22, v22, v32
	ds_read_b128 v[44:47], v27 offset:1040
	s_waitcnt lgkmcnt(1)
	v_mul_f32_e32 v32, v41, v29
	v_mul_f32_e32 v29, v40, v29
	v_fma_f32 v32, v40, v28, -v32
	v_fmac_f32_e32 v29, v41, v28
	v_mul_f32_e32 v28, v41, v31
	v_add_f32_e32 v18, v18, v29
	v_fma_f32 v28, v40, v30, -v28
	v_mul_f32_e32 v29, v40, v31
	v_fmac_f32_e32 v29, v41, v30
	v_add_f32_e32 v12, v12, v28
	v_mul_f32_e32 v28, v35, v49
	v_add_f32_e32 v14, v14, v29
	v_fma_f32 v28, v34, v48, -v28
	v_mul_f32_e32 v29, v34, v49
	v_fmac_f32_e32 v29, v35, v48
	v_add_f32_e32 v24, v24, v28
	;; [unrolled: 6-line block ×3, first 2 shown]
	v_mul_f32_e32 v28, v43, v49
	v_add_f32_e32 v16, v16, v32
	v_add_f32_e32 v22, v22, v29
	v_fma_f32 v28, v42, v48, -v28
	v_mul_f32_e32 v29, v42, v49
	v_fmac_f32_e32 v29, v43, v48
	v_add_f32_e32 v16, v16, v28
	v_mul_f32_e32 v28, v43, v51
	v_add_f32_e32 v18, v18, v29
	v_fma_f32 v32, v42, v50, -v28
	ds_read2_b64 v[28:31], v25 offset0:64 offset1:80
	v_mul_f32_e32 v33, v42, v51
	v_add_f32_e32 v12, v12, v32
	v_fmac_f32_e32 v33, v43, v50
	v_add_f32_e32 v14, v14, v33
	s_waitcnt lgkmcnt(0)
	v_mul_f32_e32 v32, v37, v29
	v_fma_f32 v32, v36, v28, -v32
	v_mul_f32_e32 v33, v36, v29
	v_add_f32_e32 v24, v24, v32
	v_mul_f32_e32 v32, v37, v31
	v_fmac_f32_e32 v33, v37, v28
	v_fma_f32 v32, v36, v30, -v32
	v_add_f32_e32 v26, v26, v33
	v_mul_f32_e32 v33, v36, v31
	v_add_f32_e32 v20, v20, v32
	v_mul_f32_e32 v32, v45, v29
	v_fmac_f32_e32 v33, v37, v30
	v_fma_f32 v32, v44, v28, -v32
	v_add_f32_e32 v22, v22, v33
	v_add_f32_e32 v16, v16, v32
	ds_read2_b64 v[32:35], v25 offset0:96 offset1:112
	v_mul_f32_e32 v29, v44, v29
	v_fmac_f32_e32 v29, v45, v28
	v_mul_f32_e32 v28, v45, v31
	v_add_f32_e32 v18, v18, v29
	v_fma_f32 v28, v44, v30, -v28
	v_mul_f32_e32 v29, v44, v31
	v_fmac_f32_e32 v29, v45, v30
	v_add_f32_e32 v12, v12, v28
	s_waitcnt lgkmcnt(0)
	v_mul_f32_e32 v28, v39, v33
	v_add_f32_e32 v14, v14, v29
	v_fma_f32 v28, v38, v32, -v28
	v_mul_f32_e32 v29, v38, v33
	v_fmac_f32_e32 v29, v39, v32
	v_add_f32_e32 v24, v24, v28
	v_mul_f32_e32 v28, v39, v35
	v_add_f32_e32 v26, v26, v29
	v_fma_f32 v28, v38, v34, -v28
	v_mul_f32_e32 v29, v38, v35
	v_fmac_f32_e32 v29, v39, v34
	v_add_f32_e32 v20, v20, v28
	;; [unrolled: 6-line block ×3, first 2 shown]
	v_mul_f32_e32 v28, v47, v35
	v_add_f32_e32 v18, v18, v29
	v_fma_f32 v32, v46, v34, -v28
	ds_read2_b64 v[28:31], v25 offset0:128 offset1:144
	v_mul_f32_e32 v33, v46, v35
	v_fmac_f32_e32 v33, v47, v34
	v_add_f32_e32 v12, v12, v32
	v_add_f32_e32 v14, v14, v33
	s_waitcnt lgkmcnt(0)
	v_mul_f32_e32 v32, v5, v29
	v_fma_f32 v32, v4, v28, -v32
	v_mul_f32_e32 v33, v4, v29
	v_fmac_f32_e32 v33, v5, v28
	v_add_f32_e32 v24, v24, v32
	v_mul_f32_e32 v32, v5, v31
	v_add_f32_e32 v26, v26, v33
	v_fma_f32 v36, v4, v30, -v32
	ds_read_b128 v[32:35], v27 offset:1056
	v_mul_f32_e32 v4, v4, v31
	ds_read2_b64 v[40:43], v25 offset0:160 offset1:176
	v_fmac_f32_e32 v4, v5, v30
	v_add_f32_e32 v5, v20, v36
	ds_read_b128 v[36:39], v27 offset:1072
	s_waitcnt lgkmcnt(2)
	v_mul_f32_e32 v20, v33, v29
	v_fma_f32 v20, v32, v28, -v20
	v_add_f32_e32 v16, v16, v20
	v_mul_f32_e32 v20, v33, v31
	v_add_f32_e32 v4, v22, v4
	v_mul_f32_e32 v22, v32, v29
	v_fma_f32 v20, v32, v30, -v20
	v_fmac_f32_e32 v22, v33, v28
	v_add_f32_e32 v12, v12, v20
	s_waitcnt lgkmcnt(1)
	v_mul_f32_e32 v20, v7, v41
	v_add_f32_e32 v18, v18, v22
	v_mul_f32_e32 v22, v32, v31
	v_fma_f32 v20, v6, v40, -v20
	v_fmac_f32_e32 v22, v33, v30
	v_add_f32_e32 v20, v24, v20
	v_mul_f32_e32 v24, v7, v43
	v_add_f32_e32 v14, v14, v22
	v_mul_f32_e32 v22, v6, v41
	v_fma_f32 v24, v6, v42, -v24
	v_mul_f32_e32 v6, v6, v43
	v_fmac_f32_e32 v22, v7, v40
	v_fmac_f32_e32 v6, v7, v42
	v_add_f32_e32 v22, v26, v22
	v_add_f32_e32 v26, v4, v6
	v_mul_f32_e32 v4, v35, v41
	v_add_f32_e32 v24, v5, v24
	v_fma_f32 v4, v34, v40, -v4
	v_mul_f32_e32 v5, v34, v41
	v_fmac_f32_e32 v5, v35, v40
	v_add_f32_e32 v16, v16, v4
	v_mul_f32_e32 v4, v35, v43
	v_add_f32_e32 v18, v18, v5
	v_fma_f32 v28, v34, v42, -v4
	ds_read2_b64 v[4:7], v25 offset0:192 offset1:208
	v_mul_f32_e32 v29, v34, v43
	v_add_f32_e32 v12, v12, v28
	v_fmac_f32_e32 v29, v35, v42
	v_add_f32_e32 v14, v14, v29
	s_waitcnt lgkmcnt(0)
	v_mul_f32_e32 v28, v1, v5
	v_fma_f32 v28, v0, v4, -v28
	v_mul_f32_e32 v29, v0, v5
	v_add_f32_e32 v20, v20, v28
	v_mul_f32_e32 v28, v1, v7
	v_fmac_f32_e32 v29, v1, v4
	v_fma_f32 v28, v0, v6, -v28
	v_mul_f32_e32 v0, v0, v7
	v_add_f32_e32 v22, v22, v29
	v_fmac_f32_e32 v0, v1, v6
	v_add_f32_e32 v1, v24, v28
	ds_read2_b64 v[28:31], v25 offset0:224 offset1:240
	v_mul_f32_e32 v24, v37, v5
	v_fma_f32 v24, v36, v4, -v24
	v_mul_f32_e32 v5, v36, v5
	v_fmac_f32_e32 v5, v37, v4
	v_add_f32_e32 v4, v16, v24
	v_mul_f32_e32 v16, v37, v7
	v_fma_f32 v16, v36, v6, -v16
	v_mul_f32_e32 v7, v36, v7
	v_fmac_f32_e32 v7, v37, v6
	v_add_f32_e32 v6, v12, v16
	s_waitcnt lgkmcnt(0)
	v_mul_f32_e32 v12, v3, v29
	v_fma_f32 v12, v2, v28, -v12
	v_add_f32_e32 v24, v20, v12
	v_mul_f32_e32 v12, v3, v31
	v_add_f32_e32 v7, v14, v7
	v_mul_f32_e32 v14, v2, v29
	v_fma_f32 v12, v2, v30, -v12
	v_mul_f32_e32 v2, v2, v31
	v_add_f32_e32 v0, v26, v0
	v_fmac_f32_e32 v14, v3, v28
	v_fmac_f32_e32 v2, v3, v30
	v_add_f32_e32 v26, v22, v14
	v_add_f32_e32 v20, v1, v12
	;; [unrolled: 1-line block ×3, first 2 shown]
	v_mul_f32_e32 v0, v39, v29
	v_mul_f32_e32 v1, v38, v29
	v_add_f32_e32 v5, v18, v5
	v_fma_f32 v0, v38, v28, -v0
	v_fmac_f32_e32 v1, v39, v28
	v_add_f32_e32 v16, v4, v0
	v_add_f32_e32 v18, v5, v1
	v_mul_f32_e32 v0, v39, v31
	v_mul_f32_e32 v1, v38, v31
	v_fma_f32 v0, v38, v30, -v0
	v_fmac_f32_e32 v1, v39, v30
	s_add_i32 s21, s21, 8
	v_add_f32_e32 v12, v6, v0
	v_add_f32_e32 v14, v7, v1
	v_lshl_add_u64 v[8:9], v[8:9], 0, 64
	s_cmp_lt_i32 s21, s9
	v_lshl_add_u64 v[10:11], v[10:11], 0, s[12:13]
	s_barrier
	s_cbranch_scc0 .LBB103_12
.LBB103_8:                              ; =>This Inner Loop Header: Depth=1
	v_add_u32_e32 v0, s21, v19
	v_cmp_gt_i32_e64 s[6:7], s9, v0
	s_and_b64 s[14:15], vcc, s[6:7]
	v_mov_b32_e32 v0, 0
	v_mov_b32_e32 v1, 0
	s_and_saveexec_b64 s[6:7], s[14:15]
	s_cbranch_execz .LBB103_10
; %bb.9:                                ;   in Loop: Header=BB103_8 Depth=1
	global_load_dwordx2 v[0:1], v[8:9], off
.LBB103_10:                             ;   in Loop: Header=BB103_8 Depth=1
	s_or_b64 exec, exec, s[6:7]
	s_waitcnt vmcnt(0)
	ds_write_b64 v21, v[0:1]
	v_add_u32_e32 v0, s21, v17
	v_cmp_gt_i32_e64 s[6:7], s9, v0
	s_and_b64 s[14:15], s[6:7], s[2:3]
	v_mov_b32_e32 v0, 0
	v_mov_b32_e32 v1, 0
	s_and_saveexec_b64 s[6:7], s[14:15]
	s_cbranch_execz .LBB103_7
; %bb.11:                               ;   in Loop: Header=BB103_8 Depth=1
	global_load_dwordx2 v[0:1], v[10:11], off
	s_branch .LBB103_7
.LBB103_12:
	s_load_dwordx2 s[2:3], s[0:1], 0x58
	s_load_dwordx2 s[6:7], s[0:1], 0x48
	s_load_dword s12, s[0:1], 0x50
	v_add_u32_e32 v0, s5, v13
	v_add_u32_e32 v10, s20, v15
	s_waitcnt lgkmcnt(0)
	s_mul_i32 s1, s3, s4
	s_mul_hi_u32 s3, s2, s4
	s_mul_i32 s0, s2, s4
	s_add_i32 s1, s3, s1
	s_lshl_b64 s[0:1], s[0:1], 3
	s_add_u32 s6, s6, s0
	s_addc_u32 s7, s7, s1
	v_cmp_neq_f32_e64 s[0:1], s16, 0
	s_xor_b64 s[4:5], s[18:19], -1
	v_mad_i64_i32 v[2:3], s[2:3], v10, s12, 0
	s_or_b64 s[0:1], s[0:1], s[4:5]
	v_lshl_add_u64 v[4:5], v[2:3], 3, s[6:7]
	v_cmp_le_i32_e32 vcc, v10, v0
	v_cmp_gt_i32_e64 s[2:3], s8, v0
	v_cndmask_b32_e64 v2, 0, 1, s[0:1]
	s_and_b64 s[14:15], vcc, s[2:3]
	v_ashrrev_i32_e32 v1, 31, v0
	v_cmp_ne_u32_e64 s[0:1], 1, v2
	s_and_saveexec_b64 s[4:5], s[14:15]
	s_cbranch_execz .LBB103_16
; %bb.13:
	v_pk_mul_f32 v[6:7], v[26:27], s[10:11] op_sel:[0,1] op_sel_hi:[0,0]
	v_pk_fma_f32 v[2:3], v[24:25], s[10:11], v[6:7] op_sel_hi:[0,1,1] neg_lo:[0,0,1] neg_hi:[0,0,1]
	v_pk_fma_f32 v[8:9], v[24:25], s[10:11], v[6:7] op_sel_hi:[0,1,1]
	s_and_b64 vcc, exec, s[0:1]
	v_lshl_add_u64 v[6:7], v[0:1], 3, v[4:5]
	s_cbranch_vccnz .LBB103_15
; %bb.14:
	global_load_dwordx2 v[24:25], v[6:7], off
	s_mov_b32 s14, s17
	v_mov_b32_e32 v3, v9
	s_waitcnt vmcnt(0)
	v_pk_mul_f32 v[8:9], v[24:25], s[14:15] op_sel:[1,0] op_sel_hi:[0,0]
	v_pk_fma_f32 v[26:27], v[24:25], s[16:17], v[8:9] neg_lo:[0,0,1] neg_hi:[0,0,1]
	v_pk_fma_f32 v[8:9], v[24:25], s[16:17], v[8:9] op_sel_hi:[1,0,1]
	s_nop 0
	v_mov_b32_e32 v27, v9
	v_pk_add_f32 v[2:3], v[2:3], v[26:27]
	s_nop 0
	v_mov_b32_e32 v9, v3
.LBB103_15:
	v_mov_b32_e32 v3, v9
	global_store_dwordx2 v[6:7], v[2:3], off
.LBB103_16:
	s_or_b64 exec, exec, s[4:5]
	v_add_u32_e32 v2, 16, v0
	v_cmp_le_i32_e32 vcc, v10, v2
	v_cmp_gt_i32_e64 s[4:5], s8, v2
	s_and_b64 s[14:15], vcc, s[4:5]
	v_ashrrev_i32_e32 v3, 31, v2
	s_and_saveexec_b64 s[8:9], s[14:15]
	s_cbranch_execz .LBB103_20
; %bb.17:
	v_pk_mul_f32 v[8:9], v[22:23], s[10:11] op_sel:[0,1] op_sel_hi:[0,0]
	v_pk_fma_f32 v[6:7], v[20:21], s[10:11], v[8:9] op_sel_hi:[0,1,1] neg_lo:[0,0,1] neg_hi:[0,0,1]
	v_pk_fma_f32 v[8:9], v[20:21], s[10:11], v[8:9] op_sel_hi:[0,1,1]
	s_and_b64 vcc, exec, s[0:1]
	v_lshl_add_u64 v[4:5], v[2:3], 3, v[4:5]
	s_cbranch_vccnz .LBB103_19
; %bb.18:
	global_load_dwordx2 v[20:21], v[4:5], off
	s_mov_b32 s14, s17
	v_mov_b32_e32 v7, v9
	s_waitcnt vmcnt(0)
	v_pk_mul_f32 v[8:9], v[20:21], s[14:15] op_sel:[1,0] op_sel_hi:[0,0]
	v_pk_fma_f32 v[22:23], v[20:21], s[16:17], v[8:9] neg_lo:[0,0,1] neg_hi:[0,0,1]
	v_pk_fma_f32 v[8:9], v[20:21], s[16:17], v[8:9] op_sel_hi:[1,0,1]
	s_nop 0
	v_mov_b32_e32 v23, v9
	v_pk_add_f32 v[6:7], v[6:7], v[22:23]
	s_nop 0
	v_mov_b32_e32 v9, v7
.LBB103_19:
	v_mov_b32_e32 v7, v9
	global_store_dwordx2 v[4:5], v[6:7], off
.LBB103_20:
	s_or_b64 exec, exec, s[8:9]
	v_add_u32_e32 v10, 16, v10
	v_mad_i64_i32 v[4:5], s[8:9], v10, s12, 0
	v_cmp_le_i32_e32 vcc, v10, v0
	v_lshl_add_u64 v[4:5], v[4:5], 3, s[6:7]
	s_and_b64 s[6:7], vcc, s[2:3]
	s_and_saveexec_b64 s[2:3], s[6:7]
	s_cbranch_execz .LBB103_24
; %bb.21:
	v_pk_mul_f32 v[8:9], v[18:19], s[10:11] op_sel:[0,1] op_sel_hi:[0,0]
	v_pk_fma_f32 v[6:7], v[16:17], s[10:11], v[8:9] op_sel_hi:[0,1,1] neg_lo:[0,0,1] neg_hi:[0,0,1]
	v_pk_fma_f32 v[8:9], v[16:17], s[10:11], v[8:9] op_sel_hi:[0,1,1]
	s_and_b64 vcc, exec, s[0:1]
	v_lshl_add_u64 v[0:1], v[0:1], 3, v[4:5]
	s_cbranch_vccnz .LBB103_23
; %bb.22:
	global_load_dwordx2 v[16:17], v[0:1], off
	s_mov_b32 s6, s17
	v_mov_b32_e32 v7, v9
	s_waitcnt vmcnt(0)
	v_pk_mul_f32 v[8:9], v[16:17], s[6:7] op_sel:[1,0] op_sel_hi:[0,0]
	v_pk_fma_f32 v[18:19], v[16:17], s[16:17], v[8:9] neg_lo:[0,0,1] neg_hi:[0,0,1]
	v_pk_fma_f32 v[8:9], v[16:17], s[16:17], v[8:9] op_sel_hi:[1,0,1]
	s_nop 0
	v_mov_b32_e32 v19, v9
	v_pk_add_f32 v[6:7], v[6:7], v[18:19]
	s_nop 0
	v_mov_b32_e32 v9, v7
.LBB103_23:
	v_mov_b32_e32 v7, v9
	global_store_dwordx2 v[0:1], v[6:7], off
.LBB103_24:
	s_or_b64 exec, exec, s[2:3]
	v_cmp_le_i32_e32 vcc, v10, v2
	s_and_b64 s[2:3], vcc, s[4:5]
	s_and_saveexec_b64 s[4:5], s[2:3]
	s_cbranch_execz .LBB103_28
; %bb.25:
	v_pk_mul_f32 v[6:7], v[14:15], s[10:11] op_sel:[0,1] op_sel_hi:[0,0]
	v_pk_fma_f32 v[0:1], v[12:13], s[10:11], v[6:7] op_sel_hi:[0,1,1] neg_lo:[0,0,1] neg_hi:[0,0,1]
	v_pk_fma_f32 v[6:7], v[12:13], s[10:11], v[6:7] op_sel_hi:[0,1,1]
	s_and_b64 vcc, exec, s[0:1]
	v_lshl_add_u64 v[2:3], v[2:3], 3, v[4:5]
	s_cbranch_vccnz .LBB103_27
; %bb.26:
	global_load_dwordx2 v[4:5], v[2:3], off
	s_mov_b32 s0, s17
	v_mov_b32_e32 v1, v7
	s_waitcnt vmcnt(0)
	v_pk_mul_f32 v[6:7], v[4:5], s[0:1] op_sel:[1,0] op_sel_hi:[0,0]
	v_pk_fma_f32 v[8:9], v[4:5], s[16:17], v[6:7] neg_lo:[0,0,1] neg_hi:[0,0,1]
	v_pk_fma_f32 v[4:5], v[4:5], s[16:17], v[6:7] op_sel_hi:[1,0,1]
	s_nop 0
	v_mov_b32_e32 v9, v5
	v_pk_add_f32 v[0:1], v[0:1], v[8:9]
	s_nop 0
	v_mov_b32_e32 v7, v1
.LBB103_27:
	v_mov_b32_e32 v1, v7
	global_store_dwordx2 v[2:3], v[0:1], off
.LBB103_28:
	s_endpgm
	.section	.rodata,"a",@progbits
	.p2align	6, 0x0
	.amdhsa_kernel _ZL29rocblas_internal_gemmt_kernelIiLi16ELi32ELi8ELc84ELc84ELc76ELb0ELb0E19rocblas_complex_numIfES1_PKS1_PS1_EviT_T9_T10_S5_lS7_S5_lS6_T11_S5_li
		.amdhsa_group_segment_fixed_size 4096
		.amdhsa_private_segment_fixed_size 0
		.amdhsa_kernarg_size 100
		.amdhsa_user_sgpr_count 2
		.amdhsa_user_sgpr_dispatch_ptr 0
		.amdhsa_user_sgpr_queue_ptr 0
		.amdhsa_user_sgpr_kernarg_segment_ptr 1
		.amdhsa_user_sgpr_dispatch_id 0
		.amdhsa_user_sgpr_kernarg_preload_length 0
		.amdhsa_user_sgpr_kernarg_preload_offset 0
		.amdhsa_user_sgpr_private_segment_size 0
		.amdhsa_uses_dynamic_stack 0
		.amdhsa_enable_private_segment 0
		.amdhsa_system_sgpr_workgroup_id_x 1
		.amdhsa_system_sgpr_workgroup_id_y 1
		.amdhsa_system_sgpr_workgroup_id_z 1
		.amdhsa_system_sgpr_workgroup_info 0
		.amdhsa_system_vgpr_workitem_id 1
		.amdhsa_next_free_vgpr 52
		.amdhsa_next_free_sgpr 28
		.amdhsa_accum_offset 52
		.amdhsa_reserve_vcc 1
		.amdhsa_float_round_mode_32 0
		.amdhsa_float_round_mode_16_64 0
		.amdhsa_float_denorm_mode_32 3
		.amdhsa_float_denorm_mode_16_64 3
		.amdhsa_dx10_clamp 1
		.amdhsa_ieee_mode 1
		.amdhsa_fp16_overflow 0
		.amdhsa_tg_split 0
		.amdhsa_exception_fp_ieee_invalid_op 0
		.amdhsa_exception_fp_denorm_src 0
		.amdhsa_exception_fp_ieee_div_zero 0
		.amdhsa_exception_fp_ieee_overflow 0
		.amdhsa_exception_fp_ieee_underflow 0
		.amdhsa_exception_fp_ieee_inexact 0
		.amdhsa_exception_int_div_zero 0
	.end_amdhsa_kernel
	.section	.text._ZL29rocblas_internal_gemmt_kernelIiLi16ELi32ELi8ELc84ELc84ELc76ELb0ELb0E19rocblas_complex_numIfES1_PKS1_PS1_EviT_T9_T10_S5_lS7_S5_lS6_T11_S5_li,"axG",@progbits,_ZL29rocblas_internal_gemmt_kernelIiLi16ELi32ELi8ELc84ELc84ELc76ELb0ELb0E19rocblas_complex_numIfES1_PKS1_PS1_EviT_T9_T10_S5_lS7_S5_lS6_T11_S5_li,comdat
.Lfunc_end103:
	.size	_ZL29rocblas_internal_gemmt_kernelIiLi16ELi32ELi8ELc84ELc84ELc76ELb0ELb0E19rocblas_complex_numIfES1_PKS1_PS1_EviT_T9_T10_S5_lS7_S5_lS6_T11_S5_li, .Lfunc_end103-_ZL29rocblas_internal_gemmt_kernelIiLi16ELi32ELi8ELc84ELc84ELc76ELb0ELb0E19rocblas_complex_numIfES1_PKS1_PS1_EviT_T9_T10_S5_lS7_S5_lS6_T11_S5_li
                                        ; -- End function
	.set _ZL29rocblas_internal_gemmt_kernelIiLi16ELi32ELi8ELc84ELc84ELc76ELb0ELb0E19rocblas_complex_numIfES1_PKS1_PS1_EviT_T9_T10_S5_lS7_S5_lS6_T11_S5_li.num_vgpr, 52
	.set _ZL29rocblas_internal_gemmt_kernelIiLi16ELi32ELi8ELc84ELc84ELc76ELb0ELb0E19rocblas_complex_numIfES1_PKS1_PS1_EviT_T9_T10_S5_lS7_S5_lS6_T11_S5_li.num_agpr, 0
	.set _ZL29rocblas_internal_gemmt_kernelIiLi16ELi32ELi8ELc84ELc84ELc76ELb0ELb0E19rocblas_complex_numIfES1_PKS1_PS1_EviT_T9_T10_S5_lS7_S5_lS6_T11_S5_li.numbered_sgpr, 28
	.set _ZL29rocblas_internal_gemmt_kernelIiLi16ELi32ELi8ELc84ELc84ELc76ELb0ELb0E19rocblas_complex_numIfES1_PKS1_PS1_EviT_T9_T10_S5_lS7_S5_lS6_T11_S5_li.num_named_barrier, 0
	.set _ZL29rocblas_internal_gemmt_kernelIiLi16ELi32ELi8ELc84ELc84ELc76ELb0ELb0E19rocblas_complex_numIfES1_PKS1_PS1_EviT_T9_T10_S5_lS7_S5_lS6_T11_S5_li.private_seg_size, 0
	.set _ZL29rocblas_internal_gemmt_kernelIiLi16ELi32ELi8ELc84ELc84ELc76ELb0ELb0E19rocblas_complex_numIfES1_PKS1_PS1_EviT_T9_T10_S5_lS7_S5_lS6_T11_S5_li.uses_vcc, 1
	.set _ZL29rocblas_internal_gemmt_kernelIiLi16ELi32ELi8ELc84ELc84ELc76ELb0ELb0E19rocblas_complex_numIfES1_PKS1_PS1_EviT_T9_T10_S5_lS7_S5_lS6_T11_S5_li.uses_flat_scratch, 0
	.set _ZL29rocblas_internal_gemmt_kernelIiLi16ELi32ELi8ELc84ELc84ELc76ELb0ELb0E19rocblas_complex_numIfES1_PKS1_PS1_EviT_T9_T10_S5_lS7_S5_lS6_T11_S5_li.has_dyn_sized_stack, 0
	.set _ZL29rocblas_internal_gemmt_kernelIiLi16ELi32ELi8ELc84ELc84ELc76ELb0ELb0E19rocblas_complex_numIfES1_PKS1_PS1_EviT_T9_T10_S5_lS7_S5_lS6_T11_S5_li.has_recursion, 0
	.set _ZL29rocblas_internal_gemmt_kernelIiLi16ELi32ELi8ELc84ELc84ELc76ELb0ELb0E19rocblas_complex_numIfES1_PKS1_PS1_EviT_T9_T10_S5_lS7_S5_lS6_T11_S5_li.has_indirect_call, 0
	.section	.AMDGPU.csdata,"",@progbits
; Kernel info:
; codeLenInByte = 2456
; TotalNumSgprs: 34
; NumVgprs: 52
; NumAgprs: 0
; TotalNumVgprs: 52
; ScratchSize: 0
; MemoryBound: 0
; FloatMode: 240
; IeeeMode: 1
; LDSByteSize: 4096 bytes/workgroup (compile time only)
; SGPRBlocks: 4
; VGPRBlocks: 6
; NumSGPRsForWavesPerEU: 34
; NumVGPRsForWavesPerEU: 52
; AccumOffset: 52
; Occupancy: 8
; WaveLimiterHint : 0
; COMPUTE_PGM_RSRC2:SCRATCH_EN: 0
; COMPUTE_PGM_RSRC2:USER_SGPR: 2
; COMPUTE_PGM_RSRC2:TRAP_HANDLER: 0
; COMPUTE_PGM_RSRC2:TGID_X_EN: 1
; COMPUTE_PGM_RSRC2:TGID_Y_EN: 1
; COMPUTE_PGM_RSRC2:TGID_Z_EN: 1
; COMPUTE_PGM_RSRC2:TIDIG_COMP_CNT: 1
; COMPUTE_PGM_RSRC3_GFX90A:ACCUM_OFFSET: 12
; COMPUTE_PGM_RSRC3_GFX90A:TG_SPLIT: 0
	.section	.text._ZL29rocblas_internal_gemmt_kernelIiLi16ELi32ELi8ELc84ELc67ELc76ELb0ELb1E19rocblas_complex_numIfES1_PKS1_PS1_EviT_T9_T10_S5_lS7_S5_lS6_T11_S5_li,"axG",@progbits,_ZL29rocblas_internal_gemmt_kernelIiLi16ELi32ELi8ELc84ELc67ELc76ELb0ELb1E19rocblas_complex_numIfES1_PKS1_PS1_EviT_T9_T10_S5_lS7_S5_lS6_T11_S5_li,comdat
	.globl	_ZL29rocblas_internal_gemmt_kernelIiLi16ELi32ELi8ELc84ELc67ELc76ELb0ELb1E19rocblas_complex_numIfES1_PKS1_PS1_EviT_T9_T10_S5_lS7_S5_lS6_T11_S5_li ; -- Begin function _ZL29rocblas_internal_gemmt_kernelIiLi16ELi32ELi8ELc84ELc67ELc76ELb0ELb1E19rocblas_complex_numIfES1_PKS1_PS1_EviT_T9_T10_S5_lS7_S5_lS6_T11_S5_li
	.p2align	8
	.type	_ZL29rocblas_internal_gemmt_kernelIiLi16ELi32ELi8ELc84ELc67ELc76ELb0ELb1E19rocblas_complex_numIfES1_PKS1_PS1_EviT_T9_T10_S5_lS7_S5_lS6_T11_S5_li,@function
_ZL29rocblas_internal_gemmt_kernelIiLi16ELi32ELi8ELc84ELc67ELc76ELb0ELb1E19rocblas_complex_numIfES1_PKS1_PS1_EviT_T9_T10_S5_lS7_S5_lS6_T11_S5_li: ; @_ZL29rocblas_internal_gemmt_kernelIiLi16ELi32ELi8ELc84ELc67ELc76ELb0ELb1E19rocblas_complex_numIfES1_PKS1_PS1_EviT_T9_T10_S5_lS7_S5_lS6_T11_S5_li
; %bb.0:
	s_load_dwordx2 s[6:7], s[0:1], 0x40
	s_load_dwordx4 s[8:11], s[0:1], 0x0
	s_waitcnt lgkmcnt(0)
	s_and_b32 s5, s7, 0x7fffffff
	s_cmp_eq_u32 s5, 0
	v_cmp_eq_f32_e64 s[12:13], s6, 1.0
	s_cselect_b64 s[16:17], -1, 0
	s_and_b64 s[12:13], s[12:13], s[16:17]
	s_and_b64 vcc, exec, s[12:13]
	s_cbranch_vccnz .LBB104_2
; %bb.1:
	s_mov_b64 s[12:13], -1
	s_cbranch_execz .LBB104_3
	s_branch .LBB104_4
.LBB104_2:
	s_mov_b64 s[12:13], 0
.LBB104_3:
	s_cmp_lg_u32 s9, 0
	v_cmp_neq_f32_e64 s[14:15], s10, 0
	v_cmp_neq_f32_e64 s[18:19], s11, 0
	s_cselect_b64 s[12:13], -1, 0
	s_or_b64 s[14:15], s[14:15], s[18:19]
	s_and_b64 s[12:13], s[12:13], s[14:15]
.LBB104_4:
	s_andn2_b64 vcc, exec, s[12:13]
	s_cbranch_vccnz .LBB104_30
; %bb.5:
	s_lshl_b32 s5, s2, 5
	s_lshl_b32 s18, s3, 5
	v_cmp_eq_f32_e64 s[2:3], s10, 0
	v_cmp_eq_f32_e64 s[12:13], s11, 0
	s_and_b64 s[2:3], s[2:3], s[12:13]
	s_cmp_lt_i32 s9, 1
	s_cselect_b64 s[12:13], -1, 0
	s_or_b64 s[2:3], s[2:3], s[12:13]
	v_and_b32_e32 v15, 0x3ff, v0
	v_bfe_u32 v17, v0, 10, 10
	s_mov_b32 s19, 0
	v_mov_b32_e32 v24, 0
	s_and_b64 vcc, exec, s[2:3]
	v_mov_b32_e32 v26, 0
	v_mov_b32_e32 v20, 0
	;; [unrolled: 1-line block ×7, first 2 shown]
	s_cbranch_vccnz .LBB104_14
; %bb.6:
	v_lshl_add_u32 v1, v17, 4, v15
	v_and_b32_e32 v3, 31, v1
	v_lshrrev_b32_e32 v21, 5, v1
	v_lshrrev_b32_e32 v2, 3, v1
	v_or_b32_e32 v1, s5, v3
	v_and_b32_e32 v19, 7, v15
	s_load_dwordx4 s[12:15], s[0:1], 0x20
	s_load_dword s20, s[0:1], 0x30
	s_load_dwordx2 s[22:23], s[0:1], 0x10
	s_load_dword s26, s[0:1], 0x18
	s_load_dwordx2 s[24:25], s[0:1], 0x38
	v_cmp_gt_i32_e32 vcc, s8, v1
	v_lshlrev_b32_e32 v1, 3, v3
	v_lshl_or_b32 v23, v21, 8, v1
	v_lshlrev_b32_e32 v1, 3, v19
	v_add_u32_e32 v0, s18, v2
	v_lshl_or_b32 v1, v2, 6, v1
	v_mov_b32_e32 v2, 0x800
	v_lshl_add_u32 v28, v17, 6, v2
	v_add_u32_e32 v2, s5, v3
	s_waitcnt lgkmcnt(0)
	v_mad_i64_i32 v[2:3], s[26:27], s26, v2, 0
	s_mul_i32 s13, s13, s4
	s_mul_hi_u32 s26, s12, s4
	s_add_i32 s13, s26, s13
	s_mul_i32 s12, s12, s4
	s_lshl_b64 s[12:13], s[12:13], 3
	v_lshl_add_u64 v[2:3], v[2:3], 3, s[12:13]
	v_lshlrev_b32_e32 v8, 3, v21
	v_mov_b32_e32 v9, 0
	v_lshl_add_u64 v[2:3], v[2:3], 0, v[8:9]
	v_lshl_add_u64 v[10:11], s[22:23], 0, v[2:3]
	s_mul_i32 s12, s25, s4
	s_mul_hi_u32 s13, s24, s4
	v_mad_i64_i32 v[2:3], s[22:23], s20, v19, 0
	s_add_i32 s13, s13, s12
	s_mul_i32 s12, s24, s4
	v_lshlrev_b64 v[2:3], 3, v[2:3]
	v_add_u32_e32 v25, 0x800, v1
	v_ashrrev_i32_e32 v1, 31, v0
	v_lshl_add_u64 v[2:3], s[12:13], 3, v[2:3]
	v_cmp_gt_i32_e64 s[2:3], s8, v0
	v_lshl_add_u64 v[0:1], v[0:1], 3, v[2:3]
	s_ashr_i32 s21, s20, 31
	v_lshl_add_u64 v[0:1], s[14:15], 0, v[0:1]
	v_lshlrev_b32_e32 v27, 3, v15
	v_lshl_add_u64 v[12:13], v[0:1], 0, 4
	s_lshl_b64 s[12:13], s[20:21], 6
	s_xor_b64 s[14:15], s[2:3], -1
	v_mov_b32_e32 v14, 0
	v_mov_b32_e32 v8, 0
	;; [unrolled: 1-line block ×8, first 2 shown]
	s_branch .LBB104_8
.LBB104_7:                              ;   in Loop: Header=BB104_8 Depth=1
	s_or_b64 exec, exec, s[2:3]
	ds_write_b32 v25, v0 offset:4
	s_waitcnt lgkmcnt(0)
	s_barrier
	ds_read2_b64 v[30:33], v27 offset1:16
	ds_read_b128 v[34:37], v28
	ds_read_b128 v[38:41], v28 offset:16
	ds_read_b128 v[4:7], v28 offset:32
	ds_read_b128 v[0:3], v28 offset:48
	ds_read2_b64 v[50:53], v27 offset0:32 offset1:48
	s_waitcnt lgkmcnt(4)
	v_mul_f32_e32 v42, v34, v31
	v_fmac_f32_e32 v42, v35, v30
	v_add_f32_e32 v26, v26, v42
	ds_read_b128 v[42:45], v28 offset:1024
	ds_read_b128 v[46:49], v28 offset:1040
	v_mul_f32_e32 v29, v35, v31
	v_fma_f32 v29, v34, v30, -v29
	v_add_f32_e32 v24, v24, v29
	v_mul_f32_e32 v29, v35, v33
	v_fma_f32 v29, v34, v32, -v29
	v_add_f32_e32 v20, v20, v29
	s_waitcnt lgkmcnt(1)
	v_mul_f32_e32 v29, v43, v31
	v_mul_f32_e32 v31, v42, v31
	v_fma_f32 v29, v42, v30, -v29
	v_fmac_f32_e32 v31, v43, v30
	v_mul_f32_e32 v30, v42, v33
	v_fmac_f32_e32 v30, v43, v32
	v_add_f32_e32 v14, v14, v30
	v_mul_f32_e32 v30, v36, v51
	v_mul_f32_e32 v34, v34, v33
	v_fmac_f32_e32 v30, v37, v50
	v_fmac_f32_e32 v34, v35, v32
	v_add_f32_e32 v26, v26, v30
	v_mul_f32_e32 v30, v36, v53
	v_add_f32_e32 v22, v22, v34
	v_add_f32_e32 v16, v16, v29
	v_mul_f32_e32 v29, v43, v33
	v_fmac_f32_e32 v30, v37, v52
	v_fma_f32 v29, v42, v32, -v29
	v_add_f32_e32 v22, v22, v30
	v_mul_f32_e32 v30, v44, v51
	v_add_f32_e32 v18, v18, v31
	v_add_f32_e32 v8, v8, v29
	v_mul_f32_e32 v29, v37, v51
	v_fmac_f32_e32 v30, v45, v50
	v_fma_f32 v29, v36, v50, -v29
	v_add_f32_e32 v18, v18, v30
	ds_read2_b64 v[30:33], v27 offset0:64 offset1:80
	v_add_f32_e32 v24, v24, v29
	v_mul_f32_e32 v29, v37, v53
	v_fma_f32 v29, v36, v52, -v29
	v_add_f32_e32 v20, v20, v29
	v_mul_f32_e32 v29, v45, v51
	v_mul_f32_e32 v34, v44, v53
	v_fma_f32 v29, v44, v50, -v29
	v_fmac_f32_e32 v34, v45, v52
	v_add_f32_e32 v16, v16, v29
	v_mul_f32_e32 v29, v45, v53
	v_add_f32_e32 v14, v14, v34
	s_waitcnt lgkmcnt(0)
	v_mul_f32_e32 v34, v38, v31
	v_fma_f32 v29, v44, v52, -v29
	v_fmac_f32_e32 v34, v39, v30
	v_add_f32_e32 v8, v8, v29
	v_mul_f32_e32 v29, v39, v31
	v_add_f32_e32 v26, v26, v34
	v_mul_f32_e32 v34, v38, v33
	v_fma_f32 v29, v38, v30, -v29
	v_fmac_f32_e32 v34, v39, v32
	v_add_f32_e32 v24, v24, v29
	v_mul_f32_e32 v29, v39, v33
	v_add_f32_e32 v22, v22, v34
	ds_read2_b64 v[34:37], v27 offset0:96 offset1:112
	v_fma_f32 v29, v38, v32, -v29
	v_add_f32_e32 v20, v20, v29
	v_mul_f32_e32 v29, v47, v31
	v_mul_f32_e32 v31, v46, v31
	v_fma_f32 v29, v46, v30, -v29
	v_fmac_f32_e32 v31, v47, v30
	v_mul_f32_e32 v30, v46, v33
	v_fmac_f32_e32 v30, v47, v32
	v_add_f32_e32 v14, v14, v30
	s_waitcnt lgkmcnt(0)
	v_mul_f32_e32 v30, v40, v35
	v_fmac_f32_e32 v30, v41, v34
	v_add_f32_e32 v16, v16, v29
	v_mul_f32_e32 v29, v47, v33
	v_add_f32_e32 v26, v26, v30
	v_mul_f32_e32 v30, v40, v37
	v_fma_f32 v29, v46, v32, -v29
	v_fmac_f32_e32 v30, v41, v36
	v_add_f32_e32 v8, v8, v29
	v_mul_f32_e32 v29, v41, v35
	v_add_f32_e32 v22, v22, v30
	v_mul_f32_e32 v30, v48, v35
	v_add_f32_e32 v18, v18, v31
	v_fma_f32 v29, v40, v34, -v29
	v_fmac_f32_e32 v30, v49, v34
	v_add_f32_e32 v24, v24, v29
	v_mul_f32_e32 v29, v41, v37
	v_add_f32_e32 v18, v18, v30
	ds_read2_b64 v[30:33], v27 offset0:128 offset1:144
	v_fma_f32 v29, v40, v36, -v29
	v_add_f32_e32 v20, v20, v29
	v_mul_f32_e32 v29, v49, v35
	v_fma_f32 v29, v48, v34, -v29
	v_mul_f32_e32 v34, v48, v37
	v_fmac_f32_e32 v34, v49, v36
	v_add_f32_e32 v14, v14, v34
	s_waitcnt lgkmcnt(0)
	v_mul_f32_e32 v34, v4, v31
	v_add_f32_e32 v16, v16, v29
	v_mul_f32_e32 v29, v49, v37
	v_fmac_f32_e32 v34, v5, v30
	v_fma_f32 v29, v48, v36, -v29
	v_add_f32_e32 v26, v26, v34
	ds_read_b128 v[34:37], v28 offset:1056
	ds_read_b128 v[38:41], v28 offset:1072
	v_add_f32_e32 v8, v8, v29
	v_mul_f32_e32 v29, v5, v31
	v_fma_f32 v29, v4, v30, -v29
	v_add_f32_e32 v24, v24, v29
	v_mul_f32_e32 v29, v5, v33
	v_fma_f32 v29, v4, v32, -v29
	v_mul_f32_e32 v4, v4, v33
	ds_read2_b64 v[42:45], v27 offset0:160 offset1:176
	v_fmac_f32_e32 v4, v5, v32
	v_add_f32_e32 v5, v20, v29
	s_waitcnt lgkmcnt(2)
	v_mul_f32_e32 v20, v35, v31
	v_fma_f32 v20, v34, v30, -v20
	v_add_f32_e32 v16, v16, v20
	v_mul_f32_e32 v20, v35, v33
	v_add_f32_e32 v4, v22, v4
	v_mul_f32_e32 v22, v34, v31
	v_fma_f32 v20, v34, v32, -v20
	v_fmac_f32_e32 v22, v35, v30
	v_add_f32_e32 v8, v8, v20
	s_waitcnt lgkmcnt(0)
	v_mul_f32_e32 v20, v7, v43
	v_add_f32_e32 v18, v18, v22
	v_mul_f32_e32 v22, v34, v33
	v_fma_f32 v20, v6, v42, -v20
	v_fmac_f32_e32 v22, v35, v32
	v_add_f32_e32 v20, v24, v20
	v_mul_f32_e32 v24, v7, v45
	v_add_f32_e32 v14, v14, v22
	v_mul_f32_e32 v22, v6, v43
	v_fma_f32 v24, v6, v44, -v24
	v_mul_f32_e32 v6, v6, v45
	v_fmac_f32_e32 v22, v7, v42
	v_fmac_f32_e32 v6, v7, v44
	v_add_f32_e32 v22, v26, v22
	v_add_f32_e32 v26, v4, v6
	v_mul_f32_e32 v4, v37, v43
	v_add_f32_e32 v24, v5, v24
	v_fma_f32 v4, v36, v42, -v4
	v_mul_f32_e32 v5, v36, v43
	v_fmac_f32_e32 v5, v37, v42
	v_add_f32_e32 v16, v16, v4
	v_mul_f32_e32 v4, v37, v45
	v_add_f32_e32 v18, v18, v5
	v_fma_f32 v29, v36, v44, -v4
	ds_read2_b64 v[4:7], v27 offset0:192 offset1:208
	v_mul_f32_e32 v30, v36, v45
	v_fmac_f32_e32 v30, v37, v44
	v_add_f32_e32 v8, v8, v29
	v_add_f32_e32 v14, v14, v30
	s_waitcnt lgkmcnt(0)
	v_mul_f32_e32 v29, v1, v5
	v_fma_f32 v29, v0, v4, -v29
	v_mul_f32_e32 v30, v0, v5
	v_fmac_f32_e32 v30, v1, v4
	v_add_f32_e32 v20, v20, v29
	v_mul_f32_e32 v29, v1, v7
	v_add_f32_e32 v22, v22, v30
	v_fma_f32 v29, v0, v6, -v29
	v_mul_f32_e32 v0, v0, v7
	ds_read2_b64 v[30:33], v27 offset0:224 offset1:240
	v_fmac_f32_e32 v0, v1, v6
	v_add_f32_e32 v1, v24, v29
	v_mul_f32_e32 v24, v39, v5
	v_fma_f32 v24, v38, v4, -v24
	v_mul_f32_e32 v5, v38, v5
	v_fmac_f32_e32 v5, v39, v4
	v_add_f32_e32 v4, v16, v24
	v_mul_f32_e32 v16, v39, v7
	v_fma_f32 v16, v38, v6, -v16
	v_mul_f32_e32 v7, v38, v7
	v_fmac_f32_e32 v7, v39, v6
	v_add_f32_e32 v6, v8, v16
	s_waitcnt lgkmcnt(0)
	v_mul_f32_e32 v8, v3, v31
	v_fma_f32 v8, v2, v30, -v8
	v_add_f32_e32 v24, v20, v8
	v_mul_f32_e32 v8, v3, v33
	v_add_f32_e32 v7, v14, v7
	v_mul_f32_e32 v14, v2, v31
	v_fma_f32 v8, v2, v32, -v8
	v_mul_f32_e32 v2, v2, v33
	v_add_f32_e32 v0, v26, v0
	v_fmac_f32_e32 v14, v3, v30
	v_fmac_f32_e32 v2, v3, v32
	v_add_f32_e32 v26, v22, v14
	v_add_f32_e32 v20, v1, v8
	;; [unrolled: 1-line block ×3, first 2 shown]
	v_mul_f32_e32 v0, v41, v31
	v_mul_f32_e32 v1, v40, v31
	v_add_f32_e32 v5, v18, v5
	v_fma_f32 v0, v40, v30, -v0
	v_fmac_f32_e32 v1, v41, v30
	v_add_f32_e32 v16, v4, v0
	v_add_f32_e32 v18, v5, v1
	v_mul_f32_e32 v0, v41, v33
	v_mul_f32_e32 v1, v40, v33
	v_fma_f32 v0, v40, v32, -v0
	v_fmac_f32_e32 v1, v41, v32
	s_add_i32 s19, s19, 8
	v_add_f32_e32 v8, v6, v0
	v_add_f32_e32 v14, v7, v1
	v_lshl_add_u64 v[10:11], v[10:11], 0, 64
	s_cmp_lt_i32 s19, s9
	v_lshl_add_u64 v[12:13], v[12:13], 0, s[12:13]
	s_barrier
	s_cbranch_scc0 .LBB104_14
.LBB104_8:                              ; =>This Inner Loop Header: Depth=1
	v_add_u32_e32 v0, s19, v21
	v_cmp_gt_i32_e64 s[2:3], s9, v0
	s_and_b64 s[20:21], vcc, s[2:3]
	v_mov_b32_e32 v0, 0
	v_mov_b32_e32 v1, 0
	s_and_saveexec_b64 s[2:3], s[20:21]
	s_cbranch_execz .LBB104_10
; %bb.9:                                ;   in Loop: Header=BB104_8 Depth=1
	global_load_dwordx2 v[0:1], v[10:11], off
.LBB104_10:                             ;   in Loop: Header=BB104_8 Depth=1
	s_or_b64 exec, exec, s[2:3]
	s_waitcnt vmcnt(0)
	ds_write_b64 v23, v[0:1]
	v_add_u32_e32 v0, s19, v19
	v_cmp_le_i32_e64 s[2:3], s9, v0
	s_or_b64 s[2:3], s[2:3], s[14:15]
	s_and_saveexec_b64 s[20:21], s[2:3]
	s_xor_b64 s[2:3], exec, s[20:21]
; %bb.11:                               ;   in Loop: Header=BB104_8 Depth=1
	ds_write_b32 v25, v9
; %bb.12:                               ;   in Loop: Header=BB104_8 Depth=1
	s_or_saveexec_b64 s[2:3], s[2:3]
	v_mov_b32_e32 v0, 0
	s_xor_b64 exec, exec, s[2:3]
	s_cbranch_execz .LBB104_7
; %bb.13:                               ;   in Loop: Header=BB104_8 Depth=1
	global_load_dwordx2 v[2:3], v[12:13], off offset:-4
	s_waitcnt vmcnt(0)
	v_xor_b32_e32 v0, 0x80000000, v3
	ds_write_b32 v25, v2
	s_branch .LBB104_7
.LBB104_14:
	s_load_dwordx2 s[2:3], s[0:1], 0x58
	s_load_dwordx2 s[12:13], s[0:1], 0x48
	s_load_dword s14, s[0:1], 0x50
	v_add_u32_e32 v0, s5, v15
	v_add_u32_e32 v9, s18, v17
	s_waitcnt lgkmcnt(0)
	s_mul_i32 s1, s3, s4
	s_mul_hi_u32 s3, s2, s4
	s_mul_i32 s0, s2, s4
	s_add_i32 s1, s3, s1
	s_lshl_b64 s[0:1], s[0:1], 3
	s_add_u32 s12, s12, s0
	s_addc_u32 s13, s13, s1
	v_cmp_neq_f32_e64 s[0:1], s6, 0
	s_xor_b64 s[4:5], s[16:17], -1
	v_mad_i64_i32 v[2:3], s[2:3], v9, s14, 0
	s_or_b64 s[0:1], s[0:1], s[4:5]
	v_lshl_add_u64 v[4:5], v[2:3], 3, s[12:13]
	v_cmp_le_i32_e32 vcc, v9, v0
	v_cmp_gt_i32_e64 s[2:3], s8, v0
	v_cndmask_b32_e64 v2, 0, 1, s[0:1]
	s_and_b64 s[16:17], vcc, s[2:3]
	v_ashrrev_i32_e32 v1, 31, v0
	v_cmp_ne_u32_e64 s[0:1], 1, v2
	s_and_saveexec_b64 s[4:5], s[16:17]
	s_cbranch_execz .LBB104_18
; %bb.15:
	v_pk_mul_f32 v[6:7], v[26:27], s[10:11] op_sel:[0,1] op_sel_hi:[0,0]
	v_pk_fma_f32 v[2:3], v[24:25], s[10:11], v[6:7] op_sel_hi:[0,1,1] neg_lo:[0,0,1] neg_hi:[0,0,1]
	v_pk_fma_f32 v[10:11], v[24:25], s[10:11], v[6:7] op_sel_hi:[0,1,1]
	s_and_b64 vcc, exec, s[0:1]
	v_lshl_add_u64 v[6:7], v[0:1], 3, v[4:5]
	s_cbranch_vccnz .LBB104_17
; %bb.16:
	global_load_dwordx2 v[12:13], v[6:7], off
	s_mov_b32 s16, s7
	v_mov_b32_e32 v3, v11
	s_waitcnt vmcnt(0)
	v_pk_mul_f32 v[10:11], v[12:13], s[16:17] op_sel:[1,0] op_sel_hi:[0,0]
	v_pk_fma_f32 v[24:25], v[12:13], s[6:7], v[10:11] neg_lo:[0,0,1] neg_hi:[0,0,1]
	v_pk_fma_f32 v[10:11], v[12:13], s[6:7], v[10:11] op_sel_hi:[1,0,1]
	s_nop 0
	v_mov_b32_e32 v25, v11
	v_pk_add_f32 v[2:3], v[2:3], v[24:25]
	s_nop 0
	v_mov_b32_e32 v11, v3
.LBB104_17:
	v_mov_b32_e32 v3, v11
	global_store_dwordx2 v[6:7], v[2:3], off
.LBB104_18:
	s_or_b64 exec, exec, s[4:5]
	v_add_u32_e32 v2, 16, v0
	v_cmp_le_i32_e32 vcc, v9, v2
	v_cmp_gt_i32_e64 s[4:5], s8, v2
	s_and_b64 s[16:17], vcc, s[4:5]
	v_ashrrev_i32_e32 v3, 31, v2
	s_and_saveexec_b64 s[8:9], s[16:17]
	s_cbranch_execz .LBB104_22
; %bb.19:
	v_pk_mul_f32 v[10:11], v[22:23], s[10:11] op_sel:[0,1] op_sel_hi:[0,0]
	v_pk_fma_f32 v[6:7], v[20:21], s[10:11], v[10:11] op_sel_hi:[0,1,1] neg_lo:[0,0,1] neg_hi:[0,0,1]
	v_pk_fma_f32 v[10:11], v[20:21], s[10:11], v[10:11] op_sel_hi:[0,1,1]
	s_and_b64 vcc, exec, s[0:1]
	v_lshl_add_u64 v[4:5], v[2:3], 3, v[4:5]
	s_cbranch_vccnz .LBB104_21
; %bb.20:
	global_load_dwordx2 v[12:13], v[4:5], off
	s_mov_b32 s16, s7
	v_mov_b32_e32 v7, v11
	s_waitcnt vmcnt(0)
	v_pk_mul_f32 v[10:11], v[12:13], s[16:17] op_sel:[1,0] op_sel_hi:[0,0]
	v_pk_fma_f32 v[20:21], v[12:13], s[6:7], v[10:11] neg_lo:[0,0,1] neg_hi:[0,0,1]
	v_pk_fma_f32 v[10:11], v[12:13], s[6:7], v[10:11] op_sel_hi:[1,0,1]
	s_nop 0
	v_mov_b32_e32 v21, v11
	v_pk_add_f32 v[6:7], v[6:7], v[20:21]
	s_nop 0
	v_mov_b32_e32 v11, v7
.LBB104_21:
	v_mov_b32_e32 v7, v11
	global_store_dwordx2 v[4:5], v[6:7], off
.LBB104_22:
	s_or_b64 exec, exec, s[8:9]
	v_add_u32_e32 v9, 16, v9
	v_mad_i64_i32 v[4:5], s[8:9], v9, s14, 0
	v_cmp_le_i32_e32 vcc, v9, v0
	v_lshl_add_u64 v[4:5], v[4:5], 3, s[12:13]
	s_and_b64 s[8:9], vcc, s[2:3]
	s_and_saveexec_b64 s[2:3], s[8:9]
	s_cbranch_execz .LBB104_26
; %bb.23:
	v_pk_mul_f32 v[10:11], v[18:19], s[10:11] op_sel:[0,1] op_sel_hi:[0,0]
	v_pk_fma_f32 v[6:7], v[16:17], s[10:11], v[10:11] op_sel_hi:[0,1,1] neg_lo:[0,0,1] neg_hi:[0,0,1]
	v_pk_fma_f32 v[10:11], v[16:17], s[10:11], v[10:11] op_sel_hi:[0,1,1]
	s_and_b64 vcc, exec, s[0:1]
	v_lshl_add_u64 v[0:1], v[0:1], 3, v[4:5]
	s_cbranch_vccnz .LBB104_25
; %bb.24:
	global_load_dwordx2 v[12:13], v[0:1], off
	s_mov_b32 s8, s7
	v_mov_b32_e32 v7, v11
	s_waitcnt vmcnt(0)
	v_pk_mul_f32 v[10:11], v[12:13], s[8:9] op_sel:[1,0] op_sel_hi:[0,0]
	v_pk_fma_f32 v[16:17], v[12:13], s[6:7], v[10:11] neg_lo:[0,0,1] neg_hi:[0,0,1]
	v_pk_fma_f32 v[10:11], v[12:13], s[6:7], v[10:11] op_sel_hi:[1,0,1]
	s_nop 0
	v_mov_b32_e32 v17, v11
	v_pk_add_f32 v[6:7], v[6:7], v[16:17]
	s_nop 0
	v_mov_b32_e32 v11, v7
.LBB104_25:
	v_mov_b32_e32 v7, v11
	global_store_dwordx2 v[0:1], v[6:7], off
.LBB104_26:
	s_or_b64 exec, exec, s[2:3]
	v_cmp_le_i32_e32 vcc, v9, v2
	s_and_b64 s[2:3], vcc, s[4:5]
	s_and_saveexec_b64 s[4:5], s[2:3]
	s_cbranch_execz .LBB104_30
; %bb.27:
	v_pk_mul_f32 v[6:7], v[14:15], s[10:11] op_sel:[0,1] op_sel_hi:[0,0]
	v_pk_fma_f32 v[0:1], v[8:9], s[10:11], v[6:7] op_sel_hi:[0,1,1] neg_lo:[0,0,1] neg_hi:[0,0,1]
	v_pk_fma_f32 v[6:7], v[8:9], s[10:11], v[6:7] op_sel_hi:[0,1,1]
	s_and_b64 vcc, exec, s[0:1]
	v_lshl_add_u64 v[2:3], v[2:3], 3, v[4:5]
	s_cbranch_vccnz .LBB104_29
; %bb.28:
	global_load_dwordx2 v[4:5], v[2:3], off
	s_mov_b32 s0, s7
	v_mov_b32_e32 v1, v7
	s_waitcnt vmcnt(0)
	v_pk_mul_f32 v[6:7], v[4:5], s[0:1] op_sel:[1,0] op_sel_hi:[0,0]
	v_pk_fma_f32 v[8:9], v[4:5], s[6:7], v[6:7] neg_lo:[0,0,1] neg_hi:[0,0,1]
	v_pk_fma_f32 v[4:5], v[4:5], s[6:7], v[6:7] op_sel_hi:[1,0,1]
	s_nop 0
	v_mov_b32_e32 v9, v5
	v_pk_add_f32 v[0:1], v[0:1], v[8:9]
	s_nop 0
	v_mov_b32_e32 v7, v1
.LBB104_29:
	v_mov_b32_e32 v1, v7
	global_store_dwordx2 v[2:3], v[0:1], off
.LBB104_30:
	s_endpgm
	.section	.rodata,"a",@progbits
	.p2align	6, 0x0
	.amdhsa_kernel _ZL29rocblas_internal_gemmt_kernelIiLi16ELi32ELi8ELc84ELc67ELc76ELb0ELb1E19rocblas_complex_numIfES1_PKS1_PS1_EviT_T9_T10_S5_lS7_S5_lS6_T11_S5_li
		.amdhsa_group_segment_fixed_size 4096
		.amdhsa_private_segment_fixed_size 0
		.amdhsa_kernarg_size 100
		.amdhsa_user_sgpr_count 2
		.amdhsa_user_sgpr_dispatch_ptr 0
		.amdhsa_user_sgpr_queue_ptr 0
		.amdhsa_user_sgpr_kernarg_segment_ptr 1
		.amdhsa_user_sgpr_dispatch_id 0
		.amdhsa_user_sgpr_kernarg_preload_length 0
		.amdhsa_user_sgpr_kernarg_preload_offset 0
		.amdhsa_user_sgpr_private_segment_size 0
		.amdhsa_uses_dynamic_stack 0
		.amdhsa_enable_private_segment 0
		.amdhsa_system_sgpr_workgroup_id_x 1
		.amdhsa_system_sgpr_workgroup_id_y 1
		.amdhsa_system_sgpr_workgroup_id_z 1
		.amdhsa_system_sgpr_workgroup_info 0
		.amdhsa_system_vgpr_workitem_id 1
		.amdhsa_next_free_vgpr 54
		.amdhsa_next_free_sgpr 28
		.amdhsa_accum_offset 56
		.amdhsa_reserve_vcc 1
		.amdhsa_float_round_mode_32 0
		.amdhsa_float_round_mode_16_64 0
		.amdhsa_float_denorm_mode_32 3
		.amdhsa_float_denorm_mode_16_64 3
		.amdhsa_dx10_clamp 1
		.amdhsa_ieee_mode 1
		.amdhsa_fp16_overflow 0
		.amdhsa_tg_split 0
		.amdhsa_exception_fp_ieee_invalid_op 0
		.amdhsa_exception_fp_denorm_src 0
		.amdhsa_exception_fp_ieee_div_zero 0
		.amdhsa_exception_fp_ieee_overflow 0
		.amdhsa_exception_fp_ieee_underflow 0
		.amdhsa_exception_fp_ieee_inexact 0
		.amdhsa_exception_int_div_zero 0
	.end_amdhsa_kernel
	.section	.text._ZL29rocblas_internal_gemmt_kernelIiLi16ELi32ELi8ELc84ELc67ELc76ELb0ELb1E19rocblas_complex_numIfES1_PKS1_PS1_EviT_T9_T10_S5_lS7_S5_lS6_T11_S5_li,"axG",@progbits,_ZL29rocblas_internal_gemmt_kernelIiLi16ELi32ELi8ELc84ELc67ELc76ELb0ELb1E19rocblas_complex_numIfES1_PKS1_PS1_EviT_T9_T10_S5_lS7_S5_lS6_T11_S5_li,comdat
.Lfunc_end104:
	.size	_ZL29rocblas_internal_gemmt_kernelIiLi16ELi32ELi8ELc84ELc67ELc76ELb0ELb1E19rocblas_complex_numIfES1_PKS1_PS1_EviT_T9_T10_S5_lS7_S5_lS6_T11_S5_li, .Lfunc_end104-_ZL29rocblas_internal_gemmt_kernelIiLi16ELi32ELi8ELc84ELc67ELc76ELb0ELb1E19rocblas_complex_numIfES1_PKS1_PS1_EviT_T9_T10_S5_lS7_S5_lS6_T11_S5_li
                                        ; -- End function
	.set _ZL29rocblas_internal_gemmt_kernelIiLi16ELi32ELi8ELc84ELc67ELc76ELb0ELb1E19rocblas_complex_numIfES1_PKS1_PS1_EviT_T9_T10_S5_lS7_S5_lS6_T11_S5_li.num_vgpr, 54
	.set _ZL29rocblas_internal_gemmt_kernelIiLi16ELi32ELi8ELc84ELc67ELc76ELb0ELb1E19rocblas_complex_numIfES1_PKS1_PS1_EviT_T9_T10_S5_lS7_S5_lS6_T11_S5_li.num_agpr, 0
	.set _ZL29rocblas_internal_gemmt_kernelIiLi16ELi32ELi8ELc84ELc67ELc76ELb0ELb1E19rocblas_complex_numIfES1_PKS1_PS1_EviT_T9_T10_S5_lS7_S5_lS6_T11_S5_li.numbered_sgpr, 28
	.set _ZL29rocblas_internal_gemmt_kernelIiLi16ELi32ELi8ELc84ELc67ELc76ELb0ELb1E19rocblas_complex_numIfES1_PKS1_PS1_EviT_T9_T10_S5_lS7_S5_lS6_T11_S5_li.num_named_barrier, 0
	.set _ZL29rocblas_internal_gemmt_kernelIiLi16ELi32ELi8ELc84ELc67ELc76ELb0ELb1E19rocblas_complex_numIfES1_PKS1_PS1_EviT_T9_T10_S5_lS7_S5_lS6_T11_S5_li.private_seg_size, 0
	.set _ZL29rocblas_internal_gemmt_kernelIiLi16ELi32ELi8ELc84ELc67ELc76ELb0ELb1E19rocblas_complex_numIfES1_PKS1_PS1_EviT_T9_T10_S5_lS7_S5_lS6_T11_S5_li.uses_vcc, 1
	.set _ZL29rocblas_internal_gemmt_kernelIiLi16ELi32ELi8ELc84ELc67ELc76ELb0ELb1E19rocblas_complex_numIfES1_PKS1_PS1_EviT_T9_T10_S5_lS7_S5_lS6_T11_S5_li.uses_flat_scratch, 0
	.set _ZL29rocblas_internal_gemmt_kernelIiLi16ELi32ELi8ELc84ELc67ELc76ELb0ELb1E19rocblas_complex_numIfES1_PKS1_PS1_EviT_T9_T10_S5_lS7_S5_lS6_T11_S5_li.has_dyn_sized_stack, 0
	.set _ZL29rocblas_internal_gemmt_kernelIiLi16ELi32ELi8ELc84ELc67ELc76ELb0ELb1E19rocblas_complex_numIfES1_PKS1_PS1_EviT_T9_T10_S5_lS7_S5_lS6_T11_S5_li.has_recursion, 0
	.set _ZL29rocblas_internal_gemmt_kernelIiLi16ELi32ELi8ELc84ELc67ELc76ELb0ELb1E19rocblas_complex_numIfES1_PKS1_PS1_EviT_T9_T10_S5_lS7_S5_lS6_T11_S5_li.has_indirect_call, 0
	.section	.AMDGPU.csdata,"",@progbits
; Kernel info:
; codeLenInByte = 2500
; TotalNumSgprs: 34
; NumVgprs: 54
; NumAgprs: 0
; TotalNumVgprs: 54
; ScratchSize: 0
; MemoryBound: 0
; FloatMode: 240
; IeeeMode: 1
; LDSByteSize: 4096 bytes/workgroup (compile time only)
; SGPRBlocks: 4
; VGPRBlocks: 6
; NumSGPRsForWavesPerEU: 34
; NumVGPRsForWavesPerEU: 54
; AccumOffset: 56
; Occupancy: 8
; WaveLimiterHint : 0
; COMPUTE_PGM_RSRC2:SCRATCH_EN: 0
; COMPUTE_PGM_RSRC2:USER_SGPR: 2
; COMPUTE_PGM_RSRC2:TRAP_HANDLER: 0
; COMPUTE_PGM_RSRC2:TGID_X_EN: 1
; COMPUTE_PGM_RSRC2:TGID_Y_EN: 1
; COMPUTE_PGM_RSRC2:TGID_Z_EN: 1
; COMPUTE_PGM_RSRC2:TIDIG_COMP_CNT: 1
; COMPUTE_PGM_RSRC3_GFX90A:ACCUM_OFFSET: 13
; COMPUTE_PGM_RSRC3_GFX90A:TG_SPLIT: 0
	.section	.text._ZL29rocblas_internal_gemmt_kernelIiLi16ELi32ELi8ELc67ELc78ELc76ELb1ELb0E19rocblas_complex_numIfES1_PKS1_PS1_EviT_T9_T10_S5_lS7_S5_lS6_T11_S5_li,"axG",@progbits,_ZL29rocblas_internal_gemmt_kernelIiLi16ELi32ELi8ELc67ELc78ELc76ELb1ELb0E19rocblas_complex_numIfES1_PKS1_PS1_EviT_T9_T10_S5_lS7_S5_lS6_T11_S5_li,comdat
	.globl	_ZL29rocblas_internal_gemmt_kernelIiLi16ELi32ELi8ELc67ELc78ELc76ELb1ELb0E19rocblas_complex_numIfES1_PKS1_PS1_EviT_T9_T10_S5_lS7_S5_lS6_T11_S5_li ; -- Begin function _ZL29rocblas_internal_gemmt_kernelIiLi16ELi32ELi8ELc67ELc78ELc76ELb1ELb0E19rocblas_complex_numIfES1_PKS1_PS1_EviT_T9_T10_S5_lS7_S5_lS6_T11_S5_li
	.p2align	8
	.type	_ZL29rocblas_internal_gemmt_kernelIiLi16ELi32ELi8ELc67ELc78ELc76ELb1ELb0E19rocblas_complex_numIfES1_PKS1_PS1_EviT_T9_T10_S5_lS7_S5_lS6_T11_S5_li,@function
_ZL29rocblas_internal_gemmt_kernelIiLi16ELi32ELi8ELc67ELc78ELc76ELb1ELb0E19rocblas_complex_numIfES1_PKS1_PS1_EviT_T9_T10_S5_lS7_S5_lS6_T11_S5_li: ; @_ZL29rocblas_internal_gemmt_kernelIiLi16ELi32ELi8ELc67ELc78ELc76ELb1ELb0E19rocblas_complex_numIfES1_PKS1_PS1_EviT_T9_T10_S5_lS7_S5_lS6_T11_S5_li
; %bb.0:
	s_load_dwordx2 s[6:7], s[0:1], 0x40
	s_load_dwordx4 s[8:11], s[0:1], 0x0
	s_waitcnt lgkmcnt(0)
	s_and_b32 s5, s7, 0x7fffffff
	s_cmp_eq_u32 s5, 0
	v_cmp_eq_f32_e64 s[12:13], s6, 1.0
	s_cselect_b64 s[16:17], -1, 0
	s_and_b64 s[12:13], s[12:13], s[16:17]
	s_and_b64 vcc, exec, s[12:13]
	s_cbranch_vccnz .LBB105_2
; %bb.1:
	s_mov_b64 s[12:13], -1
	s_cbranch_execz .LBB105_3
	s_branch .LBB105_4
.LBB105_2:
	s_mov_b64 s[12:13], 0
.LBB105_3:
	s_cmp_lg_u32 s9, 0
	v_cmp_neq_f32_e64 s[14:15], s10, 0
	v_cmp_neq_f32_e64 s[18:19], s11, 0
	s_cselect_b64 s[12:13], -1, 0
	s_or_b64 s[14:15], s[14:15], s[18:19]
	s_and_b64 s[12:13], s[12:13], s[14:15]
.LBB105_4:
	s_andn2_b64 vcc, exec, s[12:13]
	s_cbranch_vccnz .LBB105_30
; %bb.5:
	s_lshl_b32 s5, s2, 5
	s_lshl_b32 s18, s3, 5
	v_cmp_eq_f32_e64 s[2:3], s10, 0
	v_cmp_eq_f32_e64 s[12:13], s11, 0
	s_and_b64 s[2:3], s[2:3], s[12:13]
	s_cmp_lt_i32 s9, 1
	s_cselect_b64 s[12:13], -1, 0
	s_or_b64 s[2:3], s[2:3], s[12:13]
	v_and_b32_e32 v15, 0x3ff, v0
	v_bfe_u32 v17, v0, 10, 10
	s_mov_b32 s19, 0
	v_mov_b32_e32 v24, 0
	s_and_b64 vcc, exec, s[2:3]
	v_mov_b32_e32 v26, 0
	v_mov_b32_e32 v20, 0
	;; [unrolled: 1-line block ×7, first 2 shown]
	s_cbranch_vccnz .LBB105_14
; %bb.6:
	v_lshl_add_u32 v0, v17, 4, v15
	v_and_b32_e32 v2, 31, v0
	v_lshrrev_b32_e32 v21, 5, v0
	v_lshrrev_b32_e32 v1, 3, v0
	v_or_b32_e32 v0, s5, v2
	v_and_b32_e32 v19, 7, v15
	v_cmp_gt_i32_e64 s[2:3], s8, v0
	v_lshlrev_b32_e32 v0, 3, v2
	v_lshl_or_b32 v23, v21, 8, v0
	v_lshlrev_b32_e32 v0, 3, v19
	v_add_u32_e32 v4, s18, v1
	v_lshl_or_b32 v1, v1, 6, v0
	s_load_dwordx2 s[20:21], s[0:1], 0x10
	s_load_dword s24, s[0:1], 0x18
	s_load_dwordx4 s[12:15], s[0:1], 0x20
	s_load_dword s26, s[0:1], 0x30
	s_load_dwordx2 s[22:23], s[0:1], 0x38
	v_add_u32_e32 v25, 0x800, v1
	v_mov_b32_e32 v1, 0x800
	v_lshl_add_u32 v28, v17, 6, v1
	v_add_u32_e32 v1, s5, v2
	s_waitcnt lgkmcnt(0)
	v_mad_i64_i32 v[2:3], s[24:25], s24, v1, 0
	s_mul_i32 s13, s13, s4
	s_mul_hi_u32 s24, s12, s4
	s_add_i32 s13, s24, s13
	s_mul_i32 s12, s12, s4
	s_lshl_b64 s[12:13], s[12:13], 3
	v_lshl_add_u64 v[2:3], v[2:3], 3, s[12:13]
	v_lshlrev_b32_e32 v8, 3, v21
	v_mov_b32_e32 v9, 0
	v_lshl_add_u64 v[2:3], v[2:3], 0, v[8:9]
	v_lshl_add_u64 v[2:3], s[20:21], 0, v[2:3]
	;; [unrolled: 1-line block ×3, first 2 shown]
	v_mad_i64_i32 v[2:3], s[12:13], s26, v4, 0
	s_mul_i32 s12, s23, s4
	s_mul_hi_u32 s13, s22, s4
	s_add_i32 s13, s13, s12
	s_mul_i32 s12, s22, s4
	s_lshl_b64 s[12:13], s[12:13], 3
	v_lshl_add_u64 v[2:3], v[2:3], 3, s[12:13]
	v_mov_b32_e32 v1, v9
	v_lshl_add_u64 v[0:1], v[2:3], 0, v[0:1]
	v_cmp_gt_i32_e32 vcc, s8, v4
	v_lshlrev_b32_e32 v27, 3, v15
	v_lshl_add_u64 v[12:13], s[14:15], 0, v[0:1]
	s_xor_b64 s[12:13], s[2:3], -1
	v_mov_b32_e32 v14, 0
	v_mov_b32_e32 v8, 0
	;; [unrolled: 1-line block ×8, first 2 shown]
	s_branch .LBB105_8
.LBB105_7:                              ;   in Loop: Header=BB105_8 Depth=1
	s_or_b64 exec, exec, s[2:3]
	s_waitcnt vmcnt(0)
	ds_write_b64 v25, v[2:3]
	s_waitcnt lgkmcnt(0)
	s_barrier
	ds_read2_b64 v[30:33], v27 offset1:16
	ds_read_b128 v[34:37], v28
	ds_read_b128 v[38:41], v28 offset:16
	ds_read_b128 v[4:7], v28 offset:32
	;; [unrolled: 1-line block ×3, first 2 shown]
	ds_read2_b64 v[50:53], v27 offset0:32 offset1:48
	s_waitcnt lgkmcnt(4)
	v_mul_f32_e32 v42, v34, v31
	v_fmac_f32_e32 v42, v35, v30
	v_add_f32_e32 v26, v26, v42
	ds_read_b128 v[42:45], v28 offset:1024
	ds_read_b128 v[46:49], v28 offset:1040
	v_mul_f32_e32 v29, v35, v31
	v_fma_f32 v29, v34, v30, -v29
	v_add_f32_e32 v24, v24, v29
	v_mul_f32_e32 v29, v35, v33
	v_fma_f32 v29, v34, v32, -v29
	v_add_f32_e32 v20, v20, v29
	s_waitcnt lgkmcnt(1)
	v_mul_f32_e32 v29, v43, v31
	v_mul_f32_e32 v31, v42, v31
	v_fma_f32 v29, v42, v30, -v29
	v_fmac_f32_e32 v31, v43, v30
	v_mul_f32_e32 v30, v42, v33
	v_fmac_f32_e32 v30, v43, v32
	v_add_f32_e32 v14, v14, v30
	v_mul_f32_e32 v30, v36, v51
	v_mul_f32_e32 v34, v34, v33
	v_fmac_f32_e32 v30, v37, v50
	v_fmac_f32_e32 v34, v35, v32
	v_add_f32_e32 v26, v26, v30
	v_mul_f32_e32 v30, v36, v53
	v_add_f32_e32 v22, v22, v34
	v_add_f32_e32 v16, v16, v29
	v_mul_f32_e32 v29, v43, v33
	v_fmac_f32_e32 v30, v37, v52
	v_fma_f32 v29, v42, v32, -v29
	v_add_f32_e32 v22, v22, v30
	v_mul_f32_e32 v30, v44, v51
	v_add_f32_e32 v18, v18, v31
	v_add_f32_e32 v8, v8, v29
	v_mul_f32_e32 v29, v37, v51
	v_fmac_f32_e32 v30, v45, v50
	v_fma_f32 v29, v36, v50, -v29
	v_add_f32_e32 v18, v18, v30
	ds_read2_b64 v[30:33], v27 offset0:64 offset1:80
	v_add_f32_e32 v24, v24, v29
	v_mul_f32_e32 v29, v37, v53
	v_fma_f32 v29, v36, v52, -v29
	v_add_f32_e32 v20, v20, v29
	v_mul_f32_e32 v29, v45, v51
	v_mul_f32_e32 v34, v44, v53
	v_fma_f32 v29, v44, v50, -v29
	v_fmac_f32_e32 v34, v45, v52
	v_add_f32_e32 v16, v16, v29
	v_mul_f32_e32 v29, v45, v53
	v_add_f32_e32 v14, v14, v34
	s_waitcnt lgkmcnt(0)
	v_mul_f32_e32 v34, v38, v31
	v_fma_f32 v29, v44, v52, -v29
	v_fmac_f32_e32 v34, v39, v30
	v_add_f32_e32 v8, v8, v29
	v_mul_f32_e32 v29, v39, v31
	v_add_f32_e32 v26, v26, v34
	v_mul_f32_e32 v34, v38, v33
	v_fma_f32 v29, v38, v30, -v29
	v_fmac_f32_e32 v34, v39, v32
	v_add_f32_e32 v24, v24, v29
	v_mul_f32_e32 v29, v39, v33
	v_add_f32_e32 v22, v22, v34
	ds_read2_b64 v[34:37], v27 offset0:96 offset1:112
	v_fma_f32 v29, v38, v32, -v29
	v_add_f32_e32 v20, v20, v29
	v_mul_f32_e32 v29, v47, v31
	v_mul_f32_e32 v31, v46, v31
	v_fma_f32 v29, v46, v30, -v29
	v_fmac_f32_e32 v31, v47, v30
	v_mul_f32_e32 v30, v46, v33
	v_fmac_f32_e32 v30, v47, v32
	v_add_f32_e32 v14, v14, v30
	s_waitcnt lgkmcnt(0)
	v_mul_f32_e32 v30, v40, v35
	v_fmac_f32_e32 v30, v41, v34
	v_add_f32_e32 v16, v16, v29
	v_mul_f32_e32 v29, v47, v33
	v_add_f32_e32 v26, v26, v30
	v_mul_f32_e32 v30, v40, v37
	v_fma_f32 v29, v46, v32, -v29
	v_fmac_f32_e32 v30, v41, v36
	v_add_f32_e32 v8, v8, v29
	v_mul_f32_e32 v29, v41, v35
	v_add_f32_e32 v22, v22, v30
	v_mul_f32_e32 v30, v48, v35
	v_add_f32_e32 v18, v18, v31
	v_fma_f32 v29, v40, v34, -v29
	v_fmac_f32_e32 v30, v49, v34
	v_add_f32_e32 v24, v24, v29
	v_mul_f32_e32 v29, v41, v37
	v_add_f32_e32 v18, v18, v30
	ds_read2_b64 v[30:33], v27 offset0:128 offset1:144
	v_fma_f32 v29, v40, v36, -v29
	v_add_f32_e32 v20, v20, v29
	v_mul_f32_e32 v29, v49, v35
	v_fma_f32 v29, v48, v34, -v29
	v_mul_f32_e32 v34, v48, v37
	v_fmac_f32_e32 v34, v49, v36
	v_add_f32_e32 v14, v14, v34
	s_waitcnt lgkmcnt(0)
	v_mul_f32_e32 v34, v4, v31
	v_add_f32_e32 v16, v16, v29
	v_mul_f32_e32 v29, v49, v37
	v_fmac_f32_e32 v34, v5, v30
	v_fma_f32 v29, v48, v36, -v29
	v_add_f32_e32 v26, v26, v34
	ds_read_b128 v[34:37], v28 offset:1056
	ds_read_b128 v[38:41], v28 offset:1072
	v_add_f32_e32 v8, v8, v29
	v_mul_f32_e32 v29, v5, v31
	v_fma_f32 v29, v4, v30, -v29
	v_add_f32_e32 v24, v24, v29
	v_mul_f32_e32 v29, v5, v33
	v_fma_f32 v29, v4, v32, -v29
	v_mul_f32_e32 v4, v4, v33
	ds_read2_b64 v[42:45], v27 offset0:160 offset1:176
	v_fmac_f32_e32 v4, v5, v32
	v_add_f32_e32 v5, v20, v29
	s_waitcnt lgkmcnt(2)
	v_mul_f32_e32 v20, v35, v31
	v_fma_f32 v20, v34, v30, -v20
	v_add_f32_e32 v16, v16, v20
	v_mul_f32_e32 v20, v35, v33
	v_add_f32_e32 v4, v22, v4
	v_mul_f32_e32 v22, v34, v31
	v_fma_f32 v20, v34, v32, -v20
	v_fmac_f32_e32 v22, v35, v30
	v_add_f32_e32 v8, v8, v20
	s_waitcnt lgkmcnt(0)
	v_mul_f32_e32 v20, v7, v43
	v_add_f32_e32 v18, v18, v22
	v_mul_f32_e32 v22, v34, v33
	v_fma_f32 v20, v6, v42, -v20
	v_fmac_f32_e32 v22, v35, v32
	v_add_f32_e32 v20, v24, v20
	v_mul_f32_e32 v24, v7, v45
	v_add_f32_e32 v14, v14, v22
	v_mul_f32_e32 v22, v6, v43
	v_fma_f32 v24, v6, v44, -v24
	v_mul_f32_e32 v6, v6, v45
	v_fmac_f32_e32 v22, v7, v42
	v_fmac_f32_e32 v6, v7, v44
	v_add_f32_e32 v22, v26, v22
	v_add_f32_e32 v26, v4, v6
	v_mul_f32_e32 v4, v37, v43
	v_add_f32_e32 v24, v5, v24
	v_fma_f32 v4, v36, v42, -v4
	v_mul_f32_e32 v5, v36, v43
	v_fmac_f32_e32 v5, v37, v42
	v_add_f32_e32 v16, v16, v4
	v_mul_f32_e32 v4, v37, v45
	v_add_f32_e32 v18, v18, v5
	v_fma_f32 v29, v36, v44, -v4
	ds_read2_b64 v[4:7], v27 offset0:192 offset1:208
	v_mul_f32_e32 v30, v36, v45
	v_fmac_f32_e32 v30, v37, v44
	v_add_f32_e32 v8, v8, v29
	v_add_f32_e32 v14, v14, v30
	s_waitcnt lgkmcnt(0)
	v_mul_f32_e32 v29, v1, v5
	v_fma_f32 v29, v0, v4, -v29
	v_mul_f32_e32 v30, v0, v5
	v_fmac_f32_e32 v30, v1, v4
	v_add_f32_e32 v20, v20, v29
	v_mul_f32_e32 v29, v1, v7
	v_add_f32_e32 v22, v22, v30
	v_fma_f32 v29, v0, v6, -v29
	v_mul_f32_e32 v0, v0, v7
	ds_read2_b64 v[30:33], v27 offset0:224 offset1:240
	v_fmac_f32_e32 v0, v1, v6
	v_add_f32_e32 v1, v24, v29
	v_mul_f32_e32 v24, v39, v5
	v_fma_f32 v24, v38, v4, -v24
	v_mul_f32_e32 v5, v38, v5
	v_fmac_f32_e32 v5, v39, v4
	v_add_f32_e32 v4, v16, v24
	v_mul_f32_e32 v16, v39, v7
	v_fma_f32 v16, v38, v6, -v16
	v_mul_f32_e32 v7, v38, v7
	v_fmac_f32_e32 v7, v39, v6
	v_add_f32_e32 v6, v8, v16
	s_waitcnt lgkmcnt(0)
	v_mul_f32_e32 v8, v3, v31
	v_fma_f32 v8, v2, v30, -v8
	v_add_f32_e32 v24, v20, v8
	v_mul_f32_e32 v8, v3, v33
	v_add_f32_e32 v7, v14, v7
	v_mul_f32_e32 v14, v2, v31
	v_fma_f32 v8, v2, v32, -v8
	v_mul_f32_e32 v2, v2, v33
	v_add_f32_e32 v0, v26, v0
	v_fmac_f32_e32 v14, v3, v30
	v_fmac_f32_e32 v2, v3, v32
	v_add_f32_e32 v26, v22, v14
	v_add_f32_e32 v20, v1, v8
	;; [unrolled: 1-line block ×3, first 2 shown]
	v_mul_f32_e32 v0, v41, v31
	v_mul_f32_e32 v1, v40, v31
	v_add_f32_e32 v5, v18, v5
	v_fma_f32 v0, v40, v30, -v0
	v_fmac_f32_e32 v1, v41, v30
	v_add_f32_e32 v16, v4, v0
	v_add_f32_e32 v18, v5, v1
	v_mul_f32_e32 v0, v41, v33
	v_mul_f32_e32 v1, v40, v33
	v_fma_f32 v0, v40, v32, -v0
	v_fmac_f32_e32 v1, v41, v32
	s_add_i32 s19, s19, 8
	v_add_f32_e32 v8, v6, v0
	v_add_f32_e32 v14, v7, v1
	v_lshl_add_u64 v[10:11], v[10:11], 0, 64
	s_cmp_lt_i32 s19, s9
	v_lshl_add_u64 v[12:13], v[12:13], 0, 64
	s_barrier
	s_cbranch_scc0 .LBB105_14
.LBB105_8:                              ; =>This Inner Loop Header: Depth=1
	v_add_u32_e32 v0, s19, v21
	v_cmp_le_i32_e64 s[2:3], s9, v0
	s_or_b64 s[2:3], s[12:13], s[2:3]
	s_and_saveexec_b64 s[14:15], s[2:3]
	s_xor_b64 s[2:3], exec, s[14:15]
; %bb.9:                                ;   in Loop: Header=BB105_8 Depth=1
	ds_write_b32 v23, v9
; %bb.10:                               ;   in Loop: Header=BB105_8 Depth=1
	s_or_saveexec_b64 s[2:3], s[2:3]
	v_mov_b32_e32 v2, 0
	v_mov_b32_e32 v0, 0
	s_xor_b64 exec, exec, s[2:3]
	s_cbranch_execz .LBB105_12
; %bb.11:                               ;   in Loop: Header=BB105_8 Depth=1
	global_load_dwordx2 v[4:5], v[10:11], off offset:-4
	s_waitcnt vmcnt(0)
	v_xor_b32_e32 v0, 0x80000000, v5
	ds_write_b32 v23, v4
.LBB105_12:                             ;   in Loop: Header=BB105_8 Depth=1
	s_or_b64 exec, exec, s[2:3]
	ds_write_b32 v23, v0 offset:4
	v_add_u32_e32 v0, s19, v19
	v_cmp_gt_i32_e64 s[2:3], s9, v0
	s_and_b64 s[14:15], s[2:3], vcc
	v_mov_b32_e32 v3, 0
	s_and_saveexec_b64 s[2:3], s[14:15]
	s_cbranch_execz .LBB105_7
; %bb.13:                               ;   in Loop: Header=BB105_8 Depth=1
	global_load_dwordx2 v[2:3], v[12:13], off
	s_branch .LBB105_7
.LBB105_14:
	s_load_dwordx2 s[2:3], s[0:1], 0x58
	s_load_dwordx2 s[12:13], s[0:1], 0x48
	s_load_dword s14, s[0:1], 0x50
	v_add_u32_e32 v0, s5, v15
	v_add_u32_e32 v9, s18, v17
	s_waitcnt lgkmcnt(0)
	s_mul_i32 s1, s3, s4
	s_mul_hi_u32 s3, s2, s4
	s_mul_i32 s0, s2, s4
	s_add_i32 s1, s3, s1
	s_lshl_b64 s[0:1], s[0:1], 3
	s_add_u32 s12, s12, s0
	s_addc_u32 s13, s13, s1
	v_cmp_neq_f32_e64 s[0:1], s6, 0
	s_xor_b64 s[4:5], s[16:17], -1
	v_mad_i64_i32 v[2:3], s[2:3], v9, s14, 0
	s_or_b64 s[0:1], s[0:1], s[4:5]
	v_lshl_add_u64 v[4:5], v[2:3], 3, s[12:13]
	v_cmp_le_i32_e32 vcc, v9, v0
	v_cmp_gt_i32_e64 s[2:3], s8, v0
	v_cndmask_b32_e64 v2, 0, 1, s[0:1]
	s_and_b64 s[16:17], vcc, s[2:3]
	v_ashrrev_i32_e32 v1, 31, v0
	v_cmp_ne_u32_e64 s[0:1], 1, v2
	s_and_saveexec_b64 s[4:5], s[16:17]
	s_cbranch_execz .LBB105_18
; %bb.15:
	v_pk_mul_f32 v[6:7], v[26:27], s[10:11] op_sel:[0,1] op_sel_hi:[0,0]
	v_pk_fma_f32 v[2:3], v[24:25], s[10:11], v[6:7] op_sel_hi:[0,1,1] neg_lo:[0,0,1] neg_hi:[0,0,1]
	v_pk_fma_f32 v[10:11], v[24:25], s[10:11], v[6:7] op_sel_hi:[0,1,1]
	s_and_b64 vcc, exec, s[0:1]
	v_lshl_add_u64 v[6:7], v[0:1], 3, v[4:5]
	s_cbranch_vccnz .LBB105_17
; %bb.16:
	global_load_dwordx2 v[12:13], v[6:7], off
	s_mov_b32 s16, s7
	v_mov_b32_e32 v3, v11
	s_waitcnt vmcnt(0)
	v_pk_mul_f32 v[10:11], v[12:13], s[16:17] op_sel:[1,0] op_sel_hi:[0,0]
	v_pk_fma_f32 v[24:25], v[12:13], s[6:7], v[10:11] neg_lo:[0,0,1] neg_hi:[0,0,1]
	v_pk_fma_f32 v[10:11], v[12:13], s[6:7], v[10:11] op_sel_hi:[1,0,1]
	s_nop 0
	v_mov_b32_e32 v25, v11
	v_pk_add_f32 v[2:3], v[2:3], v[24:25]
	s_nop 0
	v_mov_b32_e32 v11, v3
.LBB105_17:
	v_mov_b32_e32 v3, v11
	global_store_dwordx2 v[6:7], v[2:3], off
.LBB105_18:
	s_or_b64 exec, exec, s[4:5]
	v_add_u32_e32 v2, 16, v0
	v_cmp_le_i32_e32 vcc, v9, v2
	v_cmp_gt_i32_e64 s[4:5], s8, v2
	s_and_b64 s[16:17], vcc, s[4:5]
	v_ashrrev_i32_e32 v3, 31, v2
	s_and_saveexec_b64 s[8:9], s[16:17]
	s_cbranch_execz .LBB105_22
; %bb.19:
	v_pk_mul_f32 v[10:11], v[22:23], s[10:11] op_sel:[0,1] op_sel_hi:[0,0]
	v_pk_fma_f32 v[6:7], v[20:21], s[10:11], v[10:11] op_sel_hi:[0,1,1] neg_lo:[0,0,1] neg_hi:[0,0,1]
	v_pk_fma_f32 v[10:11], v[20:21], s[10:11], v[10:11] op_sel_hi:[0,1,1]
	s_and_b64 vcc, exec, s[0:1]
	v_lshl_add_u64 v[4:5], v[2:3], 3, v[4:5]
	s_cbranch_vccnz .LBB105_21
; %bb.20:
	global_load_dwordx2 v[12:13], v[4:5], off
	s_mov_b32 s16, s7
	v_mov_b32_e32 v7, v11
	s_waitcnt vmcnt(0)
	v_pk_mul_f32 v[10:11], v[12:13], s[16:17] op_sel:[1,0] op_sel_hi:[0,0]
	v_pk_fma_f32 v[20:21], v[12:13], s[6:7], v[10:11] neg_lo:[0,0,1] neg_hi:[0,0,1]
	v_pk_fma_f32 v[10:11], v[12:13], s[6:7], v[10:11] op_sel_hi:[1,0,1]
	s_nop 0
	v_mov_b32_e32 v21, v11
	v_pk_add_f32 v[6:7], v[6:7], v[20:21]
	s_nop 0
	v_mov_b32_e32 v11, v7
.LBB105_21:
	v_mov_b32_e32 v7, v11
	global_store_dwordx2 v[4:5], v[6:7], off
.LBB105_22:
	s_or_b64 exec, exec, s[8:9]
	v_add_u32_e32 v9, 16, v9
	v_mad_i64_i32 v[4:5], s[8:9], v9, s14, 0
	v_cmp_le_i32_e32 vcc, v9, v0
	v_lshl_add_u64 v[4:5], v[4:5], 3, s[12:13]
	s_and_b64 s[8:9], vcc, s[2:3]
	s_and_saveexec_b64 s[2:3], s[8:9]
	s_cbranch_execz .LBB105_26
; %bb.23:
	v_pk_mul_f32 v[10:11], v[18:19], s[10:11] op_sel:[0,1] op_sel_hi:[0,0]
	v_pk_fma_f32 v[6:7], v[16:17], s[10:11], v[10:11] op_sel_hi:[0,1,1] neg_lo:[0,0,1] neg_hi:[0,0,1]
	v_pk_fma_f32 v[10:11], v[16:17], s[10:11], v[10:11] op_sel_hi:[0,1,1]
	s_and_b64 vcc, exec, s[0:1]
	v_lshl_add_u64 v[0:1], v[0:1], 3, v[4:5]
	s_cbranch_vccnz .LBB105_25
; %bb.24:
	global_load_dwordx2 v[12:13], v[0:1], off
	s_mov_b32 s8, s7
	v_mov_b32_e32 v7, v11
	s_waitcnt vmcnt(0)
	v_pk_mul_f32 v[10:11], v[12:13], s[8:9] op_sel:[1,0] op_sel_hi:[0,0]
	v_pk_fma_f32 v[16:17], v[12:13], s[6:7], v[10:11] neg_lo:[0,0,1] neg_hi:[0,0,1]
	v_pk_fma_f32 v[10:11], v[12:13], s[6:7], v[10:11] op_sel_hi:[1,0,1]
	s_nop 0
	v_mov_b32_e32 v17, v11
	v_pk_add_f32 v[6:7], v[6:7], v[16:17]
	s_nop 0
	v_mov_b32_e32 v11, v7
.LBB105_25:
	v_mov_b32_e32 v7, v11
	global_store_dwordx2 v[0:1], v[6:7], off
.LBB105_26:
	s_or_b64 exec, exec, s[2:3]
	v_cmp_le_i32_e32 vcc, v9, v2
	s_and_b64 s[2:3], vcc, s[4:5]
	s_and_saveexec_b64 s[4:5], s[2:3]
	s_cbranch_execz .LBB105_30
; %bb.27:
	v_pk_mul_f32 v[6:7], v[14:15], s[10:11] op_sel:[0,1] op_sel_hi:[0,0]
	v_pk_fma_f32 v[0:1], v[8:9], s[10:11], v[6:7] op_sel_hi:[0,1,1] neg_lo:[0,0,1] neg_hi:[0,0,1]
	v_pk_fma_f32 v[6:7], v[8:9], s[10:11], v[6:7] op_sel_hi:[0,1,1]
	s_and_b64 vcc, exec, s[0:1]
	v_lshl_add_u64 v[2:3], v[2:3], 3, v[4:5]
	s_cbranch_vccnz .LBB105_29
; %bb.28:
	global_load_dwordx2 v[4:5], v[2:3], off
	s_mov_b32 s0, s7
	v_mov_b32_e32 v1, v7
	s_waitcnt vmcnt(0)
	v_pk_mul_f32 v[6:7], v[4:5], s[0:1] op_sel:[1,0] op_sel_hi:[0,0]
	v_pk_fma_f32 v[8:9], v[4:5], s[6:7], v[6:7] neg_lo:[0,0,1] neg_hi:[0,0,1]
	v_pk_fma_f32 v[4:5], v[4:5], s[6:7], v[6:7] op_sel_hi:[1,0,1]
	s_nop 0
	v_mov_b32_e32 v9, v5
	v_pk_add_f32 v[0:1], v[0:1], v[8:9]
	s_nop 0
	v_mov_b32_e32 v7, v1
.LBB105_29:
	v_mov_b32_e32 v1, v7
	global_store_dwordx2 v[2:3], v[0:1], off
.LBB105_30:
	s_endpgm
	.section	.rodata,"a",@progbits
	.p2align	6, 0x0
	.amdhsa_kernel _ZL29rocblas_internal_gemmt_kernelIiLi16ELi32ELi8ELc67ELc78ELc76ELb1ELb0E19rocblas_complex_numIfES1_PKS1_PS1_EviT_T9_T10_S5_lS7_S5_lS6_T11_S5_li
		.amdhsa_group_segment_fixed_size 4096
		.amdhsa_private_segment_fixed_size 0
		.amdhsa_kernarg_size 100
		.amdhsa_user_sgpr_count 2
		.amdhsa_user_sgpr_dispatch_ptr 0
		.amdhsa_user_sgpr_queue_ptr 0
		.amdhsa_user_sgpr_kernarg_segment_ptr 1
		.amdhsa_user_sgpr_dispatch_id 0
		.amdhsa_user_sgpr_kernarg_preload_length 0
		.amdhsa_user_sgpr_kernarg_preload_offset 0
		.amdhsa_user_sgpr_private_segment_size 0
		.amdhsa_uses_dynamic_stack 0
		.amdhsa_enable_private_segment 0
		.amdhsa_system_sgpr_workgroup_id_x 1
		.amdhsa_system_sgpr_workgroup_id_y 1
		.amdhsa_system_sgpr_workgroup_id_z 1
		.amdhsa_system_sgpr_workgroup_info 0
		.amdhsa_system_vgpr_workitem_id 1
		.amdhsa_next_free_vgpr 54
		.amdhsa_next_free_sgpr 27
		.amdhsa_accum_offset 56
		.amdhsa_reserve_vcc 1
		.amdhsa_float_round_mode_32 0
		.amdhsa_float_round_mode_16_64 0
		.amdhsa_float_denorm_mode_32 3
		.amdhsa_float_denorm_mode_16_64 3
		.amdhsa_dx10_clamp 1
		.amdhsa_ieee_mode 1
		.amdhsa_fp16_overflow 0
		.amdhsa_tg_split 0
		.amdhsa_exception_fp_ieee_invalid_op 0
		.amdhsa_exception_fp_denorm_src 0
		.amdhsa_exception_fp_ieee_div_zero 0
		.amdhsa_exception_fp_ieee_overflow 0
		.amdhsa_exception_fp_ieee_underflow 0
		.amdhsa_exception_fp_ieee_inexact 0
		.amdhsa_exception_int_div_zero 0
	.end_amdhsa_kernel
	.section	.text._ZL29rocblas_internal_gemmt_kernelIiLi16ELi32ELi8ELc67ELc78ELc76ELb1ELb0E19rocblas_complex_numIfES1_PKS1_PS1_EviT_T9_T10_S5_lS7_S5_lS6_T11_S5_li,"axG",@progbits,_ZL29rocblas_internal_gemmt_kernelIiLi16ELi32ELi8ELc67ELc78ELc76ELb1ELb0E19rocblas_complex_numIfES1_PKS1_PS1_EviT_T9_T10_S5_lS7_S5_lS6_T11_S5_li,comdat
.Lfunc_end105:
	.size	_ZL29rocblas_internal_gemmt_kernelIiLi16ELi32ELi8ELc67ELc78ELc76ELb1ELb0E19rocblas_complex_numIfES1_PKS1_PS1_EviT_T9_T10_S5_lS7_S5_lS6_T11_S5_li, .Lfunc_end105-_ZL29rocblas_internal_gemmt_kernelIiLi16ELi32ELi8ELc67ELc78ELc76ELb1ELb0E19rocblas_complex_numIfES1_PKS1_PS1_EviT_T9_T10_S5_lS7_S5_lS6_T11_S5_li
                                        ; -- End function
	.set _ZL29rocblas_internal_gemmt_kernelIiLi16ELi32ELi8ELc67ELc78ELc76ELb1ELb0E19rocblas_complex_numIfES1_PKS1_PS1_EviT_T9_T10_S5_lS7_S5_lS6_T11_S5_li.num_vgpr, 54
	.set _ZL29rocblas_internal_gemmt_kernelIiLi16ELi32ELi8ELc67ELc78ELc76ELb1ELb0E19rocblas_complex_numIfES1_PKS1_PS1_EviT_T9_T10_S5_lS7_S5_lS6_T11_S5_li.num_agpr, 0
	.set _ZL29rocblas_internal_gemmt_kernelIiLi16ELi32ELi8ELc67ELc78ELc76ELb1ELb0E19rocblas_complex_numIfES1_PKS1_PS1_EviT_T9_T10_S5_lS7_S5_lS6_T11_S5_li.numbered_sgpr, 27
	.set _ZL29rocblas_internal_gemmt_kernelIiLi16ELi32ELi8ELc67ELc78ELc76ELb1ELb0E19rocblas_complex_numIfES1_PKS1_PS1_EviT_T9_T10_S5_lS7_S5_lS6_T11_S5_li.num_named_barrier, 0
	.set _ZL29rocblas_internal_gemmt_kernelIiLi16ELi32ELi8ELc67ELc78ELc76ELb1ELb0E19rocblas_complex_numIfES1_PKS1_PS1_EviT_T9_T10_S5_lS7_S5_lS6_T11_S5_li.private_seg_size, 0
	.set _ZL29rocblas_internal_gemmt_kernelIiLi16ELi32ELi8ELc67ELc78ELc76ELb1ELb0E19rocblas_complex_numIfES1_PKS1_PS1_EviT_T9_T10_S5_lS7_S5_lS6_T11_S5_li.uses_vcc, 1
	.set _ZL29rocblas_internal_gemmt_kernelIiLi16ELi32ELi8ELc67ELc78ELc76ELb1ELb0E19rocblas_complex_numIfES1_PKS1_PS1_EviT_T9_T10_S5_lS7_S5_lS6_T11_S5_li.uses_flat_scratch, 0
	.set _ZL29rocblas_internal_gemmt_kernelIiLi16ELi32ELi8ELc67ELc78ELc76ELb1ELb0E19rocblas_complex_numIfES1_PKS1_PS1_EviT_T9_T10_S5_lS7_S5_lS6_T11_S5_li.has_dyn_sized_stack, 0
	.set _ZL29rocblas_internal_gemmt_kernelIiLi16ELi32ELi8ELc67ELc78ELc76ELb1ELb0E19rocblas_complex_numIfES1_PKS1_PS1_EviT_T9_T10_S5_lS7_S5_lS6_T11_S5_li.has_recursion, 0
	.set _ZL29rocblas_internal_gemmt_kernelIiLi16ELi32ELi8ELc67ELc78ELc76ELb1ELb0E19rocblas_complex_numIfES1_PKS1_PS1_EviT_T9_T10_S5_lS7_S5_lS6_T11_S5_li.has_indirect_call, 0
	.section	.AMDGPU.csdata,"",@progbits
; Kernel info:
; codeLenInByte = 2488
; TotalNumSgprs: 33
; NumVgprs: 54
; NumAgprs: 0
; TotalNumVgprs: 54
; ScratchSize: 0
; MemoryBound: 0
; FloatMode: 240
; IeeeMode: 1
; LDSByteSize: 4096 bytes/workgroup (compile time only)
; SGPRBlocks: 4
; VGPRBlocks: 6
; NumSGPRsForWavesPerEU: 33
; NumVGPRsForWavesPerEU: 54
; AccumOffset: 56
; Occupancy: 8
; WaveLimiterHint : 0
; COMPUTE_PGM_RSRC2:SCRATCH_EN: 0
; COMPUTE_PGM_RSRC2:USER_SGPR: 2
; COMPUTE_PGM_RSRC2:TRAP_HANDLER: 0
; COMPUTE_PGM_RSRC2:TGID_X_EN: 1
; COMPUTE_PGM_RSRC2:TGID_Y_EN: 1
; COMPUTE_PGM_RSRC2:TGID_Z_EN: 1
; COMPUTE_PGM_RSRC2:TIDIG_COMP_CNT: 1
; COMPUTE_PGM_RSRC3_GFX90A:ACCUM_OFFSET: 13
; COMPUTE_PGM_RSRC3_GFX90A:TG_SPLIT: 0
	.section	.text._ZL29rocblas_internal_gemmt_kernelIiLi16ELi32ELi8ELc67ELc84ELc76ELb1ELb0E19rocblas_complex_numIfES1_PKS1_PS1_EviT_T9_T10_S5_lS7_S5_lS6_T11_S5_li,"axG",@progbits,_ZL29rocblas_internal_gemmt_kernelIiLi16ELi32ELi8ELc67ELc84ELc76ELb1ELb0E19rocblas_complex_numIfES1_PKS1_PS1_EviT_T9_T10_S5_lS7_S5_lS6_T11_S5_li,comdat
	.globl	_ZL29rocblas_internal_gemmt_kernelIiLi16ELi32ELi8ELc67ELc84ELc76ELb1ELb0E19rocblas_complex_numIfES1_PKS1_PS1_EviT_T9_T10_S5_lS7_S5_lS6_T11_S5_li ; -- Begin function _ZL29rocblas_internal_gemmt_kernelIiLi16ELi32ELi8ELc67ELc84ELc76ELb1ELb0E19rocblas_complex_numIfES1_PKS1_PS1_EviT_T9_T10_S5_lS7_S5_lS6_T11_S5_li
	.p2align	8
	.type	_ZL29rocblas_internal_gemmt_kernelIiLi16ELi32ELi8ELc67ELc84ELc76ELb1ELb0E19rocblas_complex_numIfES1_PKS1_PS1_EviT_T9_T10_S5_lS7_S5_lS6_T11_S5_li,@function
_ZL29rocblas_internal_gemmt_kernelIiLi16ELi32ELi8ELc67ELc84ELc76ELb1ELb0E19rocblas_complex_numIfES1_PKS1_PS1_EviT_T9_T10_S5_lS7_S5_lS6_T11_S5_li: ; @_ZL29rocblas_internal_gemmt_kernelIiLi16ELi32ELi8ELc67ELc84ELc76ELb1ELb0E19rocblas_complex_numIfES1_PKS1_PS1_EviT_T9_T10_S5_lS7_S5_lS6_T11_S5_li
; %bb.0:
	s_load_dwordx2 s[6:7], s[0:1], 0x40
	s_load_dwordx4 s[8:11], s[0:1], 0x0
	s_waitcnt lgkmcnt(0)
	s_and_b32 s5, s7, 0x7fffffff
	s_cmp_eq_u32 s5, 0
	v_cmp_eq_f32_e64 s[12:13], s6, 1.0
	s_cselect_b64 s[16:17], -1, 0
	s_and_b64 s[12:13], s[12:13], s[16:17]
	s_and_b64 vcc, exec, s[12:13]
	s_cbranch_vccnz .LBB106_2
; %bb.1:
	s_mov_b64 s[12:13], -1
	s_cbranch_execz .LBB106_3
	s_branch .LBB106_4
.LBB106_2:
	s_mov_b64 s[12:13], 0
.LBB106_3:
	s_cmp_lg_u32 s9, 0
	v_cmp_neq_f32_e64 s[14:15], s10, 0
	v_cmp_neq_f32_e64 s[18:19], s11, 0
	s_cselect_b64 s[12:13], -1, 0
	s_or_b64 s[14:15], s[14:15], s[18:19]
	s_and_b64 s[12:13], s[12:13], s[14:15]
.LBB106_4:
	s_andn2_b64 vcc, exec, s[12:13]
	s_cbranch_vccnz .LBB106_30
; %bb.5:
	s_lshl_b32 s5, s2, 5
	s_lshl_b32 s18, s3, 5
	v_cmp_eq_f32_e64 s[2:3], s10, 0
	v_cmp_eq_f32_e64 s[12:13], s11, 0
	s_and_b64 s[2:3], s[2:3], s[12:13]
	s_cmp_lt_i32 s9, 1
	s_cselect_b64 s[12:13], -1, 0
	s_or_b64 s[2:3], s[2:3], s[12:13]
	v_and_b32_e32 v15, 0x3ff, v0
	v_bfe_u32 v17, v0, 10, 10
	s_mov_b32 s19, 0
	v_mov_b32_e32 v24, 0
	s_and_b64 vcc, exec, s[2:3]
	v_mov_b32_e32 v26, 0
	v_mov_b32_e32 v20, 0
	;; [unrolled: 1-line block ×7, first 2 shown]
	s_cbranch_vccnz .LBB106_14
; %bb.6:
	v_lshl_add_u32 v1, v17, 4, v15
	v_and_b32_e32 v3, 31, v1
	v_lshrrev_b32_e32 v21, 5, v1
	v_lshrrev_b32_e32 v2, 3, v1
	v_or_b32_e32 v1, s5, v3
	v_and_b32_e32 v19, 7, v15
	s_load_dwordx4 s[12:15], s[0:1], 0x20
	s_load_dword s20, s[0:1], 0x30
	s_load_dwordx2 s[22:23], s[0:1], 0x10
	s_load_dword s26, s[0:1], 0x18
	s_load_dwordx2 s[24:25], s[0:1], 0x38
	v_cmp_gt_i32_e64 s[2:3], s8, v1
	v_lshlrev_b32_e32 v1, 3, v3
	v_lshl_or_b32 v23, v21, 8, v1
	v_lshlrev_b32_e32 v1, 3, v19
	v_add_u32_e32 v0, s18, v2
	v_lshl_or_b32 v1, v2, 6, v1
	v_mov_b32_e32 v2, 0x800
	v_lshl_add_u32 v28, v17, 6, v2
	v_add_u32_e32 v2, s5, v3
	s_waitcnt lgkmcnt(0)
	v_mad_i64_i32 v[2:3], s[26:27], s26, v2, 0
	s_mul_i32 s13, s13, s4
	s_mul_hi_u32 s26, s12, s4
	s_add_i32 s13, s26, s13
	s_mul_i32 s12, s12, s4
	s_lshl_b64 s[12:13], s[12:13], 3
	v_lshl_add_u64 v[2:3], v[2:3], 3, s[12:13]
	v_lshlrev_b32_e32 v8, 3, v21
	v_mov_b32_e32 v9, 0
	v_lshl_add_u64 v[2:3], v[2:3], 0, v[8:9]
	v_lshl_add_u64 v[2:3], s[22:23], 0, v[2:3]
	;; [unrolled: 1-line block ×3, first 2 shown]
	s_mul_i32 s12, s25, s4
	s_mul_hi_u32 s13, s24, s4
	v_mad_i64_i32 v[2:3], s[22:23], s20, v19, 0
	s_add_i32 s13, s13, s12
	s_mul_i32 s12, s24, s4
	v_lshlrev_b64 v[2:3], 3, v[2:3]
	v_add_u32_e32 v25, 0x800, v1
	v_ashrrev_i32_e32 v1, 31, v0
	v_lshl_add_u64 v[2:3], s[12:13], 3, v[2:3]
	s_ashr_i32 s21, s20, 31
	v_cmp_gt_i32_e32 vcc, s8, v0
	v_lshl_add_u64 v[0:1], v[0:1], 3, v[2:3]
	v_lshlrev_b32_e32 v27, 3, v15
	v_lshl_add_u64 v[12:13], s[14:15], 0, v[0:1]
	s_lshl_b64 s[12:13], s[20:21], 6
	s_xor_b64 s[14:15], s[2:3], -1
	v_mov_b32_e32 v14, 0
	v_mov_b32_e32 v8, 0
	;; [unrolled: 1-line block ×8, first 2 shown]
	s_branch .LBB106_8
.LBB106_7:                              ;   in Loop: Header=BB106_8 Depth=1
	s_or_b64 exec, exec, s[2:3]
	s_waitcnt vmcnt(0)
	ds_write_b64 v25, v[2:3]
	s_waitcnt lgkmcnt(0)
	s_barrier
	ds_read2_b64 v[30:33], v27 offset1:16
	ds_read_b128 v[34:37], v28
	ds_read_b128 v[38:41], v28 offset:16
	ds_read_b128 v[4:7], v28 offset:32
	;; [unrolled: 1-line block ×3, first 2 shown]
	ds_read2_b64 v[50:53], v27 offset0:32 offset1:48
	s_waitcnt lgkmcnt(4)
	v_mul_f32_e32 v42, v34, v31
	v_fmac_f32_e32 v42, v35, v30
	v_add_f32_e32 v26, v26, v42
	ds_read_b128 v[42:45], v28 offset:1024
	ds_read_b128 v[46:49], v28 offset:1040
	v_mul_f32_e32 v29, v35, v31
	v_fma_f32 v29, v34, v30, -v29
	v_add_f32_e32 v24, v24, v29
	v_mul_f32_e32 v29, v35, v33
	v_fma_f32 v29, v34, v32, -v29
	v_add_f32_e32 v20, v20, v29
	s_waitcnt lgkmcnt(1)
	v_mul_f32_e32 v29, v43, v31
	v_mul_f32_e32 v31, v42, v31
	v_fma_f32 v29, v42, v30, -v29
	v_fmac_f32_e32 v31, v43, v30
	v_mul_f32_e32 v30, v42, v33
	v_fmac_f32_e32 v30, v43, v32
	v_add_f32_e32 v14, v14, v30
	v_mul_f32_e32 v30, v36, v51
	v_mul_f32_e32 v34, v34, v33
	v_fmac_f32_e32 v30, v37, v50
	v_fmac_f32_e32 v34, v35, v32
	v_add_f32_e32 v26, v26, v30
	v_mul_f32_e32 v30, v36, v53
	v_add_f32_e32 v22, v22, v34
	v_add_f32_e32 v16, v16, v29
	v_mul_f32_e32 v29, v43, v33
	v_fmac_f32_e32 v30, v37, v52
	v_fma_f32 v29, v42, v32, -v29
	v_add_f32_e32 v22, v22, v30
	v_mul_f32_e32 v30, v44, v51
	v_add_f32_e32 v18, v18, v31
	v_add_f32_e32 v8, v8, v29
	v_mul_f32_e32 v29, v37, v51
	v_fmac_f32_e32 v30, v45, v50
	v_fma_f32 v29, v36, v50, -v29
	v_add_f32_e32 v18, v18, v30
	ds_read2_b64 v[30:33], v27 offset0:64 offset1:80
	v_add_f32_e32 v24, v24, v29
	v_mul_f32_e32 v29, v37, v53
	v_fma_f32 v29, v36, v52, -v29
	v_add_f32_e32 v20, v20, v29
	v_mul_f32_e32 v29, v45, v51
	v_mul_f32_e32 v34, v44, v53
	v_fma_f32 v29, v44, v50, -v29
	v_fmac_f32_e32 v34, v45, v52
	v_add_f32_e32 v16, v16, v29
	v_mul_f32_e32 v29, v45, v53
	v_add_f32_e32 v14, v14, v34
	s_waitcnt lgkmcnt(0)
	v_mul_f32_e32 v34, v38, v31
	v_fma_f32 v29, v44, v52, -v29
	v_fmac_f32_e32 v34, v39, v30
	v_add_f32_e32 v8, v8, v29
	v_mul_f32_e32 v29, v39, v31
	v_add_f32_e32 v26, v26, v34
	v_mul_f32_e32 v34, v38, v33
	v_fma_f32 v29, v38, v30, -v29
	v_fmac_f32_e32 v34, v39, v32
	v_add_f32_e32 v24, v24, v29
	v_mul_f32_e32 v29, v39, v33
	v_add_f32_e32 v22, v22, v34
	ds_read2_b64 v[34:37], v27 offset0:96 offset1:112
	v_fma_f32 v29, v38, v32, -v29
	v_add_f32_e32 v20, v20, v29
	v_mul_f32_e32 v29, v47, v31
	v_mul_f32_e32 v31, v46, v31
	v_fma_f32 v29, v46, v30, -v29
	v_fmac_f32_e32 v31, v47, v30
	v_mul_f32_e32 v30, v46, v33
	v_fmac_f32_e32 v30, v47, v32
	v_add_f32_e32 v14, v14, v30
	s_waitcnt lgkmcnt(0)
	v_mul_f32_e32 v30, v40, v35
	v_fmac_f32_e32 v30, v41, v34
	v_add_f32_e32 v16, v16, v29
	v_mul_f32_e32 v29, v47, v33
	v_add_f32_e32 v26, v26, v30
	v_mul_f32_e32 v30, v40, v37
	v_fma_f32 v29, v46, v32, -v29
	v_fmac_f32_e32 v30, v41, v36
	v_add_f32_e32 v8, v8, v29
	v_mul_f32_e32 v29, v41, v35
	v_add_f32_e32 v22, v22, v30
	v_mul_f32_e32 v30, v48, v35
	v_add_f32_e32 v18, v18, v31
	v_fma_f32 v29, v40, v34, -v29
	v_fmac_f32_e32 v30, v49, v34
	v_add_f32_e32 v24, v24, v29
	v_mul_f32_e32 v29, v41, v37
	v_add_f32_e32 v18, v18, v30
	ds_read2_b64 v[30:33], v27 offset0:128 offset1:144
	v_fma_f32 v29, v40, v36, -v29
	v_add_f32_e32 v20, v20, v29
	v_mul_f32_e32 v29, v49, v35
	v_fma_f32 v29, v48, v34, -v29
	v_mul_f32_e32 v34, v48, v37
	v_fmac_f32_e32 v34, v49, v36
	v_add_f32_e32 v14, v14, v34
	s_waitcnt lgkmcnt(0)
	v_mul_f32_e32 v34, v4, v31
	v_add_f32_e32 v16, v16, v29
	v_mul_f32_e32 v29, v49, v37
	v_fmac_f32_e32 v34, v5, v30
	v_fma_f32 v29, v48, v36, -v29
	v_add_f32_e32 v26, v26, v34
	ds_read_b128 v[34:37], v28 offset:1056
	ds_read_b128 v[38:41], v28 offset:1072
	v_add_f32_e32 v8, v8, v29
	v_mul_f32_e32 v29, v5, v31
	v_fma_f32 v29, v4, v30, -v29
	v_add_f32_e32 v24, v24, v29
	v_mul_f32_e32 v29, v5, v33
	v_fma_f32 v29, v4, v32, -v29
	v_mul_f32_e32 v4, v4, v33
	ds_read2_b64 v[42:45], v27 offset0:160 offset1:176
	v_fmac_f32_e32 v4, v5, v32
	v_add_f32_e32 v5, v20, v29
	s_waitcnt lgkmcnt(2)
	v_mul_f32_e32 v20, v35, v31
	v_fma_f32 v20, v34, v30, -v20
	v_add_f32_e32 v16, v16, v20
	v_mul_f32_e32 v20, v35, v33
	v_add_f32_e32 v4, v22, v4
	v_mul_f32_e32 v22, v34, v31
	v_fma_f32 v20, v34, v32, -v20
	v_fmac_f32_e32 v22, v35, v30
	v_add_f32_e32 v8, v8, v20
	s_waitcnt lgkmcnt(0)
	v_mul_f32_e32 v20, v7, v43
	v_add_f32_e32 v18, v18, v22
	v_mul_f32_e32 v22, v34, v33
	v_fma_f32 v20, v6, v42, -v20
	v_fmac_f32_e32 v22, v35, v32
	v_add_f32_e32 v20, v24, v20
	v_mul_f32_e32 v24, v7, v45
	v_add_f32_e32 v14, v14, v22
	v_mul_f32_e32 v22, v6, v43
	v_fma_f32 v24, v6, v44, -v24
	v_mul_f32_e32 v6, v6, v45
	v_fmac_f32_e32 v22, v7, v42
	v_fmac_f32_e32 v6, v7, v44
	v_add_f32_e32 v22, v26, v22
	v_add_f32_e32 v26, v4, v6
	v_mul_f32_e32 v4, v37, v43
	v_add_f32_e32 v24, v5, v24
	v_fma_f32 v4, v36, v42, -v4
	v_mul_f32_e32 v5, v36, v43
	v_fmac_f32_e32 v5, v37, v42
	v_add_f32_e32 v16, v16, v4
	v_mul_f32_e32 v4, v37, v45
	v_add_f32_e32 v18, v18, v5
	v_fma_f32 v29, v36, v44, -v4
	ds_read2_b64 v[4:7], v27 offset0:192 offset1:208
	v_mul_f32_e32 v30, v36, v45
	v_fmac_f32_e32 v30, v37, v44
	v_add_f32_e32 v8, v8, v29
	v_add_f32_e32 v14, v14, v30
	s_waitcnt lgkmcnt(0)
	v_mul_f32_e32 v29, v1, v5
	v_fma_f32 v29, v0, v4, -v29
	v_mul_f32_e32 v30, v0, v5
	v_fmac_f32_e32 v30, v1, v4
	v_add_f32_e32 v20, v20, v29
	v_mul_f32_e32 v29, v1, v7
	v_add_f32_e32 v22, v22, v30
	v_fma_f32 v29, v0, v6, -v29
	v_mul_f32_e32 v0, v0, v7
	ds_read2_b64 v[30:33], v27 offset0:224 offset1:240
	v_fmac_f32_e32 v0, v1, v6
	v_add_f32_e32 v1, v24, v29
	v_mul_f32_e32 v24, v39, v5
	v_fma_f32 v24, v38, v4, -v24
	v_mul_f32_e32 v5, v38, v5
	v_fmac_f32_e32 v5, v39, v4
	v_add_f32_e32 v4, v16, v24
	v_mul_f32_e32 v16, v39, v7
	v_fma_f32 v16, v38, v6, -v16
	v_mul_f32_e32 v7, v38, v7
	v_fmac_f32_e32 v7, v39, v6
	v_add_f32_e32 v6, v8, v16
	s_waitcnt lgkmcnt(0)
	v_mul_f32_e32 v8, v3, v31
	v_fma_f32 v8, v2, v30, -v8
	v_add_f32_e32 v24, v20, v8
	v_mul_f32_e32 v8, v3, v33
	v_add_f32_e32 v7, v14, v7
	v_mul_f32_e32 v14, v2, v31
	v_fma_f32 v8, v2, v32, -v8
	v_mul_f32_e32 v2, v2, v33
	v_add_f32_e32 v0, v26, v0
	v_fmac_f32_e32 v14, v3, v30
	v_fmac_f32_e32 v2, v3, v32
	v_add_f32_e32 v26, v22, v14
	v_add_f32_e32 v20, v1, v8
	;; [unrolled: 1-line block ×3, first 2 shown]
	v_mul_f32_e32 v0, v41, v31
	v_mul_f32_e32 v1, v40, v31
	v_add_f32_e32 v5, v18, v5
	v_fma_f32 v0, v40, v30, -v0
	v_fmac_f32_e32 v1, v41, v30
	v_add_f32_e32 v16, v4, v0
	v_add_f32_e32 v18, v5, v1
	v_mul_f32_e32 v0, v41, v33
	v_mul_f32_e32 v1, v40, v33
	v_fma_f32 v0, v40, v32, -v0
	v_fmac_f32_e32 v1, v41, v32
	s_add_i32 s19, s19, 8
	v_add_f32_e32 v8, v6, v0
	v_add_f32_e32 v14, v7, v1
	v_lshl_add_u64 v[10:11], v[10:11], 0, 64
	s_cmp_lt_i32 s19, s9
	v_lshl_add_u64 v[12:13], v[12:13], 0, s[12:13]
	s_barrier
	s_cbranch_scc0 .LBB106_14
.LBB106_8:                              ; =>This Inner Loop Header: Depth=1
	v_add_u32_e32 v0, s19, v21
	v_cmp_le_i32_e64 s[2:3], s9, v0
	s_or_b64 s[2:3], s[14:15], s[2:3]
	s_and_saveexec_b64 s[20:21], s[2:3]
	s_xor_b64 s[2:3], exec, s[20:21]
; %bb.9:                                ;   in Loop: Header=BB106_8 Depth=1
	ds_write_b32 v23, v9
; %bb.10:                               ;   in Loop: Header=BB106_8 Depth=1
	s_or_saveexec_b64 s[2:3], s[2:3]
	v_mov_b32_e32 v2, 0
	v_mov_b32_e32 v0, 0
	s_xor_b64 exec, exec, s[2:3]
	s_cbranch_execz .LBB106_12
; %bb.11:                               ;   in Loop: Header=BB106_8 Depth=1
	global_load_dwordx2 v[4:5], v[10:11], off offset:-4
	s_waitcnt vmcnt(0)
	v_xor_b32_e32 v0, 0x80000000, v5
	ds_write_b32 v23, v4
.LBB106_12:                             ;   in Loop: Header=BB106_8 Depth=1
	s_or_b64 exec, exec, s[2:3]
	ds_write_b32 v23, v0 offset:4
	v_add_u32_e32 v0, s19, v19
	v_cmp_gt_i32_e64 s[2:3], s9, v0
	s_and_b64 s[20:21], s[2:3], vcc
	v_mov_b32_e32 v3, 0
	s_and_saveexec_b64 s[2:3], s[20:21]
	s_cbranch_execz .LBB106_7
; %bb.13:                               ;   in Loop: Header=BB106_8 Depth=1
	global_load_dwordx2 v[2:3], v[12:13], off
	s_branch .LBB106_7
.LBB106_14:
	s_load_dwordx2 s[2:3], s[0:1], 0x58
	s_load_dwordx2 s[12:13], s[0:1], 0x48
	s_load_dword s14, s[0:1], 0x50
	v_add_u32_e32 v0, s5, v15
	v_add_u32_e32 v9, s18, v17
	s_waitcnt lgkmcnt(0)
	s_mul_i32 s1, s3, s4
	s_mul_hi_u32 s3, s2, s4
	s_mul_i32 s0, s2, s4
	s_add_i32 s1, s3, s1
	s_lshl_b64 s[0:1], s[0:1], 3
	s_add_u32 s12, s12, s0
	s_addc_u32 s13, s13, s1
	v_cmp_neq_f32_e64 s[0:1], s6, 0
	s_xor_b64 s[4:5], s[16:17], -1
	v_mad_i64_i32 v[2:3], s[2:3], v9, s14, 0
	s_or_b64 s[0:1], s[0:1], s[4:5]
	v_lshl_add_u64 v[4:5], v[2:3], 3, s[12:13]
	v_cmp_le_i32_e32 vcc, v9, v0
	v_cmp_gt_i32_e64 s[2:3], s8, v0
	v_cndmask_b32_e64 v2, 0, 1, s[0:1]
	s_and_b64 s[16:17], vcc, s[2:3]
	v_ashrrev_i32_e32 v1, 31, v0
	v_cmp_ne_u32_e64 s[0:1], 1, v2
	s_and_saveexec_b64 s[4:5], s[16:17]
	s_cbranch_execz .LBB106_18
; %bb.15:
	v_pk_mul_f32 v[6:7], v[26:27], s[10:11] op_sel:[0,1] op_sel_hi:[0,0]
	v_pk_fma_f32 v[2:3], v[24:25], s[10:11], v[6:7] op_sel_hi:[0,1,1] neg_lo:[0,0,1] neg_hi:[0,0,1]
	v_pk_fma_f32 v[10:11], v[24:25], s[10:11], v[6:7] op_sel_hi:[0,1,1]
	s_and_b64 vcc, exec, s[0:1]
	v_lshl_add_u64 v[6:7], v[0:1], 3, v[4:5]
	s_cbranch_vccnz .LBB106_17
; %bb.16:
	global_load_dwordx2 v[12:13], v[6:7], off
	s_mov_b32 s16, s7
	v_mov_b32_e32 v3, v11
	s_waitcnt vmcnt(0)
	v_pk_mul_f32 v[10:11], v[12:13], s[16:17] op_sel:[1,0] op_sel_hi:[0,0]
	v_pk_fma_f32 v[24:25], v[12:13], s[6:7], v[10:11] neg_lo:[0,0,1] neg_hi:[0,0,1]
	v_pk_fma_f32 v[10:11], v[12:13], s[6:7], v[10:11] op_sel_hi:[1,0,1]
	s_nop 0
	v_mov_b32_e32 v25, v11
	v_pk_add_f32 v[2:3], v[2:3], v[24:25]
	s_nop 0
	v_mov_b32_e32 v11, v3
.LBB106_17:
	v_mov_b32_e32 v3, v11
	global_store_dwordx2 v[6:7], v[2:3], off
.LBB106_18:
	s_or_b64 exec, exec, s[4:5]
	v_add_u32_e32 v2, 16, v0
	v_cmp_le_i32_e32 vcc, v9, v2
	v_cmp_gt_i32_e64 s[4:5], s8, v2
	s_and_b64 s[16:17], vcc, s[4:5]
	v_ashrrev_i32_e32 v3, 31, v2
	s_and_saveexec_b64 s[8:9], s[16:17]
	s_cbranch_execz .LBB106_22
; %bb.19:
	v_pk_mul_f32 v[10:11], v[22:23], s[10:11] op_sel:[0,1] op_sel_hi:[0,0]
	v_pk_fma_f32 v[6:7], v[20:21], s[10:11], v[10:11] op_sel_hi:[0,1,1] neg_lo:[0,0,1] neg_hi:[0,0,1]
	v_pk_fma_f32 v[10:11], v[20:21], s[10:11], v[10:11] op_sel_hi:[0,1,1]
	s_and_b64 vcc, exec, s[0:1]
	v_lshl_add_u64 v[4:5], v[2:3], 3, v[4:5]
	s_cbranch_vccnz .LBB106_21
; %bb.20:
	global_load_dwordx2 v[12:13], v[4:5], off
	s_mov_b32 s16, s7
	v_mov_b32_e32 v7, v11
	s_waitcnt vmcnt(0)
	v_pk_mul_f32 v[10:11], v[12:13], s[16:17] op_sel:[1,0] op_sel_hi:[0,0]
	v_pk_fma_f32 v[20:21], v[12:13], s[6:7], v[10:11] neg_lo:[0,0,1] neg_hi:[0,0,1]
	v_pk_fma_f32 v[10:11], v[12:13], s[6:7], v[10:11] op_sel_hi:[1,0,1]
	s_nop 0
	v_mov_b32_e32 v21, v11
	v_pk_add_f32 v[6:7], v[6:7], v[20:21]
	s_nop 0
	v_mov_b32_e32 v11, v7
.LBB106_21:
	v_mov_b32_e32 v7, v11
	global_store_dwordx2 v[4:5], v[6:7], off
.LBB106_22:
	s_or_b64 exec, exec, s[8:9]
	v_add_u32_e32 v9, 16, v9
	v_mad_i64_i32 v[4:5], s[8:9], v9, s14, 0
	v_cmp_le_i32_e32 vcc, v9, v0
	v_lshl_add_u64 v[4:5], v[4:5], 3, s[12:13]
	s_and_b64 s[8:9], vcc, s[2:3]
	s_and_saveexec_b64 s[2:3], s[8:9]
	s_cbranch_execz .LBB106_26
; %bb.23:
	v_pk_mul_f32 v[10:11], v[18:19], s[10:11] op_sel:[0,1] op_sel_hi:[0,0]
	v_pk_fma_f32 v[6:7], v[16:17], s[10:11], v[10:11] op_sel_hi:[0,1,1] neg_lo:[0,0,1] neg_hi:[0,0,1]
	v_pk_fma_f32 v[10:11], v[16:17], s[10:11], v[10:11] op_sel_hi:[0,1,1]
	s_and_b64 vcc, exec, s[0:1]
	v_lshl_add_u64 v[0:1], v[0:1], 3, v[4:5]
	s_cbranch_vccnz .LBB106_25
; %bb.24:
	global_load_dwordx2 v[12:13], v[0:1], off
	s_mov_b32 s8, s7
	v_mov_b32_e32 v7, v11
	s_waitcnt vmcnt(0)
	v_pk_mul_f32 v[10:11], v[12:13], s[8:9] op_sel:[1,0] op_sel_hi:[0,0]
	v_pk_fma_f32 v[16:17], v[12:13], s[6:7], v[10:11] neg_lo:[0,0,1] neg_hi:[0,0,1]
	v_pk_fma_f32 v[10:11], v[12:13], s[6:7], v[10:11] op_sel_hi:[1,0,1]
	s_nop 0
	v_mov_b32_e32 v17, v11
	v_pk_add_f32 v[6:7], v[6:7], v[16:17]
	s_nop 0
	v_mov_b32_e32 v11, v7
.LBB106_25:
	v_mov_b32_e32 v7, v11
	global_store_dwordx2 v[0:1], v[6:7], off
.LBB106_26:
	s_or_b64 exec, exec, s[2:3]
	v_cmp_le_i32_e32 vcc, v9, v2
	s_and_b64 s[2:3], vcc, s[4:5]
	s_and_saveexec_b64 s[4:5], s[2:3]
	s_cbranch_execz .LBB106_30
; %bb.27:
	v_pk_mul_f32 v[6:7], v[14:15], s[10:11] op_sel:[0,1] op_sel_hi:[0,0]
	v_pk_fma_f32 v[0:1], v[8:9], s[10:11], v[6:7] op_sel_hi:[0,1,1] neg_lo:[0,0,1] neg_hi:[0,0,1]
	v_pk_fma_f32 v[6:7], v[8:9], s[10:11], v[6:7] op_sel_hi:[0,1,1]
	s_and_b64 vcc, exec, s[0:1]
	v_lshl_add_u64 v[2:3], v[2:3], 3, v[4:5]
	s_cbranch_vccnz .LBB106_29
; %bb.28:
	global_load_dwordx2 v[4:5], v[2:3], off
	s_mov_b32 s0, s7
	v_mov_b32_e32 v1, v7
	s_waitcnt vmcnt(0)
	v_pk_mul_f32 v[6:7], v[4:5], s[0:1] op_sel:[1,0] op_sel_hi:[0,0]
	v_pk_fma_f32 v[8:9], v[4:5], s[6:7], v[6:7] neg_lo:[0,0,1] neg_hi:[0,0,1]
	v_pk_fma_f32 v[4:5], v[4:5], s[6:7], v[6:7] op_sel_hi:[1,0,1]
	s_nop 0
	v_mov_b32_e32 v9, v5
	v_pk_add_f32 v[0:1], v[0:1], v[8:9]
	s_nop 0
	v_mov_b32_e32 v7, v1
.LBB106_29:
	v_mov_b32_e32 v1, v7
	global_store_dwordx2 v[2:3], v[0:1], off
.LBB106_30:
	s_endpgm
	.section	.rodata,"a",@progbits
	.p2align	6, 0x0
	.amdhsa_kernel _ZL29rocblas_internal_gemmt_kernelIiLi16ELi32ELi8ELc67ELc84ELc76ELb1ELb0E19rocblas_complex_numIfES1_PKS1_PS1_EviT_T9_T10_S5_lS7_S5_lS6_T11_S5_li
		.amdhsa_group_segment_fixed_size 4096
		.amdhsa_private_segment_fixed_size 0
		.amdhsa_kernarg_size 100
		.amdhsa_user_sgpr_count 2
		.amdhsa_user_sgpr_dispatch_ptr 0
		.amdhsa_user_sgpr_queue_ptr 0
		.amdhsa_user_sgpr_kernarg_segment_ptr 1
		.amdhsa_user_sgpr_dispatch_id 0
		.amdhsa_user_sgpr_kernarg_preload_length 0
		.amdhsa_user_sgpr_kernarg_preload_offset 0
		.amdhsa_user_sgpr_private_segment_size 0
		.amdhsa_uses_dynamic_stack 0
		.amdhsa_enable_private_segment 0
		.amdhsa_system_sgpr_workgroup_id_x 1
		.amdhsa_system_sgpr_workgroup_id_y 1
		.amdhsa_system_sgpr_workgroup_id_z 1
		.amdhsa_system_sgpr_workgroup_info 0
		.amdhsa_system_vgpr_workitem_id 1
		.amdhsa_next_free_vgpr 54
		.amdhsa_next_free_sgpr 28
		.amdhsa_accum_offset 56
		.amdhsa_reserve_vcc 1
		.amdhsa_float_round_mode_32 0
		.amdhsa_float_round_mode_16_64 0
		.amdhsa_float_denorm_mode_32 3
		.amdhsa_float_denorm_mode_16_64 3
		.amdhsa_dx10_clamp 1
		.amdhsa_ieee_mode 1
		.amdhsa_fp16_overflow 0
		.amdhsa_tg_split 0
		.amdhsa_exception_fp_ieee_invalid_op 0
		.amdhsa_exception_fp_denorm_src 0
		.amdhsa_exception_fp_ieee_div_zero 0
		.amdhsa_exception_fp_ieee_overflow 0
		.amdhsa_exception_fp_ieee_underflow 0
		.amdhsa_exception_fp_ieee_inexact 0
		.amdhsa_exception_int_div_zero 0
	.end_amdhsa_kernel
	.section	.text._ZL29rocblas_internal_gemmt_kernelIiLi16ELi32ELi8ELc67ELc84ELc76ELb1ELb0E19rocblas_complex_numIfES1_PKS1_PS1_EviT_T9_T10_S5_lS7_S5_lS6_T11_S5_li,"axG",@progbits,_ZL29rocblas_internal_gemmt_kernelIiLi16ELi32ELi8ELc67ELc84ELc76ELb1ELb0E19rocblas_complex_numIfES1_PKS1_PS1_EviT_T9_T10_S5_lS7_S5_lS6_T11_S5_li,comdat
.Lfunc_end106:
	.size	_ZL29rocblas_internal_gemmt_kernelIiLi16ELi32ELi8ELc67ELc84ELc76ELb1ELb0E19rocblas_complex_numIfES1_PKS1_PS1_EviT_T9_T10_S5_lS7_S5_lS6_T11_S5_li, .Lfunc_end106-_ZL29rocblas_internal_gemmt_kernelIiLi16ELi32ELi8ELc67ELc84ELc76ELb1ELb0E19rocblas_complex_numIfES1_PKS1_PS1_EviT_T9_T10_S5_lS7_S5_lS6_T11_S5_li
                                        ; -- End function
	.set _ZL29rocblas_internal_gemmt_kernelIiLi16ELi32ELi8ELc67ELc84ELc76ELb1ELb0E19rocblas_complex_numIfES1_PKS1_PS1_EviT_T9_T10_S5_lS7_S5_lS6_T11_S5_li.num_vgpr, 54
	.set _ZL29rocblas_internal_gemmt_kernelIiLi16ELi32ELi8ELc67ELc84ELc76ELb1ELb0E19rocblas_complex_numIfES1_PKS1_PS1_EviT_T9_T10_S5_lS7_S5_lS6_T11_S5_li.num_agpr, 0
	.set _ZL29rocblas_internal_gemmt_kernelIiLi16ELi32ELi8ELc67ELc84ELc76ELb1ELb0E19rocblas_complex_numIfES1_PKS1_PS1_EviT_T9_T10_S5_lS7_S5_lS6_T11_S5_li.numbered_sgpr, 28
	.set _ZL29rocblas_internal_gemmt_kernelIiLi16ELi32ELi8ELc67ELc84ELc76ELb1ELb0E19rocblas_complex_numIfES1_PKS1_PS1_EviT_T9_T10_S5_lS7_S5_lS6_T11_S5_li.num_named_barrier, 0
	.set _ZL29rocblas_internal_gemmt_kernelIiLi16ELi32ELi8ELc67ELc84ELc76ELb1ELb0E19rocblas_complex_numIfES1_PKS1_PS1_EviT_T9_T10_S5_lS7_S5_lS6_T11_S5_li.private_seg_size, 0
	.set _ZL29rocblas_internal_gemmt_kernelIiLi16ELi32ELi8ELc67ELc84ELc76ELb1ELb0E19rocblas_complex_numIfES1_PKS1_PS1_EviT_T9_T10_S5_lS7_S5_lS6_T11_S5_li.uses_vcc, 1
	.set _ZL29rocblas_internal_gemmt_kernelIiLi16ELi32ELi8ELc67ELc84ELc76ELb1ELb0E19rocblas_complex_numIfES1_PKS1_PS1_EviT_T9_T10_S5_lS7_S5_lS6_T11_S5_li.uses_flat_scratch, 0
	.set _ZL29rocblas_internal_gemmt_kernelIiLi16ELi32ELi8ELc67ELc84ELc76ELb1ELb0E19rocblas_complex_numIfES1_PKS1_PS1_EviT_T9_T10_S5_lS7_S5_lS6_T11_S5_li.has_dyn_sized_stack, 0
	.set _ZL29rocblas_internal_gemmt_kernelIiLi16ELi32ELi8ELc67ELc84ELc76ELb1ELb0E19rocblas_complex_numIfES1_PKS1_PS1_EviT_T9_T10_S5_lS7_S5_lS6_T11_S5_li.has_recursion, 0
	.set _ZL29rocblas_internal_gemmt_kernelIiLi16ELi32ELi8ELc67ELc84ELc76ELb1ELb0E19rocblas_complex_numIfES1_PKS1_PS1_EviT_T9_T10_S5_lS7_S5_lS6_T11_S5_li.has_indirect_call, 0
	.section	.AMDGPU.csdata,"",@progbits
; Kernel info:
; codeLenInByte = 2500
; TotalNumSgprs: 34
; NumVgprs: 54
; NumAgprs: 0
; TotalNumVgprs: 54
; ScratchSize: 0
; MemoryBound: 0
; FloatMode: 240
; IeeeMode: 1
; LDSByteSize: 4096 bytes/workgroup (compile time only)
; SGPRBlocks: 4
; VGPRBlocks: 6
; NumSGPRsForWavesPerEU: 34
; NumVGPRsForWavesPerEU: 54
; AccumOffset: 56
; Occupancy: 8
; WaveLimiterHint : 0
; COMPUTE_PGM_RSRC2:SCRATCH_EN: 0
; COMPUTE_PGM_RSRC2:USER_SGPR: 2
; COMPUTE_PGM_RSRC2:TRAP_HANDLER: 0
; COMPUTE_PGM_RSRC2:TGID_X_EN: 1
; COMPUTE_PGM_RSRC2:TGID_Y_EN: 1
; COMPUTE_PGM_RSRC2:TGID_Z_EN: 1
; COMPUTE_PGM_RSRC2:TIDIG_COMP_CNT: 1
; COMPUTE_PGM_RSRC3_GFX90A:ACCUM_OFFSET: 13
; COMPUTE_PGM_RSRC3_GFX90A:TG_SPLIT: 0
	.section	.text._ZL29rocblas_internal_gemmt_kernelIiLi16ELi32ELi8ELc67ELc67ELc76ELb1ELb1E19rocblas_complex_numIfES1_PKS1_PS1_EviT_T9_T10_S5_lS7_S5_lS6_T11_S5_li,"axG",@progbits,_ZL29rocblas_internal_gemmt_kernelIiLi16ELi32ELi8ELc67ELc67ELc76ELb1ELb1E19rocblas_complex_numIfES1_PKS1_PS1_EviT_T9_T10_S5_lS7_S5_lS6_T11_S5_li,comdat
	.globl	_ZL29rocblas_internal_gemmt_kernelIiLi16ELi32ELi8ELc67ELc67ELc76ELb1ELb1E19rocblas_complex_numIfES1_PKS1_PS1_EviT_T9_T10_S5_lS7_S5_lS6_T11_S5_li ; -- Begin function _ZL29rocblas_internal_gemmt_kernelIiLi16ELi32ELi8ELc67ELc67ELc76ELb1ELb1E19rocblas_complex_numIfES1_PKS1_PS1_EviT_T9_T10_S5_lS7_S5_lS6_T11_S5_li
	.p2align	8
	.type	_ZL29rocblas_internal_gemmt_kernelIiLi16ELi32ELi8ELc67ELc67ELc76ELb1ELb1E19rocblas_complex_numIfES1_PKS1_PS1_EviT_T9_T10_S5_lS7_S5_lS6_T11_S5_li,@function
_ZL29rocblas_internal_gemmt_kernelIiLi16ELi32ELi8ELc67ELc67ELc76ELb1ELb1E19rocblas_complex_numIfES1_PKS1_PS1_EviT_T9_T10_S5_lS7_S5_lS6_T11_S5_li: ; @_ZL29rocblas_internal_gemmt_kernelIiLi16ELi32ELi8ELc67ELc67ELc76ELb1ELb1E19rocblas_complex_numIfES1_PKS1_PS1_EviT_T9_T10_S5_lS7_S5_lS6_T11_S5_li
; %bb.0:
	s_load_dwordx2 s[6:7], s[0:1], 0x40
	s_load_dwordx4 s[8:11], s[0:1], 0x0
	s_waitcnt lgkmcnt(0)
	s_and_b32 s5, s7, 0x7fffffff
	s_cmp_eq_u32 s5, 0
	v_cmp_eq_f32_e64 s[12:13], s6, 1.0
	s_cselect_b64 s[16:17], -1, 0
	s_and_b64 s[12:13], s[12:13], s[16:17]
	s_and_b64 vcc, exec, s[12:13]
	s_cbranch_vccnz .LBB107_2
; %bb.1:
	s_mov_b64 s[12:13], -1
	s_cbranch_execz .LBB107_3
	s_branch .LBB107_4
.LBB107_2:
	s_mov_b64 s[12:13], 0
.LBB107_3:
	s_cmp_lg_u32 s9, 0
	v_cmp_neq_f32_e64 s[14:15], s10, 0
	v_cmp_neq_f32_e64 s[18:19], s11, 0
	s_cselect_b64 s[12:13], -1, 0
	s_or_b64 s[14:15], s[14:15], s[18:19]
	s_and_b64 s[12:13], s[12:13], s[14:15]
.LBB107_4:
	s_andn2_b64 vcc, exec, s[12:13]
	s_cbranch_vccnz .LBB107_32
; %bb.5:
	s_lshl_b32 s5, s2, 5
	s_lshl_b32 s20, s3, 5
	v_cmp_eq_f32_e64 s[2:3], s10, 0
	v_cmp_eq_f32_e64 s[12:13], s11, 0
	s_and_b64 s[2:3], s[2:3], s[12:13]
	s_cmp_lt_i32 s9, 1
	s_cselect_b64 s[12:13], -1, 0
	s_or_b64 s[2:3], s[2:3], s[12:13]
	v_and_b32_e32 v15, 0x3ff, v0
	v_bfe_u32 v17, v0, 10, 10
	s_mov_b32 s21, 0
	v_mov_b32_e32 v24, 0
	s_and_b64 vcc, exec, s[2:3]
	v_mov_b32_e32 v26, 0
	v_mov_b32_e32 v20, 0
	;; [unrolled: 1-line block ×7, first 2 shown]
	s_cbranch_vccnz .LBB107_16
; %bb.6:
	v_lshl_add_u32 v1, v17, 4, v15
	v_and_b32_e32 v3, 31, v1
	v_lshrrev_b32_e32 v21, 5, v1
	v_lshrrev_b32_e32 v2, 3, v1
	v_or_b32_e32 v1, s5, v3
	v_and_b32_e32 v19, 7, v15
	s_load_dwordx4 s[12:15], s[0:1], 0x20
	s_load_dword s18, s[0:1], 0x30
	s_load_dwordx2 s[22:23], s[0:1], 0x10
	s_load_dword s26, s[0:1], 0x18
	s_load_dwordx2 s[24:25], s[0:1], 0x38
	v_cmp_gt_i32_e32 vcc, s8, v1
	v_lshlrev_b32_e32 v1, 3, v3
	v_lshl_or_b32 v23, v21, 8, v1
	v_lshlrev_b32_e32 v1, 3, v19
	v_add_u32_e32 v0, s20, v2
	v_lshl_or_b32 v1, v2, 6, v1
	v_mov_b32_e32 v2, 0x800
	v_lshl_add_u32 v28, v17, 6, v2
	v_add_u32_e32 v2, s5, v3
	s_waitcnt lgkmcnt(0)
	v_mad_i64_i32 v[2:3], s[26:27], s26, v2, 0
	s_mul_i32 s13, s13, s4
	s_mul_hi_u32 s26, s12, s4
	s_add_i32 s13, s26, s13
	s_mul_i32 s12, s12, s4
	s_lshl_b64 s[12:13], s[12:13], 3
	v_lshl_add_u64 v[2:3], v[2:3], 3, s[12:13]
	v_lshlrev_b32_e32 v8, 3, v21
	v_mov_b32_e32 v9, 0
	v_lshl_add_u64 v[2:3], v[2:3], 0, v[8:9]
	v_lshl_add_u64 v[10:11], s[22:23], 0, v[2:3]
	s_mul_i32 s12, s25, s4
	s_mul_hi_u32 s13, s24, s4
	v_mad_i64_i32 v[2:3], s[22:23], s18, v19, 0
	s_add_i32 s13, s13, s12
	s_mul_i32 s12, s24, s4
	v_lshlrev_b64 v[2:3], 3, v[2:3]
	v_add_u32_e32 v25, 0x800, v1
	v_ashrrev_i32_e32 v1, 31, v0
	v_lshl_add_u64 v[2:3], s[12:13], 3, v[2:3]
	v_cmp_gt_i32_e64 s[2:3], s8, v0
	v_lshl_add_u64 v[0:1], v[0:1], 3, v[2:3]
	s_ashr_i32 s19, s18, 31
	v_lshl_add_u64 v[0:1], s[14:15], 0, v[0:1]
	v_lshlrev_b32_e32 v27, 3, v15
	v_lshl_add_u64 v[12:13], v[0:1], 0, 4
	s_lshl_b64 s[12:13], s[18:19], 6
	s_xor_b64 s[14:15], vcc, -1
	s_xor_b64 s[2:3], s[2:3], -1
	v_mov_b32_e32 v14, 0
	v_mov_b32_e32 v8, 0
	;; [unrolled: 1-line block ×8, first 2 shown]
	s_branch .LBB107_8
.LBB107_7:                              ;   in Loop: Header=BB107_8 Depth=1
	s_or_b64 exec, exec, s[18:19]
	ds_write_b32 v25, v0 offset:4
	s_waitcnt lgkmcnt(0)
	s_barrier
	ds_read2_b64 v[30:33], v27 offset1:16
	ds_read_b128 v[34:37], v28
	ds_read_b128 v[38:41], v28 offset:16
	ds_read_b128 v[4:7], v28 offset:32
	ds_read_b128 v[0:3], v28 offset:48
	ds_read2_b64 v[50:53], v27 offset0:32 offset1:48
	s_waitcnt lgkmcnt(4)
	v_mul_f32_e32 v42, v34, v31
	v_fmac_f32_e32 v42, v35, v30
	v_add_f32_e32 v26, v26, v42
	ds_read_b128 v[42:45], v28 offset:1024
	ds_read_b128 v[46:49], v28 offset:1040
	v_mul_f32_e32 v29, v35, v31
	v_fma_f32 v29, v34, v30, -v29
	v_add_f32_e32 v24, v24, v29
	v_mul_f32_e32 v29, v35, v33
	v_fma_f32 v29, v34, v32, -v29
	v_add_f32_e32 v20, v20, v29
	s_waitcnt lgkmcnt(1)
	v_mul_f32_e32 v29, v43, v31
	v_mul_f32_e32 v31, v42, v31
	v_fma_f32 v29, v42, v30, -v29
	v_fmac_f32_e32 v31, v43, v30
	v_mul_f32_e32 v30, v42, v33
	v_fmac_f32_e32 v30, v43, v32
	v_add_f32_e32 v14, v14, v30
	v_mul_f32_e32 v30, v36, v51
	v_mul_f32_e32 v34, v34, v33
	v_fmac_f32_e32 v30, v37, v50
	v_fmac_f32_e32 v34, v35, v32
	v_add_f32_e32 v26, v26, v30
	v_mul_f32_e32 v30, v36, v53
	v_add_f32_e32 v22, v22, v34
	v_add_f32_e32 v16, v16, v29
	v_mul_f32_e32 v29, v43, v33
	v_fmac_f32_e32 v30, v37, v52
	v_fma_f32 v29, v42, v32, -v29
	v_add_f32_e32 v22, v22, v30
	v_mul_f32_e32 v30, v44, v51
	v_add_f32_e32 v18, v18, v31
	v_add_f32_e32 v8, v8, v29
	v_mul_f32_e32 v29, v37, v51
	v_fmac_f32_e32 v30, v45, v50
	v_fma_f32 v29, v36, v50, -v29
	v_add_f32_e32 v18, v18, v30
	ds_read2_b64 v[30:33], v27 offset0:64 offset1:80
	v_add_f32_e32 v24, v24, v29
	v_mul_f32_e32 v29, v37, v53
	v_fma_f32 v29, v36, v52, -v29
	v_add_f32_e32 v20, v20, v29
	v_mul_f32_e32 v29, v45, v51
	v_mul_f32_e32 v34, v44, v53
	v_fma_f32 v29, v44, v50, -v29
	v_fmac_f32_e32 v34, v45, v52
	v_add_f32_e32 v16, v16, v29
	v_mul_f32_e32 v29, v45, v53
	v_add_f32_e32 v14, v14, v34
	s_waitcnt lgkmcnt(0)
	v_mul_f32_e32 v34, v38, v31
	v_fma_f32 v29, v44, v52, -v29
	v_fmac_f32_e32 v34, v39, v30
	v_add_f32_e32 v8, v8, v29
	v_mul_f32_e32 v29, v39, v31
	v_add_f32_e32 v26, v26, v34
	v_mul_f32_e32 v34, v38, v33
	v_fma_f32 v29, v38, v30, -v29
	v_fmac_f32_e32 v34, v39, v32
	v_add_f32_e32 v24, v24, v29
	v_mul_f32_e32 v29, v39, v33
	v_add_f32_e32 v22, v22, v34
	ds_read2_b64 v[34:37], v27 offset0:96 offset1:112
	v_fma_f32 v29, v38, v32, -v29
	v_add_f32_e32 v20, v20, v29
	v_mul_f32_e32 v29, v47, v31
	v_mul_f32_e32 v31, v46, v31
	v_fma_f32 v29, v46, v30, -v29
	v_fmac_f32_e32 v31, v47, v30
	v_mul_f32_e32 v30, v46, v33
	v_fmac_f32_e32 v30, v47, v32
	v_add_f32_e32 v14, v14, v30
	s_waitcnt lgkmcnt(0)
	v_mul_f32_e32 v30, v40, v35
	v_fmac_f32_e32 v30, v41, v34
	v_add_f32_e32 v16, v16, v29
	v_mul_f32_e32 v29, v47, v33
	v_add_f32_e32 v26, v26, v30
	v_mul_f32_e32 v30, v40, v37
	v_fma_f32 v29, v46, v32, -v29
	v_fmac_f32_e32 v30, v41, v36
	v_add_f32_e32 v8, v8, v29
	v_mul_f32_e32 v29, v41, v35
	v_add_f32_e32 v22, v22, v30
	v_mul_f32_e32 v30, v48, v35
	v_add_f32_e32 v18, v18, v31
	v_fma_f32 v29, v40, v34, -v29
	v_fmac_f32_e32 v30, v49, v34
	v_add_f32_e32 v24, v24, v29
	v_mul_f32_e32 v29, v41, v37
	v_add_f32_e32 v18, v18, v30
	ds_read2_b64 v[30:33], v27 offset0:128 offset1:144
	v_fma_f32 v29, v40, v36, -v29
	v_add_f32_e32 v20, v20, v29
	v_mul_f32_e32 v29, v49, v35
	v_fma_f32 v29, v48, v34, -v29
	v_mul_f32_e32 v34, v48, v37
	v_fmac_f32_e32 v34, v49, v36
	v_add_f32_e32 v14, v14, v34
	s_waitcnt lgkmcnt(0)
	v_mul_f32_e32 v34, v4, v31
	v_add_f32_e32 v16, v16, v29
	v_mul_f32_e32 v29, v49, v37
	v_fmac_f32_e32 v34, v5, v30
	v_fma_f32 v29, v48, v36, -v29
	v_add_f32_e32 v26, v26, v34
	ds_read_b128 v[34:37], v28 offset:1056
	ds_read_b128 v[38:41], v28 offset:1072
	v_add_f32_e32 v8, v8, v29
	v_mul_f32_e32 v29, v5, v31
	v_fma_f32 v29, v4, v30, -v29
	v_add_f32_e32 v24, v24, v29
	v_mul_f32_e32 v29, v5, v33
	v_fma_f32 v29, v4, v32, -v29
	v_mul_f32_e32 v4, v4, v33
	ds_read2_b64 v[42:45], v27 offset0:160 offset1:176
	v_fmac_f32_e32 v4, v5, v32
	v_add_f32_e32 v5, v20, v29
	s_waitcnt lgkmcnt(2)
	v_mul_f32_e32 v20, v35, v31
	v_fma_f32 v20, v34, v30, -v20
	v_add_f32_e32 v16, v16, v20
	v_mul_f32_e32 v20, v35, v33
	v_add_f32_e32 v4, v22, v4
	v_mul_f32_e32 v22, v34, v31
	v_fma_f32 v20, v34, v32, -v20
	v_fmac_f32_e32 v22, v35, v30
	v_add_f32_e32 v8, v8, v20
	s_waitcnt lgkmcnt(0)
	v_mul_f32_e32 v20, v7, v43
	v_add_f32_e32 v18, v18, v22
	v_mul_f32_e32 v22, v34, v33
	v_fma_f32 v20, v6, v42, -v20
	v_fmac_f32_e32 v22, v35, v32
	v_add_f32_e32 v20, v24, v20
	v_mul_f32_e32 v24, v7, v45
	v_add_f32_e32 v14, v14, v22
	v_mul_f32_e32 v22, v6, v43
	v_fma_f32 v24, v6, v44, -v24
	v_mul_f32_e32 v6, v6, v45
	v_fmac_f32_e32 v22, v7, v42
	v_fmac_f32_e32 v6, v7, v44
	v_add_f32_e32 v22, v26, v22
	v_add_f32_e32 v26, v4, v6
	v_mul_f32_e32 v4, v37, v43
	v_add_f32_e32 v24, v5, v24
	v_fma_f32 v4, v36, v42, -v4
	v_mul_f32_e32 v5, v36, v43
	v_fmac_f32_e32 v5, v37, v42
	v_add_f32_e32 v16, v16, v4
	v_mul_f32_e32 v4, v37, v45
	v_add_f32_e32 v18, v18, v5
	v_fma_f32 v29, v36, v44, -v4
	ds_read2_b64 v[4:7], v27 offset0:192 offset1:208
	v_mul_f32_e32 v30, v36, v45
	v_fmac_f32_e32 v30, v37, v44
	v_add_f32_e32 v8, v8, v29
	v_add_f32_e32 v14, v14, v30
	s_waitcnt lgkmcnt(0)
	v_mul_f32_e32 v29, v1, v5
	v_fma_f32 v29, v0, v4, -v29
	v_mul_f32_e32 v30, v0, v5
	v_fmac_f32_e32 v30, v1, v4
	v_add_f32_e32 v20, v20, v29
	v_mul_f32_e32 v29, v1, v7
	v_add_f32_e32 v22, v22, v30
	v_fma_f32 v29, v0, v6, -v29
	v_mul_f32_e32 v0, v0, v7
	ds_read2_b64 v[30:33], v27 offset0:224 offset1:240
	v_fmac_f32_e32 v0, v1, v6
	v_add_f32_e32 v1, v24, v29
	v_mul_f32_e32 v24, v39, v5
	v_fma_f32 v24, v38, v4, -v24
	v_mul_f32_e32 v5, v38, v5
	v_fmac_f32_e32 v5, v39, v4
	v_add_f32_e32 v4, v16, v24
	v_mul_f32_e32 v16, v39, v7
	v_fma_f32 v16, v38, v6, -v16
	v_mul_f32_e32 v7, v38, v7
	v_fmac_f32_e32 v7, v39, v6
	v_add_f32_e32 v6, v8, v16
	s_waitcnt lgkmcnt(0)
	v_mul_f32_e32 v8, v3, v31
	v_fma_f32 v8, v2, v30, -v8
	v_add_f32_e32 v24, v20, v8
	v_mul_f32_e32 v8, v3, v33
	v_add_f32_e32 v7, v14, v7
	v_mul_f32_e32 v14, v2, v31
	v_fma_f32 v8, v2, v32, -v8
	v_mul_f32_e32 v2, v2, v33
	v_add_f32_e32 v0, v26, v0
	v_fmac_f32_e32 v14, v3, v30
	v_fmac_f32_e32 v2, v3, v32
	v_add_f32_e32 v26, v22, v14
	v_add_f32_e32 v20, v1, v8
	;; [unrolled: 1-line block ×3, first 2 shown]
	v_mul_f32_e32 v0, v41, v31
	v_mul_f32_e32 v1, v40, v31
	v_add_f32_e32 v5, v18, v5
	v_fma_f32 v0, v40, v30, -v0
	v_fmac_f32_e32 v1, v41, v30
	v_add_f32_e32 v16, v4, v0
	v_add_f32_e32 v18, v5, v1
	v_mul_f32_e32 v0, v41, v33
	v_mul_f32_e32 v1, v40, v33
	v_fma_f32 v0, v40, v32, -v0
	v_fmac_f32_e32 v1, v41, v32
	s_add_i32 s21, s21, 8
	v_add_f32_e32 v8, v6, v0
	v_add_f32_e32 v14, v7, v1
	v_lshl_add_u64 v[10:11], v[10:11], 0, 64
	s_cmp_lt_i32 s21, s9
	v_lshl_add_u64 v[12:13], v[12:13], 0, s[12:13]
	s_barrier
	s_cbranch_scc0 .LBB107_16
.LBB107_8:                              ; =>This Inner Loop Header: Depth=1
	v_add_u32_e32 v0, s21, v21
	v_cmp_le_i32_e32 vcc, s9, v0
	s_or_b64 s[18:19], s[14:15], vcc
	s_and_saveexec_b64 s[22:23], s[18:19]
	s_xor_b64 s[18:19], exec, s[22:23]
; %bb.9:                                ;   in Loop: Header=BB107_8 Depth=1
	ds_write_b32 v23, v9
; %bb.10:                               ;   in Loop: Header=BB107_8 Depth=1
	s_or_saveexec_b64 s[18:19], s[18:19]
	v_mov_b32_e32 v0, 0
	s_xor_b64 exec, exec, s[18:19]
	s_cbranch_execz .LBB107_12
; %bb.11:                               ;   in Loop: Header=BB107_8 Depth=1
	global_load_dwordx2 v[2:3], v[10:11], off
	s_waitcnt vmcnt(0)
	v_xor_b32_e32 v0, 0x80000000, v3
	ds_write_b32 v23, v2
.LBB107_12:                             ;   in Loop: Header=BB107_8 Depth=1
	s_or_b64 exec, exec, s[18:19]
	ds_write_b32 v23, v0 offset:4
	v_add_u32_e32 v0, s21, v19
	v_cmp_le_i32_e32 vcc, s9, v0
	s_or_b64 s[18:19], vcc, s[2:3]
	s_and_saveexec_b64 s[22:23], s[18:19]
	s_xor_b64 s[18:19], exec, s[22:23]
; %bb.13:                               ;   in Loop: Header=BB107_8 Depth=1
	ds_write_b32 v25, v9
; %bb.14:                               ;   in Loop: Header=BB107_8 Depth=1
	s_or_saveexec_b64 s[18:19], s[18:19]
	v_mov_b32_e32 v0, 0
	s_xor_b64 exec, exec, s[18:19]
	s_cbranch_execz .LBB107_7
; %bb.15:                               ;   in Loop: Header=BB107_8 Depth=1
	global_load_dwordx2 v[2:3], v[12:13], off offset:-4
	s_waitcnt vmcnt(0)
	v_xor_b32_e32 v0, 0x80000000, v3
	ds_write_b32 v25, v2
	s_branch .LBB107_7
.LBB107_16:
	s_load_dwordx2 s[2:3], s[0:1], 0x58
	s_load_dwordx2 s[12:13], s[0:1], 0x48
	s_load_dword s14, s[0:1], 0x50
	v_add_u32_e32 v0, s5, v15
	v_add_u32_e32 v9, s20, v17
	s_waitcnt lgkmcnt(0)
	s_mul_i32 s1, s3, s4
	s_mul_hi_u32 s3, s2, s4
	s_mul_i32 s0, s2, s4
	s_add_i32 s1, s3, s1
	s_lshl_b64 s[0:1], s[0:1], 3
	s_add_u32 s12, s12, s0
	s_addc_u32 s13, s13, s1
	v_cmp_neq_f32_e64 s[0:1], s6, 0
	s_xor_b64 s[4:5], s[16:17], -1
	v_mad_i64_i32 v[2:3], s[2:3], v9, s14, 0
	s_or_b64 s[0:1], s[0:1], s[4:5]
	v_lshl_add_u64 v[4:5], v[2:3], 3, s[12:13]
	v_cmp_le_i32_e32 vcc, v9, v0
	v_cmp_gt_i32_e64 s[2:3], s8, v0
	v_cndmask_b32_e64 v2, 0, 1, s[0:1]
	s_and_b64 s[16:17], vcc, s[2:3]
	v_ashrrev_i32_e32 v1, 31, v0
	v_cmp_ne_u32_e64 s[0:1], 1, v2
	s_and_saveexec_b64 s[4:5], s[16:17]
	s_cbranch_execz .LBB107_20
; %bb.17:
	v_pk_mul_f32 v[6:7], v[26:27], s[10:11] op_sel:[0,1] op_sel_hi:[0,0]
	v_pk_fma_f32 v[2:3], v[24:25], s[10:11], v[6:7] op_sel_hi:[0,1,1] neg_lo:[0,0,1] neg_hi:[0,0,1]
	v_pk_fma_f32 v[10:11], v[24:25], s[10:11], v[6:7] op_sel_hi:[0,1,1]
	s_and_b64 vcc, exec, s[0:1]
	v_lshl_add_u64 v[6:7], v[0:1], 3, v[4:5]
	s_cbranch_vccnz .LBB107_19
; %bb.18:
	global_load_dwordx2 v[12:13], v[6:7], off
	s_mov_b32 s16, s7
	v_mov_b32_e32 v3, v11
	s_waitcnt vmcnt(0)
	v_pk_mul_f32 v[10:11], v[12:13], s[16:17] op_sel:[1,0] op_sel_hi:[0,0]
	v_pk_fma_f32 v[24:25], v[12:13], s[6:7], v[10:11] neg_lo:[0,0,1] neg_hi:[0,0,1]
	v_pk_fma_f32 v[10:11], v[12:13], s[6:7], v[10:11] op_sel_hi:[1,0,1]
	s_nop 0
	v_mov_b32_e32 v25, v11
	v_pk_add_f32 v[2:3], v[2:3], v[24:25]
	s_nop 0
	v_mov_b32_e32 v11, v3
.LBB107_19:
	v_mov_b32_e32 v3, v11
	global_store_dwordx2 v[6:7], v[2:3], off
.LBB107_20:
	s_or_b64 exec, exec, s[4:5]
	v_add_u32_e32 v2, 16, v0
	v_cmp_le_i32_e32 vcc, v9, v2
	v_cmp_gt_i32_e64 s[4:5], s8, v2
	s_and_b64 s[16:17], vcc, s[4:5]
	v_ashrrev_i32_e32 v3, 31, v2
	s_and_saveexec_b64 s[8:9], s[16:17]
	s_cbranch_execz .LBB107_24
; %bb.21:
	v_pk_mul_f32 v[10:11], v[22:23], s[10:11] op_sel:[0,1] op_sel_hi:[0,0]
	v_pk_fma_f32 v[6:7], v[20:21], s[10:11], v[10:11] op_sel_hi:[0,1,1] neg_lo:[0,0,1] neg_hi:[0,0,1]
	v_pk_fma_f32 v[10:11], v[20:21], s[10:11], v[10:11] op_sel_hi:[0,1,1]
	s_and_b64 vcc, exec, s[0:1]
	v_lshl_add_u64 v[4:5], v[2:3], 3, v[4:5]
	s_cbranch_vccnz .LBB107_23
; %bb.22:
	global_load_dwordx2 v[12:13], v[4:5], off
	s_mov_b32 s16, s7
	v_mov_b32_e32 v7, v11
	s_waitcnt vmcnt(0)
	v_pk_mul_f32 v[10:11], v[12:13], s[16:17] op_sel:[1,0] op_sel_hi:[0,0]
	v_pk_fma_f32 v[20:21], v[12:13], s[6:7], v[10:11] neg_lo:[0,0,1] neg_hi:[0,0,1]
	v_pk_fma_f32 v[10:11], v[12:13], s[6:7], v[10:11] op_sel_hi:[1,0,1]
	s_nop 0
	v_mov_b32_e32 v21, v11
	v_pk_add_f32 v[6:7], v[6:7], v[20:21]
	s_nop 0
	v_mov_b32_e32 v11, v7
.LBB107_23:
	v_mov_b32_e32 v7, v11
	global_store_dwordx2 v[4:5], v[6:7], off
.LBB107_24:
	s_or_b64 exec, exec, s[8:9]
	v_add_u32_e32 v9, 16, v9
	v_mad_i64_i32 v[4:5], s[8:9], v9, s14, 0
	v_cmp_le_i32_e32 vcc, v9, v0
	v_lshl_add_u64 v[4:5], v[4:5], 3, s[12:13]
	s_and_b64 s[8:9], vcc, s[2:3]
	s_and_saveexec_b64 s[2:3], s[8:9]
	s_cbranch_execz .LBB107_28
; %bb.25:
	v_pk_mul_f32 v[10:11], v[18:19], s[10:11] op_sel:[0,1] op_sel_hi:[0,0]
	v_pk_fma_f32 v[6:7], v[16:17], s[10:11], v[10:11] op_sel_hi:[0,1,1] neg_lo:[0,0,1] neg_hi:[0,0,1]
	v_pk_fma_f32 v[10:11], v[16:17], s[10:11], v[10:11] op_sel_hi:[0,1,1]
	s_and_b64 vcc, exec, s[0:1]
	v_lshl_add_u64 v[0:1], v[0:1], 3, v[4:5]
	s_cbranch_vccnz .LBB107_27
; %bb.26:
	global_load_dwordx2 v[12:13], v[0:1], off
	s_mov_b32 s8, s7
	v_mov_b32_e32 v7, v11
	s_waitcnt vmcnt(0)
	v_pk_mul_f32 v[10:11], v[12:13], s[8:9] op_sel:[1,0] op_sel_hi:[0,0]
	v_pk_fma_f32 v[16:17], v[12:13], s[6:7], v[10:11] neg_lo:[0,0,1] neg_hi:[0,0,1]
	v_pk_fma_f32 v[10:11], v[12:13], s[6:7], v[10:11] op_sel_hi:[1,0,1]
	s_nop 0
	v_mov_b32_e32 v17, v11
	v_pk_add_f32 v[6:7], v[6:7], v[16:17]
	s_nop 0
	v_mov_b32_e32 v11, v7
.LBB107_27:
	v_mov_b32_e32 v7, v11
	global_store_dwordx2 v[0:1], v[6:7], off
.LBB107_28:
	s_or_b64 exec, exec, s[2:3]
	v_cmp_le_i32_e32 vcc, v9, v2
	s_and_b64 s[2:3], vcc, s[4:5]
	s_and_saveexec_b64 s[4:5], s[2:3]
	s_cbranch_execz .LBB107_32
; %bb.29:
	v_pk_mul_f32 v[6:7], v[14:15], s[10:11] op_sel:[0,1] op_sel_hi:[0,0]
	v_pk_fma_f32 v[0:1], v[8:9], s[10:11], v[6:7] op_sel_hi:[0,1,1] neg_lo:[0,0,1] neg_hi:[0,0,1]
	v_pk_fma_f32 v[6:7], v[8:9], s[10:11], v[6:7] op_sel_hi:[0,1,1]
	s_and_b64 vcc, exec, s[0:1]
	v_lshl_add_u64 v[2:3], v[2:3], 3, v[4:5]
	s_cbranch_vccnz .LBB107_31
; %bb.30:
	global_load_dwordx2 v[4:5], v[2:3], off
	s_mov_b32 s0, s7
	v_mov_b32_e32 v1, v7
	s_waitcnt vmcnt(0)
	v_pk_mul_f32 v[6:7], v[4:5], s[0:1] op_sel:[1,0] op_sel_hi:[0,0]
	v_pk_fma_f32 v[8:9], v[4:5], s[6:7], v[6:7] neg_lo:[0,0,1] neg_hi:[0,0,1]
	v_pk_fma_f32 v[4:5], v[4:5], s[6:7], v[6:7] op_sel_hi:[1,0,1]
	s_nop 0
	v_mov_b32_e32 v9, v5
	v_pk_add_f32 v[0:1], v[0:1], v[8:9]
	s_nop 0
	v_mov_b32_e32 v7, v1
.LBB107_31:
	v_mov_b32_e32 v1, v7
	global_store_dwordx2 v[2:3], v[0:1], off
.LBB107_32:
	s_endpgm
	.section	.rodata,"a",@progbits
	.p2align	6, 0x0
	.amdhsa_kernel _ZL29rocblas_internal_gemmt_kernelIiLi16ELi32ELi8ELc67ELc67ELc76ELb1ELb1E19rocblas_complex_numIfES1_PKS1_PS1_EviT_T9_T10_S5_lS7_S5_lS6_T11_S5_li
		.amdhsa_group_segment_fixed_size 4096
		.amdhsa_private_segment_fixed_size 0
		.amdhsa_kernarg_size 100
		.amdhsa_user_sgpr_count 2
		.amdhsa_user_sgpr_dispatch_ptr 0
		.amdhsa_user_sgpr_queue_ptr 0
		.amdhsa_user_sgpr_kernarg_segment_ptr 1
		.amdhsa_user_sgpr_dispatch_id 0
		.amdhsa_user_sgpr_kernarg_preload_length 0
		.amdhsa_user_sgpr_kernarg_preload_offset 0
		.amdhsa_user_sgpr_private_segment_size 0
		.amdhsa_uses_dynamic_stack 0
		.amdhsa_enable_private_segment 0
		.amdhsa_system_sgpr_workgroup_id_x 1
		.amdhsa_system_sgpr_workgroup_id_y 1
		.amdhsa_system_sgpr_workgroup_id_z 1
		.amdhsa_system_sgpr_workgroup_info 0
		.amdhsa_system_vgpr_workitem_id 1
		.amdhsa_next_free_vgpr 54
		.amdhsa_next_free_sgpr 28
		.amdhsa_accum_offset 56
		.amdhsa_reserve_vcc 1
		.amdhsa_float_round_mode_32 0
		.amdhsa_float_round_mode_16_64 0
		.amdhsa_float_denorm_mode_32 3
		.amdhsa_float_denorm_mode_16_64 3
		.amdhsa_dx10_clamp 1
		.amdhsa_ieee_mode 1
		.amdhsa_fp16_overflow 0
		.amdhsa_tg_split 0
		.amdhsa_exception_fp_ieee_invalid_op 0
		.amdhsa_exception_fp_denorm_src 0
		.amdhsa_exception_fp_ieee_div_zero 0
		.amdhsa_exception_fp_ieee_overflow 0
		.amdhsa_exception_fp_ieee_underflow 0
		.amdhsa_exception_fp_ieee_inexact 0
		.amdhsa_exception_int_div_zero 0
	.end_amdhsa_kernel
	.section	.text._ZL29rocblas_internal_gemmt_kernelIiLi16ELi32ELi8ELc67ELc67ELc76ELb1ELb1E19rocblas_complex_numIfES1_PKS1_PS1_EviT_T9_T10_S5_lS7_S5_lS6_T11_S5_li,"axG",@progbits,_ZL29rocblas_internal_gemmt_kernelIiLi16ELi32ELi8ELc67ELc67ELc76ELb1ELb1E19rocblas_complex_numIfES1_PKS1_PS1_EviT_T9_T10_S5_lS7_S5_lS6_T11_S5_li,comdat
.Lfunc_end107:
	.size	_ZL29rocblas_internal_gemmt_kernelIiLi16ELi32ELi8ELc67ELc67ELc76ELb1ELb1E19rocblas_complex_numIfES1_PKS1_PS1_EviT_T9_T10_S5_lS7_S5_lS6_T11_S5_li, .Lfunc_end107-_ZL29rocblas_internal_gemmt_kernelIiLi16ELi32ELi8ELc67ELc67ELc76ELb1ELb1E19rocblas_complex_numIfES1_PKS1_PS1_EviT_T9_T10_S5_lS7_S5_lS6_T11_S5_li
                                        ; -- End function
	.set _ZL29rocblas_internal_gemmt_kernelIiLi16ELi32ELi8ELc67ELc67ELc76ELb1ELb1E19rocblas_complex_numIfES1_PKS1_PS1_EviT_T9_T10_S5_lS7_S5_lS6_T11_S5_li.num_vgpr, 54
	.set _ZL29rocblas_internal_gemmt_kernelIiLi16ELi32ELi8ELc67ELc67ELc76ELb1ELb1E19rocblas_complex_numIfES1_PKS1_PS1_EviT_T9_T10_S5_lS7_S5_lS6_T11_S5_li.num_agpr, 0
	.set _ZL29rocblas_internal_gemmt_kernelIiLi16ELi32ELi8ELc67ELc67ELc76ELb1ELb1E19rocblas_complex_numIfES1_PKS1_PS1_EviT_T9_T10_S5_lS7_S5_lS6_T11_S5_li.numbered_sgpr, 28
	.set _ZL29rocblas_internal_gemmt_kernelIiLi16ELi32ELi8ELc67ELc67ELc76ELb1ELb1E19rocblas_complex_numIfES1_PKS1_PS1_EviT_T9_T10_S5_lS7_S5_lS6_T11_S5_li.num_named_barrier, 0
	.set _ZL29rocblas_internal_gemmt_kernelIiLi16ELi32ELi8ELc67ELc67ELc76ELb1ELb1E19rocblas_complex_numIfES1_PKS1_PS1_EviT_T9_T10_S5_lS7_S5_lS6_T11_S5_li.private_seg_size, 0
	.set _ZL29rocblas_internal_gemmt_kernelIiLi16ELi32ELi8ELc67ELc67ELc76ELb1ELb1E19rocblas_complex_numIfES1_PKS1_PS1_EviT_T9_T10_S5_lS7_S5_lS6_T11_S5_li.uses_vcc, 1
	.set _ZL29rocblas_internal_gemmt_kernelIiLi16ELi32ELi8ELc67ELc67ELc76ELb1ELb1E19rocblas_complex_numIfES1_PKS1_PS1_EviT_T9_T10_S5_lS7_S5_lS6_T11_S5_li.uses_flat_scratch, 0
	.set _ZL29rocblas_internal_gemmt_kernelIiLi16ELi32ELi8ELc67ELc67ELc76ELb1ELb1E19rocblas_complex_numIfES1_PKS1_PS1_EviT_T9_T10_S5_lS7_S5_lS6_T11_S5_li.has_dyn_sized_stack, 0
	.set _ZL29rocblas_internal_gemmt_kernelIiLi16ELi32ELi8ELc67ELc67ELc76ELb1ELb1E19rocblas_complex_numIfES1_PKS1_PS1_EviT_T9_T10_S5_lS7_S5_lS6_T11_S5_li.has_recursion, 0
	.set _ZL29rocblas_internal_gemmt_kernelIiLi16ELi32ELi8ELc67ELc67ELc76ELb1ELb1E19rocblas_complex_numIfES1_PKS1_PS1_EviT_T9_T10_S5_lS7_S5_lS6_T11_S5_li.has_indirect_call, 0
	.section	.AMDGPU.csdata,"",@progbits
; Kernel info:
; codeLenInByte = 2528
; TotalNumSgprs: 34
; NumVgprs: 54
; NumAgprs: 0
; TotalNumVgprs: 54
; ScratchSize: 0
; MemoryBound: 0
; FloatMode: 240
; IeeeMode: 1
; LDSByteSize: 4096 bytes/workgroup (compile time only)
; SGPRBlocks: 4
; VGPRBlocks: 6
; NumSGPRsForWavesPerEU: 34
; NumVGPRsForWavesPerEU: 54
; AccumOffset: 56
; Occupancy: 8
; WaveLimiterHint : 0
; COMPUTE_PGM_RSRC2:SCRATCH_EN: 0
; COMPUTE_PGM_RSRC2:USER_SGPR: 2
; COMPUTE_PGM_RSRC2:TRAP_HANDLER: 0
; COMPUTE_PGM_RSRC2:TGID_X_EN: 1
; COMPUTE_PGM_RSRC2:TGID_Y_EN: 1
; COMPUTE_PGM_RSRC2:TGID_Z_EN: 1
; COMPUTE_PGM_RSRC2:TIDIG_COMP_CNT: 1
; COMPUTE_PGM_RSRC3_GFX90A:ACCUM_OFFSET: 13
; COMPUTE_PGM_RSRC3_GFX90A:TG_SPLIT: 0
	.section	.text._ZL29rocblas_internal_gemmt_kernelIiLi16ELi32ELi8ELc78ELc78ELc85ELb0ELb0E19rocblas_complex_numIdEPKS1_S3_PS1_EviT_T9_T10_S5_lS7_S5_lS6_T11_S5_li,"axG",@progbits,_ZL29rocblas_internal_gemmt_kernelIiLi16ELi32ELi8ELc78ELc78ELc85ELb0ELb0E19rocblas_complex_numIdEPKS1_S3_PS1_EviT_T9_T10_S5_lS7_S5_lS6_T11_S5_li,comdat
	.globl	_ZL29rocblas_internal_gemmt_kernelIiLi16ELi32ELi8ELc78ELc78ELc85ELb0ELb0E19rocblas_complex_numIdEPKS1_S3_PS1_EviT_T9_T10_S5_lS7_S5_lS6_T11_S5_li ; -- Begin function _ZL29rocblas_internal_gemmt_kernelIiLi16ELi32ELi8ELc78ELc78ELc85ELb0ELb0E19rocblas_complex_numIdEPKS1_S3_PS1_EviT_T9_T10_S5_lS7_S5_lS6_T11_S5_li
	.p2align	8
	.type	_ZL29rocblas_internal_gemmt_kernelIiLi16ELi32ELi8ELc78ELc78ELc85ELb0ELb0E19rocblas_complex_numIdEPKS1_S3_PS1_EviT_T9_T10_S5_lS7_S5_lS6_T11_S5_li,@function
_ZL29rocblas_internal_gemmt_kernelIiLi16ELi32ELi8ELc78ELc78ELc85ELb0ELb0E19rocblas_complex_numIdEPKS1_S3_PS1_EviT_T9_T10_S5_lS7_S5_lS6_T11_S5_li: ; @_ZL29rocblas_internal_gemmt_kernelIiLi16ELi32ELi8ELc78ELc78ELc85ELb0ELb0E19rocblas_complex_numIdEPKS1_S3_PS1_EviT_T9_T10_S5_lS7_S5_lS6_T11_S5_li
; %bb.0:
	s_load_dwordx4 s[16:19], s[0:1], 0x38
	s_load_dwordx4 s[20:23], s[0:1], 0x8
	s_mov_b64 s[24:25], 0
	s_waitcnt lgkmcnt(0)
	s_load_dwordx4 s[8:11], s[18:19], 0x0
	s_load_dwordx2 s[6:7], s[0:1], 0x0
	s_load_dwordx4 s[12:15], s[20:21], 0x0
	s_waitcnt lgkmcnt(0)
	v_cmp_eq_f64_e64 s[20:21], s[8:9], 1.0
	v_cmp_eq_f64_e64 s[18:19], s[10:11], 0
	s_and_b64 s[20:21], s[20:21], s[18:19]
	s_andn2_b64 vcc, exec, s[20:21]
	s_mov_b64 s[20:21], -1
	s_cbranch_vccnz .LBB108_4
; %bb.1:
	s_cmp_lg_u32 s7, 0
	s_cbranch_scc0 .LBB108_3
; %bb.2:
	v_cmp_neq_f64_e64 s[20:21], s[12:13], 0
	v_cmp_neq_f64_e64 s[24:25], s[14:15], 0
	s_or_b64 s[24:25], s[20:21], s[24:25]
.LBB108_3:
	s_mov_b64 s[20:21], s[24:25]
.LBB108_4:
	s_and_b64 vcc, exec, s[20:21]
	s_cbranch_vccz .LBB108_32
; %bb.5:
	s_lshl_b32 s5, s2, 5
	s_lshl_b32 s28, s3, 5
	v_cmp_eq_f64_e64 s[2:3], s[12:13], 0
	v_cmp_eq_f64_e64 s[24:25], s[14:15], 0
	s_load_dwordx2 s[20:21], s[0:1], 0x48
	s_and_b64 s[2:3], s[2:3], s[24:25]
	s_cmp_lt_i32 s7, 1
	s_cselect_b64 s[24:25], -1, 0
	s_or_b64 s[2:3], s[2:3], s[24:25]
	v_and_b32_e32 v25, 0x3ff, v0
	v_bfe_u32 v24, v0, 10, 10
	s_mov_b32 s29, 0
	v_mov_b64_e32 v[20:21], 0
	s_and_b64 vcc, exec, s[2:3]
	v_mov_b64_e32 v[22:23], 0
	v_mov_b64_e32 v[16:17], 0
	;; [unrolled: 1-line block ×7, first 2 shown]
	s_cbranch_vccnz .LBB108_16
; %bb.6:
	s_load_dword s30, s[0:1], 0x18
	s_load_dwordx4 s[24:27], s[0:1], 0x20
	s_load_dword s33, s[0:1], 0x30
	v_lshl_add_u32 v0, v24, 4, v25
	v_lshrrev_b32_e32 v27, 5, v0
	v_and_b32_e32 v4, 31, v0
	s_waitcnt lgkmcnt(0)
	v_mad_i64_i32 v[2:3], s[34:35], v27, s30, 0
	s_mul_i32 s25, s25, s4
	s_mul_hi_u32 s34, s24, s4
	v_lshrrev_b32_e32 v1, 3, v0
	v_or_b32_e32 v0, s5, v4
	s_add_i32 s25, s34, s25
	s_mul_i32 s24, s24, s4
	v_cmp_gt_i32_e32 vcc, s6, v0
	v_lshlrev_b32_e32 v0, 4, v4
	s_lshl_b64 s[24:25], s[24:25], 4
	v_add_u32_e32 v4, s5, v4
	v_lshl_add_u64 v[2:3], v[2:3], 4, s[24:25]
	v_ashrrev_i32_e32 v5, 31, v4
	v_add_u32_e32 v6, s28, v1
	v_lshl_add_u64 v[2:3], v[4:5], 4, v[2:3]
	v_and_b32_e32 v26, 7, v25
	v_lshl_add_u64 v[4:5], s[22:23], 0, v[2:3]
	v_mad_i64_i32 v[2:3], s[24:25], s33, v6, 0
	v_lshl_or_b32 v28, v27, 9, v0
	v_lshlrev_b32_e32 v0, 4, v26
	s_mul_i32 s17, s17, s4
	s_mul_hi_u32 s24, s16, s4
	v_lshl_or_b32 v1, v1, 7, v0
	s_add_i32 s17, s24, s17
	s_mul_i32 s16, s16, s4
	v_add_u32_e32 v29, 0x1000, v1
	v_mov_b32_e32 v1, 0x1000
	s_lshl_b64 s[16:17], s[16:17], 4
	v_lshl_add_u32 v31, v24, 7, v1
	v_lshl_add_u64 v[2:3], v[2:3], 4, s[16:17]
	v_mov_b32_e32 v1, 0
	s_ashr_i32 s31, s30, 31
	v_cmp_gt_i32_e64 s[2:3], s6, v6
	v_lshl_add_u64 v[2:3], v[2:3], 0, v[0:1]
	v_lshlrev_b32_e32 v30, 4, v25
	s_lshl_b64 s[22:23], s[30:31], 7
	v_lshl_add_u64 v[6:7], s[26:27], 0, v[2:3]
	v_mov_b64_e32 v[8:9], 0
	s_xor_b64 s[16:17], vcc, -1
	s_xor_b64 s[2:3], s[2:3], -1
	s_mov_b64 s[24:25], 0x80
	v_mov_b32_e32 v0, v1
	v_mov_b32_e32 v2, v1
	;; [unrolled: 1-line block ×3, first 2 shown]
	v_mov_b64_e32 v[10:11], 0
	v_mov_b64_e32 v[14:15], 0
	;; [unrolled: 1-line block ×7, first 2 shown]
	s_branch .LBB108_8
.LBB108_7:                              ;   in Loop: Header=BB108_8 Depth=1
	s_or_b64 exec, exec, s[26:27]
	s_waitcnt lgkmcnt(0)
	s_barrier
	ds_read_b128 v[32:35], v30
	ds_read_b128 v[36:39], v31
	ds_read_b128 v[40:43], v31 offset:16
	ds_read_b128 v[44:47], v31 offset:32
	;; [unrolled: 1-line block ×4, first 2 shown]
	s_waitcnt lgkmcnt(4)
	v_mul_f64 v[56:57], v[38:39], v[34:35]
	v_fma_f64 v[56:57], v[36:37], v[32:33], -v[56:57]
	v_mul_f64 v[58:59], v[36:37], v[34:35]
	v_fmac_f64_e32 v[58:59], v[38:39], v[32:33]
	v_add_f64 v[56:57], v[20:21], v[56:57]
	s_waitcnt lgkmcnt(0)
	v_mul_f64 v[20:21], v[38:39], v[54:55]
	v_add_f64 v[58:59], v[58:59], v[22:23]
	v_fma_f64 v[60:61], v[36:37], v[52:53], -v[20:21]
	ds_read_b128 v[20:23], v31 offset:2048
	v_mul_f64 v[36:37], v[36:37], v[54:55]
	v_fmac_f64_e32 v[36:37], v[38:39], v[52:53]
	v_add_f64 v[38:39], v[16:17], v[60:61]
	v_add_f64 v[36:37], v[36:37], v[18:19]
	ds_read_b128 v[16:19], v31 offset:2064
	s_waitcnt lgkmcnt(1)
	v_mul_f64 v[60:61], v[22:23], v[34:35]
	v_fma_f64 v[60:61], v[20:21], v[32:33], -v[60:61]
	v_mul_f64 v[34:35], v[20:21], v[34:35]
	v_fmac_f64_e32 v[34:35], v[22:23], v[32:33]
	v_add_f64 v[32:33], v[12:13], v[60:61]
	v_mul_f64 v[12:13], v[22:23], v[54:55]
	v_add_f64 v[34:35], v[34:35], v[14:15]
	v_fma_f64 v[60:61], v[20:21], v[52:53], -v[12:13]
	v_mul_f64 v[20:21], v[20:21], v[54:55]
	ds_read_b128 v[12:15], v30 offset:512
	v_fmac_f64_e32 v[20:21], v[22:23], v[52:53]
	v_add_f64 v[22:23], v[10:11], v[60:61]
	v_add_f64 v[20:21], v[20:21], v[8:9]
	ds_read_b128 v[8:11], v30 offset:768
	s_waitcnt lgkmcnt(1)
	v_mul_f64 v[52:53], v[42:43], v[14:15]
	v_fma_f64 v[52:53], v[40:41], v[12:13], -v[52:53]
	v_add_f64 v[52:53], v[56:57], v[52:53]
	v_mul_f64 v[54:55], v[40:41], v[14:15]
	s_waitcnt lgkmcnt(0)
	v_mul_f64 v[56:57], v[42:43], v[10:11]
	v_fma_f64 v[56:57], v[40:41], v[8:9], -v[56:57]
	v_mul_f64 v[40:41], v[40:41], v[10:11]
	v_fmac_f64_e32 v[40:41], v[42:43], v[8:9]
	v_add_f64 v[36:37], v[40:41], v[36:37]
	v_mul_f64 v[40:41], v[18:19], v[14:15]
	v_mul_f64 v[14:15], v[16:17], v[14:15]
	v_fmac_f64_e32 v[54:55], v[42:43], v[12:13]
	v_fma_f64 v[40:41], v[16:17], v[12:13], -v[40:41]
	v_fmac_f64_e32 v[14:15], v[18:19], v[12:13]
	v_mul_f64 v[12:13], v[18:19], v[10:11]
	v_add_f64 v[42:43], v[14:15], v[34:35]
	v_fma_f64 v[14:15], v[16:17], v[8:9], -v[12:13]
	v_mul_f64 v[16:17], v[16:17], v[10:11]
	ds_read_b128 v[10:13], v30 offset:1024
	v_fmac_f64_e32 v[16:17], v[18:19], v[8:9]
	v_add_f64 v[38:39], v[38:39], v[56:57]
	v_add_f64 v[22:23], v[22:23], v[14:15]
	;; [unrolled: 1-line block ×3, first 2 shown]
	ds_read_b128 v[14:17], v30 offset:1280
	s_waitcnt lgkmcnt(1)
	v_mul_f64 v[18:19], v[44:45], v[12:13]
	v_add_f64 v[54:55], v[54:55], v[58:59]
	v_fmac_f64_e32 v[18:19], v[46:47], v[10:11]
	v_add_f64 v[54:55], v[18:19], v[54:55]
	ds_read_b128 v[18:21], v31 offset:2080
	v_mul_f64 v[8:9], v[46:47], v[12:13]
	v_fma_f64 v[8:9], v[44:45], v[10:11], -v[8:9]
	v_add_f64 v[40:41], v[32:33], v[40:41]
	v_add_f64 v[52:53], v[52:53], v[8:9]
	s_waitcnt lgkmcnt(1)
	v_mul_f64 v[8:9], v[46:47], v[16:17]
	v_mul_f64 v[32:33], v[44:45], v[16:17]
	v_fma_f64 v[8:9], v[44:45], v[14:15], -v[8:9]
	v_fmac_f64_e32 v[32:33], v[46:47], v[14:15]
	v_add_f64 v[38:39], v[38:39], v[8:9]
	v_add_f64 v[36:37], v[32:33], v[36:37]
	ds_read_b128 v[32:35], v31 offset:2096
	s_waitcnt lgkmcnt(1)
	v_mul_f64 v[8:9], v[20:21], v[12:13]
	v_fma_f64 v[8:9], v[18:19], v[10:11], -v[8:9]
	v_mul_f64 v[12:13], v[18:19], v[12:13]
	v_fmac_f64_e32 v[12:13], v[20:21], v[10:11]
	v_add_f64 v[40:41], v[40:41], v[8:9]
	v_mul_f64 v[8:9], v[20:21], v[16:17]
	v_add_f64 v[42:43], v[12:13], v[42:43]
	v_fma_f64 v[12:13], v[18:19], v[14:15], -v[8:9]
	ds_read_b128 v[8:11], v30 offset:1536
	v_mul_f64 v[16:17], v[18:19], v[16:17]
	v_fmac_f64_e32 v[16:17], v[20:21], v[14:15]
	v_add_f64 v[18:19], v[22:23], v[12:13]
	ds_read_b128 v[12:15], v30 offset:1792
	s_waitcnt lgkmcnt(1)
	v_mul_f64 v[20:21], v[50:51], v[10:11]
	v_fma_f64 v[20:21], v[48:49], v[8:9], -v[20:21]
	v_mul_f64 v[22:23], v[48:49], v[10:11]
	v_fmac_f64_e32 v[22:23], v[50:51], v[8:9]
	v_add_f64 v[44:45], v[52:53], v[20:21]
	s_waitcnt lgkmcnt(0)
	v_mul_f64 v[20:21], v[50:51], v[14:15]
	v_add_f64 v[46:47], v[22:23], v[54:55]
	v_fma_f64 v[20:21], v[48:49], v[12:13], -v[20:21]
	v_mul_f64 v[22:23], v[48:49], v[14:15]
	v_fmac_f64_e32 v[22:23], v[50:51], v[12:13]
	v_add_f64 v[38:39], v[38:39], v[20:21]
	v_mul_f64 v[20:21], v[34:35], v[10:11]
	v_mul_f64 v[10:11], v[32:33], v[10:11]
	v_add_f64 v[36:37], v[22:23], v[36:37]
	v_fma_f64 v[20:21], v[32:33], v[8:9], -v[20:21]
	v_fmac_f64_e32 v[10:11], v[34:35], v[8:9]
	v_mul_f64 v[8:9], v[34:35], v[14:15]
	v_mul_f64 v[22:23], v[32:33], v[14:15]
	v_add_f64 v[40:41], v[40:41], v[20:21]
	v_add_f64 v[42:43], v[10:11], v[42:43]
	v_fma_f64 v[20:21], v[32:33], v[12:13], -v[8:9]
	v_fmac_f64_e32 v[22:23], v[34:35], v[12:13]
	ds_read_b128 v[8:11], v31 offset:64
	ds_read_b128 v[12:15], v30 offset:2048
	v_add_f64 v[16:17], v[16:17], v[56:57]
	v_add_f64 v[48:49], v[18:19], v[20:21]
	v_add_f64 v[50:51], v[22:23], v[16:17]
	ds_read_b128 v[16:19], v30 offset:2304
	ds_read_b128 v[20:23], v31 offset:80
	s_waitcnt lgkmcnt(2)
	v_mul_f64 v[32:33], v[10:11], v[14:15]
	v_fma_f64 v[32:33], v[8:9], v[12:13], -v[32:33]
	v_mul_f64 v[34:35], v[8:9], v[14:15]
	v_fmac_f64_e32 v[34:35], v[10:11], v[12:13]
	v_add_f64 v[44:45], v[44:45], v[32:33]
	s_waitcnt lgkmcnt(1)
	v_mul_f64 v[32:33], v[10:11], v[18:19]
	v_add_f64 v[46:47], v[34:35], v[46:47]
	v_fma_f64 v[52:53], v[8:9], v[16:17], -v[32:33]
	ds_read_b128 v[32:35], v31 offset:2112
	v_mul_f64 v[8:9], v[8:9], v[18:19]
	v_fmac_f64_e32 v[8:9], v[10:11], v[16:17]
	v_add_f64 v[38:39], v[38:39], v[52:53]
	v_add_f64 v[36:37], v[8:9], v[36:37]
	ds_read_b128 v[8:11], v31 offset:2128
	s_waitcnt lgkmcnt(1)
	v_mul_f64 v[52:53], v[34:35], v[14:15]
	v_mul_f64 v[14:15], v[32:33], v[14:15]
	v_fma_f64 v[52:53], v[32:33], v[12:13], -v[52:53]
	v_fmac_f64_e32 v[14:15], v[34:35], v[12:13]
	v_mul_f64 v[12:13], v[34:35], v[18:19]
	v_add_f64 v[40:41], v[40:41], v[52:53]
	v_add_f64 v[42:43], v[14:15], v[42:43]
	v_fma_f64 v[52:53], v[32:33], v[16:17], -v[12:13]
	v_mul_f64 v[18:19], v[32:33], v[18:19]
	ds_read_b128 v[12:15], v30 offset:2560
	v_fmac_f64_e32 v[18:19], v[34:35], v[16:17]
	v_add_f64 v[34:35], v[18:19], v[50:51]
	ds_read_b128 v[16:19], v30 offset:2816
	v_add_f64 v[32:33], v[48:49], v[52:53]
	s_waitcnt lgkmcnt(1)
	v_mul_f64 v[48:49], v[22:23], v[14:15]
	v_fma_f64 v[48:49], v[20:21], v[12:13], -v[48:49]
	v_add_f64 v[44:45], v[44:45], v[48:49]
	s_waitcnt lgkmcnt(0)
	v_mul_f64 v[48:49], v[22:23], v[18:19]
	v_mul_f64 v[50:51], v[20:21], v[14:15]
	v_fma_f64 v[48:49], v[20:21], v[16:17], -v[48:49]
	v_mul_f64 v[20:21], v[20:21], v[18:19]
	v_fmac_f64_e32 v[20:21], v[22:23], v[16:17]
	v_add_f64 v[36:37], v[20:21], v[36:37]
	v_mul_f64 v[20:21], v[10:11], v[14:15]
	v_mul_f64 v[14:15], v[8:9], v[14:15]
	v_fmac_f64_e32 v[50:51], v[22:23], v[12:13]
	v_fma_f64 v[20:21], v[8:9], v[12:13], -v[20:21]
	v_fmac_f64_e32 v[14:15], v[10:11], v[12:13]
	v_mul_f64 v[12:13], v[10:11], v[18:19]
	v_mul_f64 v[18:19], v[8:9], v[18:19]
	v_add_f64 v[40:41], v[40:41], v[20:21]
	v_add_f64 v[42:43], v[14:15], v[42:43]
	v_fma_f64 v[20:21], v[8:9], v[16:17], -v[12:13]
	v_fmac_f64_e32 v[18:19], v[10:11], v[16:17]
	ds_read_b128 v[8:11], v31 offset:96
	ds_read_b128 v[12:15], v30 offset:3072
	v_add_f64 v[46:47], v[50:51], v[46:47]
	v_add_f64 v[38:39], v[38:39], v[48:49]
	;; [unrolled: 1-line block ×4, first 2 shown]
	ds_read_b128 v[16:19], v30 offset:3328
	ds_read_b128 v[32:35], v31 offset:112
	s_waitcnt lgkmcnt(2)
	v_mul_f64 v[20:21], v[10:11], v[14:15]
	v_fma_f64 v[20:21], v[8:9], v[12:13], -v[20:21]
	v_mul_f64 v[22:23], v[8:9], v[14:15]
	v_fmac_f64_e32 v[22:23], v[10:11], v[12:13]
	v_add_f64 v[44:45], v[44:45], v[20:21]
	s_waitcnt lgkmcnt(1)
	v_mul_f64 v[20:21], v[10:11], v[18:19]
	v_add_f64 v[46:47], v[22:23], v[46:47]
	v_fma_f64 v[52:53], v[8:9], v[16:17], -v[20:21]
	ds_read_b128 v[20:23], v31 offset:2144
	v_mul_f64 v[8:9], v[8:9], v[18:19]
	v_fmac_f64_e32 v[8:9], v[10:11], v[16:17]
	v_add_f64 v[54:55], v[8:9], v[36:37]
	ds_read_b128 v[8:11], v31 offset:2160
	s_waitcnt lgkmcnt(1)
	v_mul_f64 v[36:37], v[22:23], v[14:15]
	v_mul_f64 v[14:15], v[20:21], v[14:15]
	v_fma_f64 v[36:37], v[20:21], v[12:13], -v[36:37]
	v_fmac_f64_e32 v[14:15], v[22:23], v[12:13]
	v_mul_f64 v[12:13], v[22:23], v[18:19]
	v_add_f64 v[40:41], v[40:41], v[36:37]
	v_add_f64 v[42:43], v[14:15], v[42:43]
	v_fma_f64 v[36:37], v[20:21], v[16:17], -v[12:13]
	ds_read_b128 v[12:15], v30 offset:3584
	v_add_f64 v[52:53], v[38:39], v[52:53]
	v_add_f64 v[48:49], v[48:49], v[36:37]
	ds_read_b128 v[36:39], v30 offset:3840
	v_mul_f64 v[18:19], v[20:21], v[18:19]
	v_fmac_f64_e32 v[18:19], v[22:23], v[16:17]
	s_waitcnt lgkmcnt(1)
	v_mul_f64 v[16:17], v[34:35], v[14:15]
	v_add_f64 v[50:51], v[18:19], v[50:51]
	v_fma_f64 v[16:17], v[32:33], v[12:13], -v[16:17]
	v_mul_f64 v[18:19], v[32:33], v[14:15]
	v_fmac_f64_e32 v[18:19], v[34:35], v[12:13]
	v_add_f64 v[20:21], v[44:45], v[16:17]
	s_waitcnt lgkmcnt(0)
	v_mul_f64 v[16:17], v[34:35], v[38:39]
	v_add_f64 v[22:23], v[18:19], v[46:47]
	v_fma_f64 v[16:17], v[32:33], v[36:37], -v[16:17]
	v_mul_f64 v[18:19], v[32:33], v[38:39]
	v_mul_f64 v[32:33], v[10:11], v[14:15]
	v_fma_f64 v[32:33], v[8:9], v[12:13], -v[32:33]
	v_mul_f64 v[14:15], v[8:9], v[14:15]
	v_fmac_f64_e32 v[14:15], v[10:11], v[12:13]
	v_add_f64 v[12:13], v[40:41], v[32:33]
	v_mul_f64 v[32:33], v[10:11], v[38:39]
	v_fma_f64 v[32:33], v[8:9], v[36:37], -v[32:33]
	v_mul_f64 v[8:9], v[8:9], v[38:39]
	v_fmac_f64_e32 v[18:19], v[34:35], v[36:37]
	v_fmac_f64_e32 v[8:9], v[10:11], v[36:37]
	s_add_i32 s29, s29, 8
	v_add_f64 v[16:17], v[52:53], v[16:17]
	v_add_f64 v[18:19], v[18:19], v[54:55]
	;; [unrolled: 1-line block ×5, first 2 shown]
	v_lshl_add_u64 v[4:5], v[4:5], 0, s[22:23]
	s_cmp_lt_i32 s29, s7
	v_lshl_add_u64 v[6:7], v[6:7], 0, s[24:25]
	s_barrier
	s_cbranch_scc0 .LBB108_16
.LBB108_8:                              ; =>This Inner Loop Header: Depth=1
	v_add_u32_e32 v32, s29, v27
	v_cmp_le_i32_e32 vcc, s7, v32
	s_or_b64 s[26:27], s[16:17], vcc
	s_and_saveexec_b64 s[30:31], s[26:27]
	s_xor_b64 s[26:27], exec, s[30:31]
; %bb.9:                                ;   in Loop: Header=BB108_8 Depth=1
	ds_write_b128 v28, v[0:3]
; %bb.10:                               ;   in Loop: Header=BB108_8 Depth=1
	s_andn2_saveexec_b64 s[26:27], s[26:27]
	s_cbranch_execz .LBB108_12
; %bb.11:                               ;   in Loop: Header=BB108_8 Depth=1
	global_load_dwordx4 v[32:35], v[4:5], off
	s_waitcnt vmcnt(0)
	ds_write2_b64 v28, v[32:33], v[34:35] offset1:1
.LBB108_12:                             ;   in Loop: Header=BB108_8 Depth=1
	s_or_b64 exec, exec, s[26:27]
	v_add_u32_e32 v32, s29, v26
	v_cmp_le_i32_e32 vcc, s7, v32
	s_or_b64 s[26:27], vcc, s[2:3]
	s_and_saveexec_b64 s[30:31], s[26:27]
	s_xor_b64 s[26:27], exec, s[30:31]
; %bb.13:                               ;   in Loop: Header=BB108_8 Depth=1
	ds_write_b128 v29, v[0:3]
; %bb.14:                               ;   in Loop: Header=BB108_8 Depth=1
	s_andn2_saveexec_b64 s[26:27], s[26:27]
	s_cbranch_execz .LBB108_7
; %bb.15:                               ;   in Loop: Header=BB108_8 Depth=1
	global_load_dwordx4 v[32:35], v[6:7], off
	s_waitcnt vmcnt(0)
	ds_write2_b64 v29, v[32:33], v[34:35] offset1:1
	s_branch .LBB108_7
.LBB108_16:
	s_load_dwordx2 s[2:3], s[0:1], 0x58
	s_load_dword s7, s[0:1], 0x50
	v_add_u32_e32 v4, s5, v25
	v_add_u32_e32 v26, s28, v24
	v_cmp_le_i32_e32 vcc, v4, v26
	s_waitcnt lgkmcnt(0)
	s_mul_i32 s1, s3, s4
	s_mul_hi_u32 s3, s2, s4
	s_mul_i32 s0, s2, s4
	s_add_i32 s1, s3, s1
	s_lshl_b64 s[0:1], s[0:1], 4
	s_add_u32 s4, s20, s0
	s_addc_u32 s5, s21, s1
	v_cmp_neq_f64_e64 s[0:1], s[8:9], 0
	s_xor_b64 s[16:17], s[18:19], -1
	v_mad_i64_i32 v[0:1], s[18:19], v26, s7, 0
	s_or_b64 s[0:1], s[0:1], s[16:17]
	v_cmp_gt_i32_e64 s[2:3], s6, v26
	v_lshl_add_u64 v[24:25], v[0:1], 4, s[4:5]
	v_cndmask_b32_e64 v0, 0, 1, s[0:1]
	s_and_b64 s[18:19], s[2:3], vcc
	v_ashrrev_i32_e32 v5, 31, v4
	v_cmp_ne_u32_e64 s[0:1], 1, v0
	s_and_saveexec_b64 s[16:17], s[18:19]
	s_cbranch_execz .LBB108_20
; %bb.17:
	v_mul_f64 v[0:1], s[14:15], v[22:23]
	v_mul_f64 v[2:3], s[12:13], v[22:23]
	v_fma_f64 v[0:1], s[12:13], v[20:21], -v[0:1]
	v_fmac_f64_e32 v[2:3], s[14:15], v[20:21]
	s_and_b64 vcc, exec, s[0:1]
	v_lshl_add_u64 v[6:7], v[4:5], 4, v[24:25]
	s_cbranch_vccnz .LBB108_19
; %bb.18:
	global_load_dwordx4 v[20:23], v[6:7], off
	s_waitcnt vmcnt(0)
	v_mul_f64 v[28:29], s[10:11], v[22:23]
	v_mul_f64 v[22:23], s[8:9], v[22:23]
	v_fma_f64 v[28:29], s[8:9], v[20:21], -v[28:29]
	v_fmac_f64_e32 v[22:23], s[10:11], v[20:21]
	v_add_f64 v[0:1], v[0:1], v[28:29]
	v_add_f64 v[2:3], v[2:3], v[22:23]
.LBB108_19:
	global_store_dwordx4 v[6:7], v[0:3], off
.LBB108_20:
	s_or_b64 exec, exec, s[16:17]
	v_add_u32_e32 v6, 16, v4
	v_cmp_le_i32_e32 vcc, v6, v26
	s_and_b64 s[16:17], s[2:3], vcc
	v_ashrrev_i32_e32 v7, 31, v6
	s_and_saveexec_b64 s[2:3], s[16:17]
	s_cbranch_execz .LBB108_24
; %bb.21:
	v_mul_f64 v[0:1], s[14:15], v[18:19]
	v_mul_f64 v[2:3], s[12:13], v[18:19]
	v_fma_f64 v[0:1], s[12:13], v[16:17], -v[0:1]
	v_fmac_f64_e32 v[2:3], s[14:15], v[16:17]
	s_and_b64 vcc, exec, s[0:1]
	v_lshl_add_u64 v[16:17], v[6:7], 4, v[24:25]
	s_cbranch_vccnz .LBB108_23
; %bb.22:
	global_load_dwordx4 v[18:21], v[16:17], off
	s_waitcnt vmcnt(0)
	v_mul_f64 v[22:23], s[10:11], v[20:21]
	v_mul_f64 v[20:21], s[8:9], v[20:21]
	v_fma_f64 v[22:23], s[8:9], v[18:19], -v[22:23]
	v_fmac_f64_e32 v[20:21], s[10:11], v[18:19]
	v_add_f64 v[0:1], v[0:1], v[22:23]
	v_add_f64 v[2:3], v[2:3], v[20:21]
.LBB108_23:
	global_store_dwordx4 v[16:17], v[0:3], off
.LBB108_24:
	s_or_b64 exec, exec, s[2:3]
	v_add_u32_e32 v18, 16, v26
	v_cmp_gt_i32_e64 s[2:3], s6, v18
	v_mad_i64_i32 v[0:1], s[6:7], v18, s7, 0
	v_cmp_le_i32_e32 vcc, v4, v18
	v_lshl_add_u64 v[16:17], v[0:1], 4, s[4:5]
	s_and_b64 s[6:7], s[2:3], vcc
	s_and_saveexec_b64 s[4:5], s[6:7]
	s_cbranch_execz .LBB108_28
; %bb.25:
	v_mul_f64 v[0:1], s[14:15], v[14:15]
	v_mul_f64 v[2:3], s[12:13], v[14:15]
	v_fma_f64 v[0:1], s[12:13], v[12:13], -v[0:1]
	v_fmac_f64_e32 v[2:3], s[14:15], v[12:13]
	s_and_b64 vcc, exec, s[0:1]
	v_lshl_add_u64 v[4:5], v[4:5], 4, v[16:17]
	s_cbranch_vccnz .LBB108_27
; %bb.26:
	global_load_dwordx4 v[12:15], v[4:5], off
	s_waitcnt vmcnt(0)
	v_mul_f64 v[20:21], s[10:11], v[14:15]
	v_mul_f64 v[14:15], s[8:9], v[14:15]
	v_fma_f64 v[20:21], s[8:9], v[12:13], -v[20:21]
	v_fmac_f64_e32 v[14:15], s[10:11], v[12:13]
	v_add_f64 v[0:1], v[0:1], v[20:21]
	v_add_f64 v[2:3], v[2:3], v[14:15]
.LBB108_27:
	global_store_dwordx4 v[4:5], v[0:3], off
.LBB108_28:
	s_or_b64 exec, exec, s[4:5]
	v_cmp_le_i32_e32 vcc, v6, v18
	s_and_b64 s[2:3], s[2:3], vcc
	s_and_saveexec_b64 s[4:5], s[2:3]
	s_cbranch_execz .LBB108_32
; %bb.29:
	v_mul_f64 v[0:1], s[14:15], v[8:9]
	v_mul_f64 v[2:3], s[12:13], v[8:9]
	v_fma_f64 v[0:1], s[12:13], v[10:11], -v[0:1]
	v_fmac_f64_e32 v[2:3], s[14:15], v[10:11]
	s_and_b64 vcc, exec, s[0:1]
	v_lshl_add_u64 v[4:5], v[6:7], 4, v[16:17]
	s_cbranch_vccnz .LBB108_31
; %bb.30:
	global_load_dwordx4 v[6:9], v[4:5], off
	s_waitcnt vmcnt(0)
	v_mul_f64 v[10:11], s[10:11], v[8:9]
	v_mul_f64 v[8:9], s[8:9], v[8:9]
	v_fma_f64 v[10:11], s[8:9], v[6:7], -v[10:11]
	v_fmac_f64_e32 v[8:9], s[10:11], v[6:7]
	v_add_f64 v[0:1], v[0:1], v[10:11]
	v_add_f64 v[2:3], v[2:3], v[8:9]
.LBB108_31:
	global_store_dwordx4 v[4:5], v[0:3], off
.LBB108_32:
	s_endpgm
	.section	.rodata,"a",@progbits
	.p2align	6, 0x0
	.amdhsa_kernel _ZL29rocblas_internal_gemmt_kernelIiLi16ELi32ELi8ELc78ELc78ELc85ELb0ELb0E19rocblas_complex_numIdEPKS1_S3_PS1_EviT_T9_T10_S5_lS7_S5_lS6_T11_S5_li
		.amdhsa_group_segment_fixed_size 8192
		.amdhsa_private_segment_fixed_size 0
		.amdhsa_kernarg_size 100
		.amdhsa_user_sgpr_count 2
		.amdhsa_user_sgpr_dispatch_ptr 0
		.amdhsa_user_sgpr_queue_ptr 0
		.amdhsa_user_sgpr_kernarg_segment_ptr 1
		.amdhsa_user_sgpr_dispatch_id 0
		.amdhsa_user_sgpr_kernarg_preload_length 0
		.amdhsa_user_sgpr_kernarg_preload_offset 0
		.amdhsa_user_sgpr_private_segment_size 0
		.amdhsa_uses_dynamic_stack 0
		.amdhsa_enable_private_segment 0
		.amdhsa_system_sgpr_workgroup_id_x 1
		.amdhsa_system_sgpr_workgroup_id_y 1
		.amdhsa_system_sgpr_workgroup_id_z 1
		.amdhsa_system_sgpr_workgroup_info 0
		.amdhsa_system_vgpr_workitem_id 1
		.amdhsa_next_free_vgpr 62
		.amdhsa_next_free_sgpr 36
		.amdhsa_accum_offset 64
		.amdhsa_reserve_vcc 1
		.amdhsa_float_round_mode_32 0
		.amdhsa_float_round_mode_16_64 0
		.amdhsa_float_denorm_mode_32 3
		.amdhsa_float_denorm_mode_16_64 3
		.amdhsa_dx10_clamp 1
		.amdhsa_ieee_mode 1
		.amdhsa_fp16_overflow 0
		.amdhsa_tg_split 0
		.amdhsa_exception_fp_ieee_invalid_op 0
		.amdhsa_exception_fp_denorm_src 0
		.amdhsa_exception_fp_ieee_div_zero 0
		.amdhsa_exception_fp_ieee_overflow 0
		.amdhsa_exception_fp_ieee_underflow 0
		.amdhsa_exception_fp_ieee_inexact 0
		.amdhsa_exception_int_div_zero 0
	.end_amdhsa_kernel
	.section	.text._ZL29rocblas_internal_gemmt_kernelIiLi16ELi32ELi8ELc78ELc78ELc85ELb0ELb0E19rocblas_complex_numIdEPKS1_S3_PS1_EviT_T9_T10_S5_lS7_S5_lS6_T11_S5_li,"axG",@progbits,_ZL29rocblas_internal_gemmt_kernelIiLi16ELi32ELi8ELc78ELc78ELc85ELb0ELb0E19rocblas_complex_numIdEPKS1_S3_PS1_EviT_T9_T10_S5_lS7_S5_lS6_T11_S5_li,comdat
.Lfunc_end108:
	.size	_ZL29rocblas_internal_gemmt_kernelIiLi16ELi32ELi8ELc78ELc78ELc85ELb0ELb0E19rocblas_complex_numIdEPKS1_S3_PS1_EviT_T9_T10_S5_lS7_S5_lS6_T11_S5_li, .Lfunc_end108-_ZL29rocblas_internal_gemmt_kernelIiLi16ELi32ELi8ELc78ELc78ELc85ELb0ELb0E19rocblas_complex_numIdEPKS1_S3_PS1_EviT_T9_T10_S5_lS7_S5_lS6_T11_S5_li
                                        ; -- End function
	.set _ZL29rocblas_internal_gemmt_kernelIiLi16ELi32ELi8ELc78ELc78ELc85ELb0ELb0E19rocblas_complex_numIdEPKS1_S3_PS1_EviT_T9_T10_S5_lS7_S5_lS6_T11_S5_li.num_vgpr, 62
	.set _ZL29rocblas_internal_gemmt_kernelIiLi16ELi32ELi8ELc78ELc78ELc85ELb0ELb0E19rocblas_complex_numIdEPKS1_S3_PS1_EviT_T9_T10_S5_lS7_S5_lS6_T11_S5_li.num_agpr, 0
	.set _ZL29rocblas_internal_gemmt_kernelIiLi16ELi32ELi8ELc78ELc78ELc85ELb0ELb0E19rocblas_complex_numIdEPKS1_S3_PS1_EviT_T9_T10_S5_lS7_S5_lS6_T11_S5_li.numbered_sgpr, 36
	.set _ZL29rocblas_internal_gemmt_kernelIiLi16ELi32ELi8ELc78ELc78ELc85ELb0ELb0E19rocblas_complex_numIdEPKS1_S3_PS1_EviT_T9_T10_S5_lS7_S5_lS6_T11_S5_li.num_named_barrier, 0
	.set _ZL29rocblas_internal_gemmt_kernelIiLi16ELi32ELi8ELc78ELc78ELc85ELb0ELb0E19rocblas_complex_numIdEPKS1_S3_PS1_EviT_T9_T10_S5_lS7_S5_lS6_T11_S5_li.private_seg_size, 0
	.set _ZL29rocblas_internal_gemmt_kernelIiLi16ELi32ELi8ELc78ELc78ELc85ELb0ELb0E19rocblas_complex_numIdEPKS1_S3_PS1_EviT_T9_T10_S5_lS7_S5_lS6_T11_S5_li.uses_vcc, 1
	.set _ZL29rocblas_internal_gemmt_kernelIiLi16ELi32ELi8ELc78ELc78ELc85ELb0ELb0E19rocblas_complex_numIdEPKS1_S3_PS1_EviT_T9_T10_S5_lS7_S5_lS6_T11_S5_li.uses_flat_scratch, 0
	.set _ZL29rocblas_internal_gemmt_kernelIiLi16ELi32ELi8ELc78ELc78ELc85ELb0ELb0E19rocblas_complex_numIdEPKS1_S3_PS1_EviT_T9_T10_S5_lS7_S5_lS6_T11_S5_li.has_dyn_sized_stack, 0
	.set _ZL29rocblas_internal_gemmt_kernelIiLi16ELi32ELi8ELc78ELc78ELc85ELb0ELb0E19rocblas_complex_numIdEPKS1_S3_PS1_EviT_T9_T10_S5_lS7_S5_lS6_T11_S5_li.has_recursion, 0
	.set _ZL29rocblas_internal_gemmt_kernelIiLi16ELi32ELi8ELc78ELc78ELc85ELb0ELb0E19rocblas_complex_numIdEPKS1_S3_PS1_EviT_T9_T10_S5_lS7_S5_lS6_T11_S5_li.has_indirect_call, 0
	.section	.AMDGPU.csdata,"",@progbits
; Kernel info:
; codeLenInByte = 3116
; TotalNumSgprs: 42
; NumVgprs: 62
; NumAgprs: 0
; TotalNumVgprs: 62
; ScratchSize: 0
; MemoryBound: 0
; FloatMode: 240
; IeeeMode: 1
; LDSByteSize: 8192 bytes/workgroup (compile time only)
; SGPRBlocks: 5
; VGPRBlocks: 7
; NumSGPRsForWavesPerEU: 42
; NumVGPRsForWavesPerEU: 62
; AccumOffset: 64
; Occupancy: 8
; WaveLimiterHint : 0
; COMPUTE_PGM_RSRC2:SCRATCH_EN: 0
; COMPUTE_PGM_RSRC2:USER_SGPR: 2
; COMPUTE_PGM_RSRC2:TRAP_HANDLER: 0
; COMPUTE_PGM_RSRC2:TGID_X_EN: 1
; COMPUTE_PGM_RSRC2:TGID_Y_EN: 1
; COMPUTE_PGM_RSRC2:TGID_Z_EN: 1
; COMPUTE_PGM_RSRC2:TIDIG_COMP_CNT: 1
; COMPUTE_PGM_RSRC3_GFX90A:ACCUM_OFFSET: 15
; COMPUTE_PGM_RSRC3_GFX90A:TG_SPLIT: 0
	.section	.text._ZL29rocblas_internal_gemmt_kernelIiLi16ELi32ELi8ELc78ELc84ELc85ELb0ELb0E19rocblas_complex_numIdEPKS1_S3_PS1_EviT_T9_T10_S5_lS7_S5_lS6_T11_S5_li,"axG",@progbits,_ZL29rocblas_internal_gemmt_kernelIiLi16ELi32ELi8ELc78ELc84ELc85ELb0ELb0E19rocblas_complex_numIdEPKS1_S3_PS1_EviT_T9_T10_S5_lS7_S5_lS6_T11_S5_li,comdat
	.globl	_ZL29rocblas_internal_gemmt_kernelIiLi16ELi32ELi8ELc78ELc84ELc85ELb0ELb0E19rocblas_complex_numIdEPKS1_S3_PS1_EviT_T9_T10_S5_lS7_S5_lS6_T11_S5_li ; -- Begin function _ZL29rocblas_internal_gemmt_kernelIiLi16ELi32ELi8ELc78ELc84ELc85ELb0ELb0E19rocblas_complex_numIdEPKS1_S3_PS1_EviT_T9_T10_S5_lS7_S5_lS6_T11_S5_li
	.p2align	8
	.type	_ZL29rocblas_internal_gemmt_kernelIiLi16ELi32ELi8ELc78ELc84ELc85ELb0ELb0E19rocblas_complex_numIdEPKS1_S3_PS1_EviT_T9_T10_S5_lS7_S5_lS6_T11_S5_li,@function
_ZL29rocblas_internal_gemmt_kernelIiLi16ELi32ELi8ELc78ELc84ELc85ELb0ELb0E19rocblas_complex_numIdEPKS1_S3_PS1_EviT_T9_T10_S5_lS7_S5_lS6_T11_S5_li: ; @_ZL29rocblas_internal_gemmt_kernelIiLi16ELi32ELi8ELc78ELc84ELc85ELb0ELb0E19rocblas_complex_numIdEPKS1_S3_PS1_EviT_T9_T10_S5_lS7_S5_lS6_T11_S5_li
; %bb.0:
	s_load_dwordx4 s[16:19], s[0:1], 0x38
	s_load_dwordx4 s[20:23], s[0:1], 0x8
	s_mov_b64 s[24:25], 0
	s_waitcnt lgkmcnt(0)
	s_load_dwordx4 s[8:11], s[18:19], 0x0
	s_load_dwordx2 s[6:7], s[0:1], 0x0
	s_load_dwordx4 s[12:15], s[20:21], 0x0
	s_waitcnt lgkmcnt(0)
	v_cmp_eq_f64_e64 s[20:21], s[8:9], 1.0
	v_cmp_eq_f64_e64 s[18:19], s[10:11], 0
	s_and_b64 s[20:21], s[20:21], s[18:19]
	s_andn2_b64 vcc, exec, s[20:21]
	s_mov_b64 s[20:21], -1
	s_cbranch_vccnz .LBB109_4
; %bb.1:
	s_cmp_lg_u32 s7, 0
	s_cbranch_scc0 .LBB109_3
; %bb.2:
	v_cmp_neq_f64_e64 s[20:21], s[12:13], 0
	v_cmp_neq_f64_e64 s[24:25], s[14:15], 0
	s_or_b64 s[24:25], s[20:21], s[24:25]
.LBB109_3:
	s_mov_b64 s[20:21], s[24:25]
.LBB109_4:
	s_and_b64 vcc, exec, s[20:21]
	s_cbranch_vccz .LBB109_32
; %bb.5:
	s_lshl_b32 s5, s2, 5
	s_lshl_b32 s28, s3, 5
	v_cmp_eq_f64_e64 s[2:3], s[12:13], 0
	v_cmp_eq_f64_e64 s[24:25], s[14:15], 0
	s_load_dwordx2 s[20:21], s[0:1], 0x48
	s_and_b64 s[2:3], s[2:3], s[24:25]
	s_cmp_lt_i32 s7, 1
	s_cselect_b64 s[24:25], -1, 0
	s_or_b64 s[2:3], s[2:3], s[24:25]
	v_and_b32_e32 v20, 0x3ff, v0
	v_bfe_u32 v21, v0, 10, 10
	s_mov_b32 s29, 0
	v_mov_b64_e32 v[16:17], 0
	s_and_b64 vcc, exec, s[2:3]
	v_mov_b64_e32 v[18:19], 0
	v_mov_b64_e32 v[12:13], 0
	;; [unrolled: 1-line block ×7, first 2 shown]
	s_cbranch_vccnz .LBB109_16
; %bb.6:
	v_lshl_add_u32 v0, v21, 4, v20
	s_load_dword s30, s[0:1], 0x18
	s_load_dwordx4 s[24:27], s[0:1], 0x20
	s_load_dword s34, s[0:1], 0x30
	v_and_b32_e32 v4, 31, v0
	v_lshrrev_b32_e32 v23, 5, v0
	v_lshrrev_b32_e32 v1, 3, v0
	v_or_b32_e32 v0, s5, v4
	v_and_b32_e32 v22, 7, v20
	v_cmp_gt_i32_e32 vcc, s6, v0
	v_lshlrev_b32_e32 v0, 4, v4
	v_lshl_or_b32 v24, v23, 9, v0
	v_lshlrev_b32_e32 v0, 4, v22
	v_lshl_or_b32 v0, v1, 7, v0
	s_waitcnt lgkmcnt(0)
	s_mul_i32 s25, s25, s4
	s_mul_hi_u32 s33, s24, s4
	v_add_u32_e32 v25, 0x1000, v0
	v_mov_b32_e32 v0, 0x1000
	s_add_i32 s25, s33, s25
	s_mul_i32 s24, s24, s4
	v_add_u32_e32 v2, s28, v1
	v_lshl_add_u32 v27, v21, 7, v0
	v_mad_i64_i32 v[0:1], s[36:37], v23, s30, 0
	s_lshl_b64 s[24:25], s[24:25], 4
	v_add_u32_e32 v4, s5, v4
	v_lshl_add_u64 v[0:1], v[0:1], 4, s[24:25]
	v_ashrrev_i32_e32 v5, 31, v4
	s_mul_i32 s17, s17, s4
	s_mul_hi_u32 s24, s16, s4
	v_lshl_add_u64 v[0:1], v[4:5], 4, v[0:1]
	s_add_i32 s17, s24, s17
	v_mad_i64_i32 v[4:5], s[24:25], s34, v22, 0
	s_mul_i32 s16, s16, s4
	v_lshlrev_b64 v[4:5], 4, v[4:5]
	v_ashrrev_i32_e32 v3, 31, v2
	v_lshl_add_u64 v[4:5], s[16:17], 4, v[4:5]
	s_ashr_i32 s31, s30, 31
	s_ashr_i32 s35, s34, 31
	v_cmp_gt_i32_e64 s[2:3], s6, v2
	v_lshl_add_u64 v[2:3], v[2:3], 4, v[4:5]
	v_mov_b32_e32 v28, 0
	v_lshlrev_b32_e32 v26, 4, v20
	v_lshl_add_u64 v[0:1], s[22:23], 0, v[0:1]
	s_lshl_b64 s[22:23], s[30:31], 7
	v_lshl_add_u64 v[2:3], s[26:27], 0, v[2:3]
	s_lshl_b64 s[16:17], s[34:35], 7
	v_mov_b64_e32 v[4:5], 0
	s_xor_b64 s[24:25], vcc, -1
	s_xor_b64 s[2:3], s[2:3], -1
	v_mov_b32_e32 v29, v28
	v_mov_b32_e32 v30, v28
	;; [unrolled: 1-line block ×3, first 2 shown]
	v_mov_b64_e32 v[6:7], 0
	v_mov_b64_e32 v[10:11], 0
	;; [unrolled: 1-line block ×7, first 2 shown]
	s_branch .LBB109_8
.LBB109_7:                              ;   in Loop: Header=BB109_8 Depth=1
	s_or_b64 exec, exec, s[26:27]
	s_waitcnt lgkmcnt(0)
	s_barrier
	ds_read_b128 v[32:35], v26
	ds_read_b128 v[36:39], v27
	ds_read_b128 v[40:43], v27 offset:16
	ds_read_b128 v[44:47], v27 offset:32
	;; [unrolled: 1-line block ×4, first 2 shown]
	s_waitcnt lgkmcnt(4)
	v_mul_f64 v[56:57], v[38:39], v[34:35]
	v_fma_f64 v[56:57], v[36:37], v[32:33], -v[56:57]
	v_mul_f64 v[58:59], v[36:37], v[34:35]
	v_fmac_f64_e32 v[58:59], v[38:39], v[32:33]
	v_add_f64 v[56:57], v[16:17], v[56:57]
	s_waitcnt lgkmcnt(0)
	v_mul_f64 v[16:17], v[38:39], v[54:55]
	v_add_f64 v[58:59], v[58:59], v[18:19]
	v_fma_f64 v[60:61], v[36:37], v[52:53], -v[16:17]
	ds_read_b128 v[16:19], v27 offset:2048
	v_mul_f64 v[36:37], v[36:37], v[54:55]
	v_fmac_f64_e32 v[36:37], v[38:39], v[52:53]
	v_add_f64 v[38:39], v[12:13], v[60:61]
	v_add_f64 v[36:37], v[36:37], v[14:15]
	ds_read_b128 v[12:15], v27 offset:2064
	s_waitcnt lgkmcnt(1)
	v_mul_f64 v[60:61], v[18:19], v[34:35]
	v_fma_f64 v[60:61], v[16:17], v[32:33], -v[60:61]
	v_mul_f64 v[34:35], v[16:17], v[34:35]
	v_fmac_f64_e32 v[34:35], v[18:19], v[32:33]
	v_add_f64 v[32:33], v[8:9], v[60:61]
	v_mul_f64 v[8:9], v[18:19], v[54:55]
	v_add_f64 v[34:35], v[34:35], v[10:11]
	v_fma_f64 v[60:61], v[16:17], v[52:53], -v[8:9]
	v_mul_f64 v[16:17], v[16:17], v[54:55]
	ds_read_b128 v[8:11], v26 offset:512
	v_fmac_f64_e32 v[16:17], v[18:19], v[52:53]
	v_add_f64 v[18:19], v[6:7], v[60:61]
	v_add_f64 v[16:17], v[16:17], v[4:5]
	ds_read_b128 v[4:7], v26 offset:768
	s_waitcnt lgkmcnt(1)
	v_mul_f64 v[52:53], v[42:43], v[10:11]
	v_fma_f64 v[52:53], v[40:41], v[8:9], -v[52:53]
	v_add_f64 v[52:53], v[56:57], v[52:53]
	v_mul_f64 v[54:55], v[40:41], v[10:11]
	s_waitcnt lgkmcnt(0)
	v_mul_f64 v[56:57], v[42:43], v[6:7]
	v_fma_f64 v[56:57], v[40:41], v[4:5], -v[56:57]
	v_mul_f64 v[40:41], v[40:41], v[6:7]
	v_fmac_f64_e32 v[40:41], v[42:43], v[4:5]
	v_add_f64 v[36:37], v[40:41], v[36:37]
	v_mul_f64 v[40:41], v[14:15], v[10:11]
	v_mul_f64 v[10:11], v[12:13], v[10:11]
	v_fmac_f64_e32 v[54:55], v[42:43], v[8:9]
	v_fma_f64 v[40:41], v[12:13], v[8:9], -v[40:41]
	v_fmac_f64_e32 v[10:11], v[14:15], v[8:9]
	v_mul_f64 v[8:9], v[14:15], v[6:7]
	v_add_f64 v[42:43], v[10:11], v[34:35]
	v_fma_f64 v[10:11], v[12:13], v[4:5], -v[8:9]
	v_mul_f64 v[12:13], v[12:13], v[6:7]
	ds_read_b128 v[6:9], v26 offset:1024
	v_fmac_f64_e32 v[12:13], v[14:15], v[4:5]
	v_add_f64 v[38:39], v[38:39], v[56:57]
	v_add_f64 v[18:19], v[18:19], v[10:11]
	;; [unrolled: 1-line block ×3, first 2 shown]
	ds_read_b128 v[10:13], v26 offset:1280
	s_waitcnt lgkmcnt(1)
	v_mul_f64 v[14:15], v[44:45], v[8:9]
	v_add_f64 v[54:55], v[54:55], v[58:59]
	v_fmac_f64_e32 v[14:15], v[46:47], v[6:7]
	v_add_f64 v[54:55], v[14:15], v[54:55]
	ds_read_b128 v[14:17], v27 offset:2080
	v_mul_f64 v[4:5], v[46:47], v[8:9]
	v_fma_f64 v[4:5], v[44:45], v[6:7], -v[4:5]
	v_add_f64 v[40:41], v[32:33], v[40:41]
	v_add_f64 v[52:53], v[52:53], v[4:5]
	s_waitcnt lgkmcnt(1)
	v_mul_f64 v[4:5], v[46:47], v[12:13]
	v_mul_f64 v[32:33], v[44:45], v[12:13]
	v_fma_f64 v[4:5], v[44:45], v[10:11], -v[4:5]
	v_fmac_f64_e32 v[32:33], v[46:47], v[10:11]
	v_add_f64 v[38:39], v[38:39], v[4:5]
	v_add_f64 v[36:37], v[32:33], v[36:37]
	ds_read_b128 v[32:35], v27 offset:2096
	s_waitcnt lgkmcnt(1)
	v_mul_f64 v[4:5], v[16:17], v[8:9]
	v_fma_f64 v[4:5], v[14:15], v[6:7], -v[4:5]
	v_mul_f64 v[8:9], v[14:15], v[8:9]
	v_fmac_f64_e32 v[8:9], v[16:17], v[6:7]
	v_add_f64 v[40:41], v[40:41], v[4:5]
	v_mul_f64 v[4:5], v[16:17], v[12:13]
	v_add_f64 v[42:43], v[8:9], v[42:43]
	v_fma_f64 v[8:9], v[14:15], v[10:11], -v[4:5]
	ds_read_b128 v[4:7], v26 offset:1536
	v_mul_f64 v[12:13], v[14:15], v[12:13]
	v_fmac_f64_e32 v[12:13], v[16:17], v[10:11]
	v_add_f64 v[14:15], v[18:19], v[8:9]
	ds_read_b128 v[8:11], v26 offset:1792
	s_waitcnt lgkmcnt(1)
	v_mul_f64 v[16:17], v[50:51], v[6:7]
	v_fma_f64 v[16:17], v[48:49], v[4:5], -v[16:17]
	v_mul_f64 v[18:19], v[48:49], v[6:7]
	v_fmac_f64_e32 v[18:19], v[50:51], v[4:5]
	v_add_f64 v[44:45], v[52:53], v[16:17]
	s_waitcnt lgkmcnt(0)
	v_mul_f64 v[16:17], v[50:51], v[10:11]
	v_add_f64 v[46:47], v[18:19], v[54:55]
	v_fma_f64 v[16:17], v[48:49], v[8:9], -v[16:17]
	v_mul_f64 v[18:19], v[48:49], v[10:11]
	v_fmac_f64_e32 v[18:19], v[50:51], v[8:9]
	v_add_f64 v[38:39], v[38:39], v[16:17]
	v_mul_f64 v[16:17], v[34:35], v[6:7]
	v_mul_f64 v[6:7], v[32:33], v[6:7]
	v_add_f64 v[36:37], v[18:19], v[36:37]
	v_fma_f64 v[16:17], v[32:33], v[4:5], -v[16:17]
	v_fmac_f64_e32 v[6:7], v[34:35], v[4:5]
	v_mul_f64 v[4:5], v[34:35], v[10:11]
	v_mul_f64 v[18:19], v[32:33], v[10:11]
	v_add_f64 v[40:41], v[40:41], v[16:17]
	v_add_f64 v[42:43], v[6:7], v[42:43]
	v_fma_f64 v[16:17], v[32:33], v[8:9], -v[4:5]
	v_fmac_f64_e32 v[18:19], v[34:35], v[8:9]
	ds_read_b128 v[4:7], v27 offset:64
	ds_read_b128 v[8:11], v26 offset:2048
	v_add_f64 v[12:13], v[12:13], v[56:57]
	v_add_f64 v[48:49], v[14:15], v[16:17]
	;; [unrolled: 1-line block ×3, first 2 shown]
	ds_read_b128 v[12:15], v26 offset:2304
	ds_read_b128 v[16:19], v27 offset:80
	s_waitcnt lgkmcnt(2)
	v_mul_f64 v[32:33], v[6:7], v[10:11]
	v_fma_f64 v[32:33], v[4:5], v[8:9], -v[32:33]
	v_mul_f64 v[34:35], v[4:5], v[10:11]
	v_fmac_f64_e32 v[34:35], v[6:7], v[8:9]
	v_add_f64 v[44:45], v[44:45], v[32:33]
	s_waitcnt lgkmcnt(1)
	v_mul_f64 v[32:33], v[6:7], v[14:15]
	v_add_f64 v[46:47], v[34:35], v[46:47]
	v_fma_f64 v[52:53], v[4:5], v[12:13], -v[32:33]
	ds_read_b128 v[32:35], v27 offset:2112
	v_mul_f64 v[4:5], v[4:5], v[14:15]
	v_fmac_f64_e32 v[4:5], v[6:7], v[12:13]
	v_add_f64 v[38:39], v[38:39], v[52:53]
	v_add_f64 v[36:37], v[4:5], v[36:37]
	ds_read_b128 v[4:7], v27 offset:2128
	s_waitcnt lgkmcnt(1)
	v_mul_f64 v[52:53], v[34:35], v[10:11]
	v_mul_f64 v[10:11], v[32:33], v[10:11]
	v_fma_f64 v[52:53], v[32:33], v[8:9], -v[52:53]
	v_fmac_f64_e32 v[10:11], v[34:35], v[8:9]
	v_mul_f64 v[8:9], v[34:35], v[14:15]
	v_add_f64 v[40:41], v[40:41], v[52:53]
	v_add_f64 v[42:43], v[10:11], v[42:43]
	v_fma_f64 v[52:53], v[32:33], v[12:13], -v[8:9]
	v_mul_f64 v[14:15], v[32:33], v[14:15]
	ds_read_b128 v[8:11], v26 offset:2560
	v_fmac_f64_e32 v[14:15], v[34:35], v[12:13]
	v_add_f64 v[34:35], v[14:15], v[50:51]
	ds_read_b128 v[12:15], v26 offset:2816
	v_add_f64 v[32:33], v[48:49], v[52:53]
	s_waitcnt lgkmcnt(1)
	v_mul_f64 v[48:49], v[18:19], v[10:11]
	v_fma_f64 v[48:49], v[16:17], v[8:9], -v[48:49]
	v_add_f64 v[44:45], v[44:45], v[48:49]
	s_waitcnt lgkmcnt(0)
	v_mul_f64 v[48:49], v[18:19], v[14:15]
	v_mul_f64 v[50:51], v[16:17], v[10:11]
	v_fma_f64 v[48:49], v[16:17], v[12:13], -v[48:49]
	v_mul_f64 v[16:17], v[16:17], v[14:15]
	v_fmac_f64_e32 v[16:17], v[18:19], v[12:13]
	v_add_f64 v[36:37], v[16:17], v[36:37]
	v_mul_f64 v[16:17], v[6:7], v[10:11]
	v_mul_f64 v[10:11], v[4:5], v[10:11]
	v_fmac_f64_e32 v[50:51], v[18:19], v[8:9]
	v_fma_f64 v[16:17], v[4:5], v[8:9], -v[16:17]
	v_fmac_f64_e32 v[10:11], v[6:7], v[8:9]
	v_mul_f64 v[8:9], v[6:7], v[14:15]
	v_mul_f64 v[14:15], v[4:5], v[14:15]
	v_add_f64 v[40:41], v[40:41], v[16:17]
	v_add_f64 v[42:43], v[10:11], v[42:43]
	v_fma_f64 v[16:17], v[4:5], v[12:13], -v[8:9]
	v_fmac_f64_e32 v[14:15], v[6:7], v[12:13]
	ds_read_b128 v[4:7], v27 offset:96
	ds_read_b128 v[8:11], v26 offset:3072
	v_add_f64 v[46:47], v[50:51], v[46:47]
	v_add_f64 v[38:39], v[38:39], v[48:49]
	;; [unrolled: 1-line block ×4, first 2 shown]
	ds_read_b128 v[12:15], v26 offset:3328
	ds_read_b128 v[32:35], v27 offset:112
	s_waitcnt lgkmcnt(2)
	v_mul_f64 v[16:17], v[6:7], v[10:11]
	v_fma_f64 v[16:17], v[4:5], v[8:9], -v[16:17]
	v_mul_f64 v[18:19], v[4:5], v[10:11]
	v_fmac_f64_e32 v[18:19], v[6:7], v[8:9]
	v_add_f64 v[44:45], v[44:45], v[16:17]
	s_waitcnt lgkmcnt(1)
	v_mul_f64 v[16:17], v[6:7], v[14:15]
	v_add_f64 v[46:47], v[18:19], v[46:47]
	v_fma_f64 v[52:53], v[4:5], v[12:13], -v[16:17]
	ds_read_b128 v[16:19], v27 offset:2144
	v_mul_f64 v[4:5], v[4:5], v[14:15]
	v_fmac_f64_e32 v[4:5], v[6:7], v[12:13]
	v_add_f64 v[54:55], v[4:5], v[36:37]
	ds_read_b128 v[4:7], v27 offset:2160
	s_waitcnt lgkmcnt(1)
	v_mul_f64 v[36:37], v[18:19], v[10:11]
	v_mul_f64 v[10:11], v[16:17], v[10:11]
	v_fma_f64 v[36:37], v[16:17], v[8:9], -v[36:37]
	v_fmac_f64_e32 v[10:11], v[18:19], v[8:9]
	v_mul_f64 v[8:9], v[18:19], v[14:15]
	v_add_f64 v[40:41], v[40:41], v[36:37]
	v_add_f64 v[42:43], v[10:11], v[42:43]
	v_fma_f64 v[36:37], v[16:17], v[12:13], -v[8:9]
	ds_read_b128 v[8:11], v26 offset:3584
	v_add_f64 v[52:53], v[38:39], v[52:53]
	v_add_f64 v[48:49], v[48:49], v[36:37]
	ds_read_b128 v[36:39], v26 offset:3840
	v_mul_f64 v[14:15], v[16:17], v[14:15]
	v_fmac_f64_e32 v[14:15], v[18:19], v[12:13]
	s_waitcnt lgkmcnt(1)
	v_mul_f64 v[12:13], v[34:35], v[10:11]
	v_add_f64 v[50:51], v[14:15], v[50:51]
	v_fma_f64 v[12:13], v[32:33], v[8:9], -v[12:13]
	v_mul_f64 v[14:15], v[32:33], v[10:11]
	v_fmac_f64_e32 v[14:15], v[34:35], v[8:9]
	v_add_f64 v[16:17], v[44:45], v[12:13]
	s_waitcnt lgkmcnt(0)
	v_mul_f64 v[12:13], v[34:35], v[38:39]
	v_add_f64 v[18:19], v[14:15], v[46:47]
	v_fma_f64 v[12:13], v[32:33], v[36:37], -v[12:13]
	v_mul_f64 v[14:15], v[32:33], v[38:39]
	v_mul_f64 v[32:33], v[6:7], v[10:11]
	v_fma_f64 v[32:33], v[4:5], v[8:9], -v[32:33]
	v_mul_f64 v[10:11], v[4:5], v[10:11]
	v_fmac_f64_e32 v[10:11], v[6:7], v[8:9]
	v_add_f64 v[8:9], v[40:41], v[32:33]
	v_mul_f64 v[32:33], v[6:7], v[38:39]
	v_fma_f64 v[32:33], v[4:5], v[36:37], -v[32:33]
	v_mul_f64 v[4:5], v[4:5], v[38:39]
	v_fmac_f64_e32 v[14:15], v[34:35], v[36:37]
	v_fmac_f64_e32 v[4:5], v[6:7], v[36:37]
	s_add_i32 s29, s29, 8
	v_add_f64 v[12:13], v[52:53], v[12:13]
	v_add_f64 v[14:15], v[14:15], v[54:55]
	;; [unrolled: 1-line block ×5, first 2 shown]
	v_lshl_add_u64 v[0:1], v[0:1], 0, s[22:23]
	s_cmp_lt_i32 s29, s7
	v_lshl_add_u64 v[2:3], v[2:3], 0, s[16:17]
	s_barrier
	s_cbranch_scc0 .LBB109_16
.LBB109_8:                              ; =>This Inner Loop Header: Depth=1
	v_add_u32_e32 v32, s29, v23
	v_cmp_le_i32_e32 vcc, s7, v32
	s_or_b64 s[26:27], s[24:25], vcc
	s_and_saveexec_b64 s[30:31], s[26:27]
	s_xor_b64 s[26:27], exec, s[30:31]
; %bb.9:                                ;   in Loop: Header=BB109_8 Depth=1
	ds_write_b128 v24, v[28:31]
; %bb.10:                               ;   in Loop: Header=BB109_8 Depth=1
	s_andn2_saveexec_b64 s[26:27], s[26:27]
	s_cbranch_execz .LBB109_12
; %bb.11:                               ;   in Loop: Header=BB109_8 Depth=1
	global_load_dwordx4 v[32:35], v[0:1], off
	s_waitcnt vmcnt(0)
	ds_write2_b64 v24, v[32:33], v[34:35] offset1:1
.LBB109_12:                             ;   in Loop: Header=BB109_8 Depth=1
	s_or_b64 exec, exec, s[26:27]
	v_add_u32_e32 v32, s29, v22
	v_cmp_le_i32_e32 vcc, s7, v32
	s_or_b64 s[26:27], vcc, s[2:3]
	s_and_saveexec_b64 s[30:31], s[26:27]
	s_xor_b64 s[26:27], exec, s[30:31]
; %bb.13:                               ;   in Loop: Header=BB109_8 Depth=1
	ds_write_b128 v25, v[28:31]
; %bb.14:                               ;   in Loop: Header=BB109_8 Depth=1
	s_andn2_saveexec_b64 s[26:27], s[26:27]
	s_cbranch_execz .LBB109_7
; %bb.15:                               ;   in Loop: Header=BB109_8 Depth=1
	global_load_dwordx4 v[32:35], v[2:3], off
	s_waitcnt vmcnt(0)
	ds_write2_b64 v25, v[32:33], v[34:35] offset1:1
	s_branch .LBB109_7
.LBB109_16:
	s_load_dwordx2 s[2:3], s[0:1], 0x58
	s_load_dword s7, s[0:1], 0x50
	v_add_u32_e32 v20, s5, v20
	v_add_u32_e32 v24, s28, v21
	v_cmp_le_i32_e32 vcc, v20, v24
	s_waitcnt lgkmcnt(0)
	s_mul_i32 s1, s3, s4
	s_mul_hi_u32 s3, s2, s4
	s_mul_i32 s0, s2, s4
	s_add_i32 s1, s3, s1
	s_lshl_b64 s[0:1], s[0:1], 4
	s_add_u32 s4, s20, s0
	s_addc_u32 s5, s21, s1
	v_cmp_neq_f64_e64 s[0:1], s[8:9], 0
	s_xor_b64 s[16:17], s[18:19], -1
	v_mad_i64_i32 v[0:1], s[18:19], v24, s7, 0
	s_or_b64 s[0:1], s[0:1], s[16:17]
	v_cmp_gt_i32_e64 s[2:3], s6, v24
	v_lshl_add_u64 v[22:23], v[0:1], 4, s[4:5]
	v_cndmask_b32_e64 v0, 0, 1, s[0:1]
	s_and_b64 s[18:19], s[2:3], vcc
	v_ashrrev_i32_e32 v21, 31, v20
	v_cmp_ne_u32_e64 s[0:1], 1, v0
	s_and_saveexec_b64 s[16:17], s[18:19]
	s_cbranch_execz .LBB109_20
; %bb.17:
	v_mul_f64 v[0:1], s[14:15], v[18:19]
	v_mul_f64 v[2:3], s[12:13], v[18:19]
	v_fma_f64 v[0:1], s[12:13], v[16:17], -v[0:1]
	v_fmac_f64_e32 v[2:3], s[14:15], v[16:17]
	s_and_b64 vcc, exec, s[0:1]
	v_lshl_add_u64 v[16:17], v[20:21], 4, v[22:23]
	s_cbranch_vccnz .LBB109_19
; %bb.18:
	global_load_dwordx4 v[26:29], v[16:17], off
	s_waitcnt vmcnt(0)
	v_mul_f64 v[18:19], s[10:11], v[28:29]
	v_mul_f64 v[28:29], s[8:9], v[28:29]
	v_fma_f64 v[18:19], s[8:9], v[26:27], -v[18:19]
	v_fmac_f64_e32 v[28:29], s[10:11], v[26:27]
	v_add_f64 v[0:1], v[0:1], v[18:19]
	v_add_f64 v[2:3], v[2:3], v[28:29]
.LBB109_19:
	global_store_dwordx4 v[16:17], v[0:3], off
.LBB109_20:
	s_or_b64 exec, exec, s[16:17]
	v_add_u32_e32 v16, 16, v20
	v_cmp_le_i32_e32 vcc, v16, v24
	s_and_b64 s[16:17], s[2:3], vcc
	v_ashrrev_i32_e32 v17, 31, v16
	s_and_saveexec_b64 s[2:3], s[16:17]
	s_cbranch_execz .LBB109_24
; %bb.21:
	v_mul_f64 v[0:1], s[14:15], v[14:15]
	v_mul_f64 v[2:3], s[12:13], v[14:15]
	v_fma_f64 v[0:1], s[12:13], v[12:13], -v[0:1]
	v_fmac_f64_e32 v[2:3], s[14:15], v[12:13]
	s_and_b64 vcc, exec, s[0:1]
	v_lshl_add_u64 v[12:13], v[16:17], 4, v[22:23]
	s_cbranch_vccnz .LBB109_23
; %bb.22:
	global_load_dwordx4 v[26:29], v[12:13], off
	s_waitcnt vmcnt(0)
	v_mul_f64 v[14:15], s[10:11], v[28:29]
	v_mul_f64 v[18:19], s[8:9], v[28:29]
	v_fma_f64 v[14:15], s[8:9], v[26:27], -v[14:15]
	v_fmac_f64_e32 v[18:19], s[10:11], v[26:27]
	v_add_f64 v[0:1], v[0:1], v[14:15]
	v_add_f64 v[2:3], v[2:3], v[18:19]
.LBB109_23:
	global_store_dwordx4 v[12:13], v[0:3], off
.LBB109_24:
	s_or_b64 exec, exec, s[2:3]
	v_add_u32_e32 v14, 16, v24
	v_cmp_gt_i32_e64 s[2:3], s6, v14
	v_mad_i64_i32 v[0:1], s[6:7], v14, s7, 0
	v_cmp_le_i32_e32 vcc, v20, v14
	v_lshl_add_u64 v[12:13], v[0:1], 4, s[4:5]
	s_and_b64 s[6:7], s[2:3], vcc
	s_and_saveexec_b64 s[4:5], s[6:7]
	s_cbranch_execz .LBB109_28
; %bb.25:
	v_mul_f64 v[0:1], s[14:15], v[10:11]
	v_mul_f64 v[2:3], s[12:13], v[10:11]
	v_fma_f64 v[0:1], s[12:13], v[8:9], -v[0:1]
	v_fmac_f64_e32 v[2:3], s[14:15], v[8:9]
	s_and_b64 vcc, exec, s[0:1]
	v_lshl_add_u64 v[8:9], v[20:21], 4, v[12:13]
	s_cbranch_vccnz .LBB109_27
; %bb.26:
	global_load_dwordx4 v[18:21], v[8:9], off
	s_waitcnt vmcnt(0)
	v_mul_f64 v[10:11], s[10:11], v[20:21]
	v_mul_f64 v[20:21], s[8:9], v[20:21]
	v_fma_f64 v[10:11], s[8:9], v[18:19], -v[10:11]
	v_fmac_f64_e32 v[20:21], s[10:11], v[18:19]
	v_add_f64 v[0:1], v[0:1], v[10:11]
	v_add_f64 v[2:3], v[2:3], v[20:21]
.LBB109_27:
	global_store_dwordx4 v[8:9], v[0:3], off
.LBB109_28:
	s_or_b64 exec, exec, s[4:5]
	v_cmp_le_i32_e32 vcc, v16, v14
	s_and_b64 s[2:3], s[2:3], vcc
	s_and_saveexec_b64 s[4:5], s[2:3]
	s_cbranch_execz .LBB109_32
; %bb.29:
	v_mul_f64 v[0:1], s[14:15], v[4:5]
	v_mul_f64 v[2:3], s[12:13], v[4:5]
	v_fma_f64 v[0:1], s[12:13], v[6:7], -v[0:1]
	v_fmac_f64_e32 v[2:3], s[14:15], v[6:7]
	s_and_b64 vcc, exec, s[0:1]
	v_lshl_add_u64 v[4:5], v[16:17], 4, v[12:13]
	s_cbranch_vccnz .LBB109_31
; %bb.30:
	global_load_dwordx4 v[6:9], v[4:5], off
	s_waitcnt vmcnt(0)
	v_mul_f64 v[10:11], s[10:11], v[8:9]
	v_mul_f64 v[8:9], s[8:9], v[8:9]
	v_fma_f64 v[10:11], s[8:9], v[6:7], -v[10:11]
	v_fmac_f64_e32 v[8:9], s[10:11], v[6:7]
	v_add_f64 v[0:1], v[0:1], v[10:11]
	v_add_f64 v[2:3], v[2:3], v[8:9]
.LBB109_31:
	global_store_dwordx4 v[4:5], v[0:3], off
.LBB109_32:
	s_endpgm
	.section	.rodata,"a",@progbits
	.p2align	6, 0x0
	.amdhsa_kernel _ZL29rocblas_internal_gemmt_kernelIiLi16ELi32ELi8ELc78ELc84ELc85ELb0ELb0E19rocblas_complex_numIdEPKS1_S3_PS1_EviT_T9_T10_S5_lS7_S5_lS6_T11_S5_li
		.amdhsa_group_segment_fixed_size 8192
		.amdhsa_private_segment_fixed_size 0
		.amdhsa_kernarg_size 100
		.amdhsa_user_sgpr_count 2
		.amdhsa_user_sgpr_dispatch_ptr 0
		.amdhsa_user_sgpr_queue_ptr 0
		.amdhsa_user_sgpr_kernarg_segment_ptr 1
		.amdhsa_user_sgpr_dispatch_id 0
		.amdhsa_user_sgpr_kernarg_preload_length 0
		.amdhsa_user_sgpr_kernarg_preload_offset 0
		.amdhsa_user_sgpr_private_segment_size 0
		.amdhsa_uses_dynamic_stack 0
		.amdhsa_enable_private_segment 0
		.amdhsa_system_sgpr_workgroup_id_x 1
		.amdhsa_system_sgpr_workgroup_id_y 1
		.amdhsa_system_sgpr_workgroup_id_z 1
		.amdhsa_system_sgpr_workgroup_info 0
		.amdhsa_system_vgpr_workitem_id 1
		.amdhsa_next_free_vgpr 62
		.amdhsa_next_free_sgpr 38
		.amdhsa_accum_offset 64
		.amdhsa_reserve_vcc 1
		.amdhsa_float_round_mode_32 0
		.amdhsa_float_round_mode_16_64 0
		.amdhsa_float_denorm_mode_32 3
		.amdhsa_float_denorm_mode_16_64 3
		.amdhsa_dx10_clamp 1
		.amdhsa_ieee_mode 1
		.amdhsa_fp16_overflow 0
		.amdhsa_tg_split 0
		.amdhsa_exception_fp_ieee_invalid_op 0
		.amdhsa_exception_fp_denorm_src 0
		.amdhsa_exception_fp_ieee_div_zero 0
		.amdhsa_exception_fp_ieee_overflow 0
		.amdhsa_exception_fp_ieee_underflow 0
		.amdhsa_exception_fp_ieee_inexact 0
		.amdhsa_exception_int_div_zero 0
	.end_amdhsa_kernel
	.section	.text._ZL29rocblas_internal_gemmt_kernelIiLi16ELi32ELi8ELc78ELc84ELc85ELb0ELb0E19rocblas_complex_numIdEPKS1_S3_PS1_EviT_T9_T10_S5_lS7_S5_lS6_T11_S5_li,"axG",@progbits,_ZL29rocblas_internal_gemmt_kernelIiLi16ELi32ELi8ELc78ELc84ELc85ELb0ELb0E19rocblas_complex_numIdEPKS1_S3_PS1_EviT_T9_T10_S5_lS7_S5_lS6_T11_S5_li,comdat
.Lfunc_end109:
	.size	_ZL29rocblas_internal_gemmt_kernelIiLi16ELi32ELi8ELc78ELc84ELc85ELb0ELb0E19rocblas_complex_numIdEPKS1_S3_PS1_EviT_T9_T10_S5_lS7_S5_lS6_T11_S5_li, .Lfunc_end109-_ZL29rocblas_internal_gemmt_kernelIiLi16ELi32ELi8ELc78ELc84ELc85ELb0ELb0E19rocblas_complex_numIdEPKS1_S3_PS1_EviT_T9_T10_S5_lS7_S5_lS6_T11_S5_li
                                        ; -- End function
	.set _ZL29rocblas_internal_gemmt_kernelIiLi16ELi32ELi8ELc78ELc84ELc85ELb0ELb0E19rocblas_complex_numIdEPKS1_S3_PS1_EviT_T9_T10_S5_lS7_S5_lS6_T11_S5_li.num_vgpr, 62
	.set _ZL29rocblas_internal_gemmt_kernelIiLi16ELi32ELi8ELc78ELc84ELc85ELb0ELb0E19rocblas_complex_numIdEPKS1_S3_PS1_EviT_T9_T10_S5_lS7_S5_lS6_T11_S5_li.num_agpr, 0
	.set _ZL29rocblas_internal_gemmt_kernelIiLi16ELi32ELi8ELc78ELc84ELc85ELb0ELb0E19rocblas_complex_numIdEPKS1_S3_PS1_EviT_T9_T10_S5_lS7_S5_lS6_T11_S5_li.numbered_sgpr, 38
	.set _ZL29rocblas_internal_gemmt_kernelIiLi16ELi32ELi8ELc78ELc84ELc85ELb0ELb0E19rocblas_complex_numIdEPKS1_S3_PS1_EviT_T9_T10_S5_lS7_S5_lS6_T11_S5_li.num_named_barrier, 0
	.set _ZL29rocblas_internal_gemmt_kernelIiLi16ELi32ELi8ELc78ELc84ELc85ELb0ELb0E19rocblas_complex_numIdEPKS1_S3_PS1_EviT_T9_T10_S5_lS7_S5_lS6_T11_S5_li.private_seg_size, 0
	.set _ZL29rocblas_internal_gemmt_kernelIiLi16ELi32ELi8ELc78ELc84ELc85ELb0ELb0E19rocblas_complex_numIdEPKS1_S3_PS1_EviT_T9_T10_S5_lS7_S5_lS6_T11_S5_li.uses_vcc, 1
	.set _ZL29rocblas_internal_gemmt_kernelIiLi16ELi32ELi8ELc78ELc84ELc85ELb0ELb0E19rocblas_complex_numIdEPKS1_S3_PS1_EviT_T9_T10_S5_lS7_S5_lS6_T11_S5_li.uses_flat_scratch, 0
	.set _ZL29rocblas_internal_gemmt_kernelIiLi16ELi32ELi8ELc78ELc84ELc85ELb0ELb0E19rocblas_complex_numIdEPKS1_S3_PS1_EviT_T9_T10_S5_lS7_S5_lS6_T11_S5_li.has_dyn_sized_stack, 0
	.set _ZL29rocblas_internal_gemmt_kernelIiLi16ELi32ELi8ELc78ELc84ELc85ELb0ELb0E19rocblas_complex_numIdEPKS1_S3_PS1_EviT_T9_T10_S5_lS7_S5_lS6_T11_S5_li.has_recursion, 0
	.set _ZL29rocblas_internal_gemmt_kernelIiLi16ELi32ELi8ELc78ELc84ELc85ELb0ELb0E19rocblas_complex_numIdEPKS1_S3_PS1_EviT_T9_T10_S5_lS7_S5_lS6_T11_S5_li.has_indirect_call, 0
	.section	.AMDGPU.csdata,"",@progbits
; Kernel info:
; codeLenInByte = 3124
; TotalNumSgprs: 44
; NumVgprs: 62
; NumAgprs: 0
; TotalNumVgprs: 62
; ScratchSize: 0
; MemoryBound: 0
; FloatMode: 240
; IeeeMode: 1
; LDSByteSize: 8192 bytes/workgroup (compile time only)
; SGPRBlocks: 5
; VGPRBlocks: 7
; NumSGPRsForWavesPerEU: 44
; NumVGPRsForWavesPerEU: 62
; AccumOffset: 64
; Occupancy: 8
; WaveLimiterHint : 0
; COMPUTE_PGM_RSRC2:SCRATCH_EN: 0
; COMPUTE_PGM_RSRC2:USER_SGPR: 2
; COMPUTE_PGM_RSRC2:TRAP_HANDLER: 0
; COMPUTE_PGM_RSRC2:TGID_X_EN: 1
; COMPUTE_PGM_RSRC2:TGID_Y_EN: 1
; COMPUTE_PGM_RSRC2:TGID_Z_EN: 1
; COMPUTE_PGM_RSRC2:TIDIG_COMP_CNT: 1
; COMPUTE_PGM_RSRC3_GFX90A:ACCUM_OFFSET: 15
; COMPUTE_PGM_RSRC3_GFX90A:TG_SPLIT: 0
	.section	.text._ZL29rocblas_internal_gemmt_kernelIiLi16ELi32ELi8ELc78ELc67ELc85ELb0ELb1E19rocblas_complex_numIdEPKS1_S3_PS1_EviT_T9_T10_S5_lS7_S5_lS6_T11_S5_li,"axG",@progbits,_ZL29rocblas_internal_gemmt_kernelIiLi16ELi32ELi8ELc78ELc67ELc85ELb0ELb1E19rocblas_complex_numIdEPKS1_S3_PS1_EviT_T9_T10_S5_lS7_S5_lS6_T11_S5_li,comdat
	.globl	_ZL29rocblas_internal_gemmt_kernelIiLi16ELi32ELi8ELc78ELc67ELc85ELb0ELb1E19rocblas_complex_numIdEPKS1_S3_PS1_EviT_T9_T10_S5_lS7_S5_lS6_T11_S5_li ; -- Begin function _ZL29rocblas_internal_gemmt_kernelIiLi16ELi32ELi8ELc78ELc67ELc85ELb0ELb1E19rocblas_complex_numIdEPKS1_S3_PS1_EviT_T9_T10_S5_lS7_S5_lS6_T11_S5_li
	.p2align	8
	.type	_ZL29rocblas_internal_gemmt_kernelIiLi16ELi32ELi8ELc78ELc67ELc85ELb0ELb1E19rocblas_complex_numIdEPKS1_S3_PS1_EviT_T9_T10_S5_lS7_S5_lS6_T11_S5_li,@function
_ZL29rocblas_internal_gemmt_kernelIiLi16ELi32ELi8ELc78ELc67ELc85ELb0ELb1E19rocblas_complex_numIdEPKS1_S3_PS1_EviT_T9_T10_S5_lS7_S5_lS6_T11_S5_li: ; @_ZL29rocblas_internal_gemmt_kernelIiLi16ELi32ELi8ELc78ELc67ELc85ELb0ELb1E19rocblas_complex_numIdEPKS1_S3_PS1_EviT_T9_T10_S5_lS7_S5_lS6_T11_S5_li
; %bb.0:
	s_load_dwordx4 s[16:19], s[0:1], 0x38
	s_load_dwordx4 s[20:23], s[0:1], 0x8
	s_mov_b64 s[24:25], 0
	s_waitcnt lgkmcnt(0)
	s_load_dwordx4 s[8:11], s[18:19], 0x0
	s_load_dwordx2 s[6:7], s[0:1], 0x0
	s_load_dwordx4 s[12:15], s[20:21], 0x0
	s_waitcnt lgkmcnt(0)
	v_cmp_eq_f64_e64 s[20:21], s[8:9], 1.0
	v_cmp_eq_f64_e64 s[18:19], s[10:11], 0
	s_and_b64 s[20:21], s[20:21], s[18:19]
	s_andn2_b64 vcc, exec, s[20:21]
	s_mov_b64 s[20:21], -1
	s_cbranch_vccnz .LBB110_4
; %bb.1:
	s_cmp_lg_u32 s7, 0
	s_cbranch_scc0 .LBB110_3
; %bb.2:
	v_cmp_neq_f64_e64 s[20:21], s[12:13], 0
	v_cmp_neq_f64_e64 s[24:25], s[14:15], 0
	s_or_b64 s[24:25], s[20:21], s[24:25]
.LBB110_3:
	s_mov_b64 s[20:21], s[24:25]
.LBB110_4:
	s_and_b64 vcc, exec, s[20:21]
	s_cbranch_vccz .LBB110_30
; %bb.5:
	s_lshl_b32 s5, s2, 5
	s_lshl_b32 s28, s3, 5
	v_cmp_eq_f64_e64 s[2:3], s[12:13], 0
	v_cmp_eq_f64_e64 s[24:25], s[14:15], 0
	s_load_dwordx2 s[20:21], s[0:1], 0x48
	s_and_b64 s[2:3], s[2:3], s[24:25]
	s_cmp_lt_i32 s7, 1
	s_cselect_b64 s[24:25], -1, 0
	s_or_b64 s[2:3], s[2:3], s[24:25]
	v_and_b32_e32 v25, 0x3ff, v0
	v_bfe_u32 v24, v0, 10, 10
	s_mov_b32 s29, 0
	v_mov_b64_e32 v[20:21], 0
	s_and_b64 vcc, exec, s[2:3]
	v_mov_b64_e32 v[22:23], 0
	v_mov_b64_e32 v[16:17], 0
	;; [unrolled: 1-line block ×7, first 2 shown]
	s_cbranch_vccnz .LBB110_14
; %bb.6:
	s_load_dword s30, s[0:1], 0x18
	s_load_dwordx4 s[24:27], s[0:1], 0x20
	s_load_dword s34, s[0:1], 0x30
	v_lshl_add_u32 v1, v24, 4, v25
	v_and_b32_e32 v4, 31, v1
	v_lshrrev_b32_e32 v27, 5, v1
	v_lshrrev_b32_e32 v2, 3, v1
	v_or_b32_e32 v1, s5, v4
	v_and_b32_e32 v26, 7, v25
	v_cmp_gt_i32_e64 s[2:3], s6, v1
	v_lshlrev_b32_e32 v1, 4, v4
	v_lshl_or_b32 v28, v27, 9, v1
	v_lshlrev_b32_e32 v1, 4, v26
	s_waitcnt lgkmcnt(0)
	s_mul_i32 s25, s25, s4
	s_mul_hi_u32 s33, s24, s4
	v_add_u32_e32 v0, s28, v2
	v_lshl_or_b32 v1, v2, 7, v1
	v_mov_b32_e32 v2, 0x1000
	s_add_i32 s25, s33, s25
	s_mul_i32 s24, s24, s4
	v_lshl_add_u32 v31, v24, 7, v2
	v_mad_i64_i32 v[2:3], s[36:37], v27, s30, 0
	s_lshl_b64 s[24:25], s[24:25], 4
	v_add_u32_e32 v4, s5, v4
	v_lshl_add_u64 v[2:3], v[2:3], 4, s[24:25]
	v_ashrrev_i32_e32 v5, 31, v4
	v_lshl_add_u64 v[2:3], v[4:5], 4, v[2:3]
	s_mul_i32 s17, s17, s4
	s_mul_hi_u32 s24, s16, s4
	v_lshl_add_u64 v[4:5], s[22:23], 0, v[2:3]
	s_add_i32 s17, s24, s17
	v_mad_i64_i32 v[2:3], s[24:25], s34, v26, 0
	s_mul_i32 s16, s16, s4
	v_lshlrev_b64 v[2:3], 4, v[2:3]
	v_add_u32_e32 v29, 0x1000, v1
	v_ashrrev_i32_e32 v1, 31, v0
	v_lshl_add_u64 v[2:3], s[16:17], 4, v[2:3]
	v_cmp_gt_i32_e32 vcc, s6, v0
	v_lshl_add_u64 v[0:1], v[0:1], 4, v[2:3]
	s_ashr_i32 s31, s30, 31
	s_ashr_i32 s35, s34, 31
	v_lshl_add_u64 v[0:1], s[26:27], 0, v[0:1]
	v_mov_b32_e32 v32, 0
	v_lshlrev_b32_e32 v30, 4, v25
	s_lshl_b64 s[22:23], s[30:31], 7
	v_lshl_add_u64 v[6:7], v[0:1], 0, 8
	s_lshl_b64 s[16:17], s[34:35], 7
	v_mov_b64_e32 v[8:9], 0
	s_xor_b64 s[24:25], s[2:3], -1
	v_mov_b32_e32 v33, v32
	v_mov_b32_e32 v34, v32
	;; [unrolled: 1-line block ×3, first 2 shown]
	v_mov_b64_e32 v[10:11], 0
	v_mov_b64_e32 v[14:15], 0
	;; [unrolled: 1-line block ×7, first 2 shown]
	s_branch .LBB110_8
.LBB110_7:                              ;   in Loop: Header=BB110_8 Depth=1
	s_or_b64 exec, exec, s[2:3]
	ds_write_b128 v29, v[0:3]
	s_waitcnt lgkmcnt(0)
	s_barrier
	ds_read_b128 v[0:3], v30
	ds_read_b128 v[36:39], v31
	ds_read_b128 v[40:43], v31 offset:16
	ds_read_b128 v[44:47], v31 offset:32
	;; [unrolled: 1-line block ×4, first 2 shown]
	s_waitcnt lgkmcnt(4)
	v_mul_f64 v[56:57], v[38:39], v[2:3]
	v_fma_f64 v[56:57], v[36:37], v[0:1], -v[56:57]
	v_mul_f64 v[58:59], v[36:37], v[2:3]
	v_fmac_f64_e32 v[58:59], v[38:39], v[0:1]
	v_add_f64 v[56:57], v[20:21], v[56:57]
	s_waitcnt lgkmcnt(0)
	v_mul_f64 v[20:21], v[38:39], v[54:55]
	v_add_f64 v[58:59], v[58:59], v[22:23]
	v_fma_f64 v[60:61], v[36:37], v[52:53], -v[20:21]
	ds_read_b128 v[20:23], v31 offset:2048
	v_mul_f64 v[36:37], v[36:37], v[54:55]
	v_fmac_f64_e32 v[36:37], v[38:39], v[52:53]
	v_add_f64 v[38:39], v[16:17], v[60:61]
	v_add_f64 v[36:37], v[36:37], v[18:19]
	ds_read_b128 v[16:19], v31 offset:2064
	s_waitcnt lgkmcnt(1)
	v_mul_f64 v[60:61], v[22:23], v[2:3]
	v_mul_f64 v[2:3], v[20:21], v[2:3]
	v_fma_f64 v[60:61], v[20:21], v[0:1], -v[60:61]
	v_fmac_f64_e32 v[2:3], v[22:23], v[0:1]
	v_mul_f64 v[0:1], v[22:23], v[54:55]
	v_add_f64 v[12:13], v[12:13], v[60:61]
	v_add_f64 v[14:15], v[2:3], v[14:15]
	v_fma_f64 v[60:61], v[20:21], v[52:53], -v[0:1]
	v_mul_f64 v[20:21], v[20:21], v[54:55]
	ds_read_b128 v[0:3], v30 offset:512
	v_fmac_f64_e32 v[20:21], v[22:23], v[52:53]
	v_add_f64 v[22:23], v[10:11], v[60:61]
	v_add_f64 v[20:21], v[20:21], v[8:9]
	ds_read_b128 v[8:11], v30 offset:768
	s_waitcnt lgkmcnt(1)
	v_mul_f64 v[52:53], v[42:43], v[2:3]
	v_fma_f64 v[52:53], v[40:41], v[0:1], -v[52:53]
	v_add_f64 v[52:53], v[56:57], v[52:53]
	v_mul_f64 v[54:55], v[40:41], v[2:3]
	s_waitcnt lgkmcnt(0)
	v_mul_f64 v[56:57], v[42:43], v[10:11]
	v_fma_f64 v[56:57], v[40:41], v[8:9], -v[56:57]
	v_mul_f64 v[40:41], v[40:41], v[10:11]
	v_fmac_f64_e32 v[40:41], v[42:43], v[8:9]
	v_add_f64 v[36:37], v[40:41], v[36:37]
	v_mul_f64 v[40:41], v[18:19], v[2:3]
	v_mul_f64 v[2:3], v[16:17], v[2:3]
	v_fmac_f64_e32 v[54:55], v[42:43], v[0:1]
	v_fma_f64 v[40:41], v[16:17], v[0:1], -v[40:41]
	v_fmac_f64_e32 v[2:3], v[18:19], v[0:1]
	v_mul_f64 v[0:1], v[18:19], v[10:11]
	v_add_f64 v[40:41], v[12:13], v[40:41]
	v_add_f64 v[42:43], v[2:3], v[14:15]
	v_fma_f64 v[12:13], v[16:17], v[8:9], -v[0:1]
	v_mul_f64 v[10:11], v[16:17], v[10:11]
	ds_read_b128 v[0:3], v30 offset:1024
	v_fmac_f64_e32 v[10:11], v[18:19], v[8:9]
	v_add_f64 v[20:21], v[10:11], v[20:21]
	ds_read_b128 v[8:11], v30 offset:1280
	v_add_f64 v[22:23], v[22:23], v[12:13]
	s_waitcnt lgkmcnt(1)
	v_mul_f64 v[12:13], v[46:47], v[2:3]
	v_fma_f64 v[12:13], v[44:45], v[0:1], -v[12:13]
	v_mul_f64 v[14:15], v[44:45], v[2:3]
	v_add_f64 v[54:55], v[54:55], v[58:59]
	v_fmac_f64_e32 v[14:15], v[46:47], v[0:1]
	v_add_f64 v[52:53], v[52:53], v[12:13]
	s_waitcnt lgkmcnt(0)
	v_mul_f64 v[12:13], v[46:47], v[10:11]
	v_add_f64 v[54:55], v[14:15], v[54:55]
	v_fma_f64 v[16:17], v[44:45], v[8:9], -v[12:13]
	ds_read_b128 v[12:15], v31 offset:2080
	v_mul_f64 v[18:19], v[44:45], v[10:11]
	v_add_f64 v[38:39], v[38:39], v[56:57]
	v_fmac_f64_e32 v[18:19], v[46:47], v[8:9]
	v_add_f64 v[38:39], v[38:39], v[16:17]
	v_add_f64 v[36:37], v[18:19], v[36:37]
	ds_read_b128 v[16:19], v31 offset:2096
	s_waitcnt lgkmcnt(1)
	v_mul_f64 v[44:45], v[14:15], v[2:3]
	v_mul_f64 v[2:3], v[12:13], v[2:3]
	v_fma_f64 v[44:45], v[12:13], v[0:1], -v[44:45]
	v_fmac_f64_e32 v[2:3], v[14:15], v[0:1]
	v_mul_f64 v[0:1], v[14:15], v[10:11]
	v_mul_f64 v[10:11], v[12:13], v[10:11]
	v_fmac_f64_e32 v[10:11], v[14:15], v[8:9]
	v_add_f64 v[40:41], v[40:41], v[44:45]
	v_add_f64 v[42:43], v[2:3], v[42:43]
	v_fma_f64 v[44:45], v[12:13], v[8:9], -v[0:1]
	ds_read_b128 v[0:3], v30 offset:1536
	v_add_f64 v[14:15], v[10:11], v[20:21]
	ds_read_b128 v[8:11], v30 offset:1792
	v_add_f64 v[12:13], v[22:23], v[44:45]
	s_add_i32 s29, s29, 8
	s_waitcnt lgkmcnt(1)
	v_mul_f64 v[20:21], v[50:51], v[2:3]
	v_mul_f64 v[22:23], v[48:49], v[2:3]
	s_waitcnt lgkmcnt(0)
	v_mul_f64 v[44:45], v[50:51], v[10:11]
	v_fma_f64 v[44:45], v[48:49], v[8:9], -v[44:45]
	v_add_f64 v[38:39], v[38:39], v[44:45]
	v_mul_f64 v[44:45], v[18:19], v[2:3]
	v_mul_f64 v[2:3], v[16:17], v[2:3]
	v_fma_f64 v[20:21], v[48:49], v[0:1], -v[20:21]
	v_fmac_f64_e32 v[22:23], v[50:51], v[0:1]
	v_fma_f64 v[44:45], v[16:17], v[0:1], -v[44:45]
	v_fmac_f64_e32 v[2:3], v[18:19], v[0:1]
	v_mul_f64 v[0:1], v[18:19], v[10:11]
	v_mul_f64 v[46:47], v[48:49], v[10:11]
	v_add_f64 v[40:41], v[40:41], v[44:45]
	v_fma_f64 v[44:45], v[16:17], v[8:9], -v[0:1]
	v_mul_f64 v[16:17], v[16:17], v[10:11]
	v_fmac_f64_e32 v[46:47], v[50:51], v[8:9]
	v_add_f64 v[42:43], v[2:3], v[42:43]
	v_fmac_f64_e32 v[16:17], v[18:19], v[8:9]
	ds_read_b128 v[0:3], v31 offset:64
	ds_read_b128 v[8:11], v30 offset:2048
	v_add_f64 v[36:37], v[46:47], v[36:37]
	v_add_f64 v[44:45], v[12:13], v[44:45]
	;; [unrolled: 1-line block ×3, first 2 shown]
	ds_read_b128 v[12:15], v30 offset:2304
	ds_read_b128 v[16:19], v31 offset:80
	s_waitcnt lgkmcnt(2)
	v_mul_f64 v[48:49], v[2:3], v[10:11]
	v_add_f64 v[20:21], v[52:53], v[20:21]
	v_fma_f64 v[48:49], v[0:1], v[8:9], -v[48:49]
	v_mul_f64 v[50:51], v[0:1], v[10:11]
	v_add_f64 v[22:23], v[22:23], v[54:55]
	v_fmac_f64_e32 v[50:51], v[2:3], v[8:9]
	v_add_f64 v[48:49], v[20:21], v[48:49]
	s_waitcnt lgkmcnt(1)
	v_mul_f64 v[20:21], v[2:3], v[14:15]
	v_add_f64 v[50:51], v[50:51], v[22:23]
	v_fma_f64 v[52:53], v[0:1], v[12:13], -v[20:21]
	ds_read_b128 v[20:23], v31 offset:2112
	v_mul_f64 v[0:1], v[0:1], v[14:15]
	v_fmac_f64_e32 v[0:1], v[2:3], v[12:13]
	v_add_f64 v[38:39], v[38:39], v[52:53]
	v_add_f64 v[36:37], v[0:1], v[36:37]
	ds_read_b128 v[0:3], v31 offset:2128
	s_waitcnt lgkmcnt(1)
	v_mul_f64 v[52:53], v[22:23], v[10:11]
	v_mul_f64 v[10:11], v[20:21], v[10:11]
	v_fma_f64 v[52:53], v[20:21], v[8:9], -v[52:53]
	v_fmac_f64_e32 v[10:11], v[22:23], v[8:9]
	v_mul_f64 v[8:9], v[22:23], v[14:15]
	v_add_f64 v[40:41], v[40:41], v[52:53]
	v_add_f64 v[42:43], v[10:11], v[42:43]
	v_fma_f64 v[52:53], v[20:21], v[12:13], -v[8:9]
	v_mul_f64 v[14:15], v[20:21], v[14:15]
	ds_read_b128 v[8:11], v30 offset:2560
	v_fmac_f64_e32 v[14:15], v[22:23], v[12:13]
	v_add_f64 v[22:23], v[14:15], v[46:47]
	ds_read_b128 v[12:15], v30 offset:2816
	v_add_f64 v[20:21], v[44:45], v[52:53]
	s_waitcnt lgkmcnt(1)
	v_mul_f64 v[44:45], v[18:19], v[10:11]
	v_fma_f64 v[44:45], v[16:17], v[8:9], -v[44:45]
	v_add_f64 v[44:45], v[48:49], v[44:45]
	s_waitcnt lgkmcnt(0)
	v_mul_f64 v[48:49], v[18:19], v[14:15]
	v_mul_f64 v[46:47], v[16:17], v[10:11]
	v_fma_f64 v[48:49], v[16:17], v[12:13], -v[48:49]
	v_mul_f64 v[16:17], v[16:17], v[14:15]
	v_fmac_f64_e32 v[16:17], v[18:19], v[12:13]
	v_add_f64 v[36:37], v[16:17], v[36:37]
	v_mul_f64 v[16:17], v[2:3], v[10:11]
	v_mul_f64 v[10:11], v[0:1], v[10:11]
	v_fmac_f64_e32 v[46:47], v[18:19], v[8:9]
	v_fma_f64 v[16:17], v[0:1], v[8:9], -v[16:17]
	v_fmac_f64_e32 v[10:11], v[2:3], v[8:9]
	v_mul_f64 v[8:9], v[2:3], v[14:15]
	v_mul_f64 v[14:15], v[0:1], v[14:15]
	v_add_f64 v[40:41], v[40:41], v[16:17]
	v_add_f64 v[42:43], v[10:11], v[42:43]
	v_fma_f64 v[16:17], v[0:1], v[12:13], -v[8:9]
	v_fmac_f64_e32 v[14:15], v[2:3], v[12:13]
	ds_read_b128 v[0:3], v31 offset:96
	ds_read_b128 v[8:11], v30 offset:3072
	v_add_f64 v[46:47], v[46:47], v[50:51]
	v_add_f64 v[38:39], v[38:39], v[48:49]
	;; [unrolled: 1-line block ×4, first 2 shown]
	ds_read_b128 v[12:15], v30 offset:3328
	ds_read_b128 v[16:19], v31 offset:112
	s_waitcnt lgkmcnt(2)
	v_mul_f64 v[20:21], v[2:3], v[10:11]
	v_fma_f64 v[20:21], v[0:1], v[8:9], -v[20:21]
	v_mul_f64 v[22:23], v[0:1], v[10:11]
	v_fmac_f64_e32 v[22:23], v[2:3], v[8:9]
	v_add_f64 v[44:45], v[44:45], v[20:21]
	s_waitcnt lgkmcnt(1)
	v_mul_f64 v[20:21], v[2:3], v[14:15]
	v_add_f64 v[46:47], v[22:23], v[46:47]
	v_fma_f64 v[52:53], v[0:1], v[12:13], -v[20:21]
	ds_read_b128 v[20:23], v31 offset:2144
	v_mul_f64 v[0:1], v[0:1], v[14:15]
	v_fmac_f64_e32 v[0:1], v[2:3], v[12:13]
	v_add_f64 v[54:55], v[0:1], v[36:37]
	ds_read_b128 v[0:3], v31 offset:2160
	s_waitcnt lgkmcnt(1)
	v_mul_f64 v[36:37], v[22:23], v[10:11]
	v_mul_f64 v[10:11], v[20:21], v[10:11]
	v_fma_f64 v[36:37], v[20:21], v[8:9], -v[36:37]
	v_fmac_f64_e32 v[10:11], v[22:23], v[8:9]
	v_mul_f64 v[8:9], v[22:23], v[14:15]
	v_add_f64 v[40:41], v[40:41], v[36:37]
	v_add_f64 v[42:43], v[10:11], v[42:43]
	v_fma_f64 v[36:37], v[20:21], v[12:13], -v[8:9]
	ds_read_b128 v[8:11], v30 offset:3584
	v_add_f64 v[52:53], v[38:39], v[52:53]
	v_add_f64 v[48:49], v[48:49], v[36:37]
	ds_read_b128 v[36:39], v30 offset:3840
	v_mul_f64 v[14:15], v[20:21], v[14:15]
	v_fmac_f64_e32 v[14:15], v[22:23], v[12:13]
	s_waitcnt lgkmcnt(1)
	v_mul_f64 v[12:13], v[18:19], v[10:11]
	v_fma_f64 v[12:13], v[16:17], v[8:9], -v[12:13]
	v_add_f64 v[50:51], v[14:15], v[50:51]
	v_mul_f64 v[14:15], v[16:17], v[10:11]
	v_add_f64 v[20:21], v[44:45], v[12:13]
	s_waitcnt lgkmcnt(0)
	v_mul_f64 v[12:13], v[18:19], v[38:39]
	v_fmac_f64_e32 v[14:15], v[18:19], v[8:9]
	v_fma_f64 v[12:13], v[16:17], v[36:37], -v[12:13]
	v_add_f64 v[22:23], v[14:15], v[46:47]
	v_mul_f64 v[14:15], v[16:17], v[38:39]
	v_add_f64 v[16:17], v[52:53], v[12:13]
	v_mul_f64 v[12:13], v[2:3], v[10:11]
	v_mul_f64 v[10:11], v[0:1], v[10:11]
	v_fma_f64 v[12:13], v[0:1], v[8:9], -v[12:13]
	v_fmac_f64_e32 v[10:11], v[2:3], v[8:9]
	v_mul_f64 v[8:9], v[2:3], v[38:39]
	v_fma_f64 v[8:9], v[0:1], v[36:37], -v[8:9]
	v_mul_f64 v[0:1], v[0:1], v[38:39]
	v_fmac_f64_e32 v[14:15], v[18:19], v[36:37]
	v_fmac_f64_e32 v[0:1], v[2:3], v[36:37]
	v_add_f64 v[18:19], v[14:15], v[54:55]
	v_add_f64 v[12:13], v[40:41], v[12:13]
	;; [unrolled: 1-line block ×5, first 2 shown]
	v_lshl_add_u64 v[4:5], v[4:5], 0, s[22:23]
	s_cmp_lt_i32 s29, s7
	v_lshl_add_u64 v[6:7], v[6:7], 0, s[16:17]
	s_barrier
	s_cbranch_scc0 .LBB110_14
.LBB110_8:                              ; =>This Inner Loop Header: Depth=1
	v_add_u32_e32 v0, s29, v27
	v_cmp_le_i32_e64 s[2:3], s7, v0
	s_or_b64 s[2:3], s[24:25], s[2:3]
	s_and_saveexec_b64 s[26:27], s[2:3]
	s_xor_b64 s[2:3], exec, s[26:27]
; %bb.9:                                ;   in Loop: Header=BB110_8 Depth=1
	ds_write_b128 v28, v[32:35]
; %bb.10:                               ;   in Loop: Header=BB110_8 Depth=1
	s_andn2_saveexec_b64 s[2:3], s[2:3]
	s_cbranch_execz .LBB110_12
; %bb.11:                               ;   in Loop: Header=BB110_8 Depth=1
	global_load_dwordx4 v[0:3], v[4:5], off
	s_waitcnt vmcnt(0)
	ds_write2_b64 v28, v[0:1], v[2:3] offset1:1
.LBB110_12:                             ;   in Loop: Header=BB110_8 Depth=1
	s_or_b64 exec, exec, s[2:3]
	v_add_u32_e32 v0, s29, v26
	v_cmp_gt_i32_e64 s[2:3], s7, v0
	s_and_b64 s[26:27], s[2:3], vcc
	v_mov_b64_e32 v[0:1], 0
	v_mov_b64_e32 v[2:3], 0
	s_and_saveexec_b64 s[2:3], s[26:27]
	s_cbranch_execz .LBB110_7
; %bb.13:                               ;   in Loop: Header=BB110_8 Depth=1
	global_load_dwordx4 v[0:3], v[6:7], off offset:-8
	s_waitcnt vmcnt(0)
	v_xor_b32_e32 v3, 0x80000000, v3
	s_branch .LBB110_7
.LBB110_14:
	s_load_dwordx2 s[2:3], s[0:1], 0x58
	s_load_dword s7, s[0:1], 0x50
	v_add_u32_e32 v4, s5, v25
	v_add_u32_e32 v26, s28, v24
	v_cmp_le_i32_e32 vcc, v4, v26
	s_waitcnt lgkmcnt(0)
	s_mul_i32 s1, s3, s4
	s_mul_hi_u32 s3, s2, s4
	s_mul_i32 s0, s2, s4
	s_add_i32 s1, s3, s1
	s_lshl_b64 s[0:1], s[0:1], 4
	s_add_u32 s4, s20, s0
	s_addc_u32 s5, s21, s1
	v_cmp_neq_f64_e64 s[0:1], s[8:9], 0
	s_xor_b64 s[16:17], s[18:19], -1
	v_mad_i64_i32 v[0:1], s[18:19], v26, s7, 0
	s_or_b64 s[0:1], s[0:1], s[16:17]
	v_cmp_gt_i32_e64 s[2:3], s6, v26
	v_lshl_add_u64 v[24:25], v[0:1], 4, s[4:5]
	v_cndmask_b32_e64 v0, 0, 1, s[0:1]
	s_and_b64 s[18:19], s[2:3], vcc
	v_ashrrev_i32_e32 v5, 31, v4
	v_cmp_ne_u32_e64 s[0:1], 1, v0
	s_and_saveexec_b64 s[16:17], s[18:19]
	s_cbranch_execz .LBB110_18
; %bb.15:
	v_mul_f64 v[0:1], s[14:15], v[22:23]
	v_mul_f64 v[2:3], s[12:13], v[22:23]
	v_fma_f64 v[0:1], s[12:13], v[20:21], -v[0:1]
	v_fmac_f64_e32 v[2:3], s[14:15], v[20:21]
	s_and_b64 vcc, exec, s[0:1]
	v_lshl_add_u64 v[6:7], v[4:5], 4, v[24:25]
	s_cbranch_vccnz .LBB110_17
; %bb.16:
	global_load_dwordx4 v[20:23], v[6:7], off
	s_waitcnt vmcnt(0)
	v_mul_f64 v[28:29], s[10:11], v[22:23]
	v_mul_f64 v[22:23], s[8:9], v[22:23]
	v_fma_f64 v[28:29], s[8:9], v[20:21], -v[28:29]
	v_fmac_f64_e32 v[22:23], s[10:11], v[20:21]
	v_add_f64 v[0:1], v[0:1], v[28:29]
	v_add_f64 v[2:3], v[2:3], v[22:23]
.LBB110_17:
	global_store_dwordx4 v[6:7], v[0:3], off
.LBB110_18:
	s_or_b64 exec, exec, s[16:17]
	v_add_u32_e32 v6, 16, v4
	v_cmp_le_i32_e32 vcc, v6, v26
	s_and_b64 s[16:17], s[2:3], vcc
	v_ashrrev_i32_e32 v7, 31, v6
	s_and_saveexec_b64 s[2:3], s[16:17]
	s_cbranch_execz .LBB110_22
; %bb.19:
	v_mul_f64 v[0:1], s[14:15], v[18:19]
	v_mul_f64 v[2:3], s[12:13], v[18:19]
	v_fma_f64 v[0:1], s[12:13], v[16:17], -v[0:1]
	v_fmac_f64_e32 v[2:3], s[14:15], v[16:17]
	s_and_b64 vcc, exec, s[0:1]
	v_lshl_add_u64 v[16:17], v[6:7], 4, v[24:25]
	s_cbranch_vccnz .LBB110_21
; %bb.20:
	global_load_dwordx4 v[18:21], v[16:17], off
	s_waitcnt vmcnt(0)
	v_mul_f64 v[22:23], s[10:11], v[20:21]
	v_mul_f64 v[20:21], s[8:9], v[20:21]
	v_fma_f64 v[22:23], s[8:9], v[18:19], -v[22:23]
	v_fmac_f64_e32 v[20:21], s[10:11], v[18:19]
	v_add_f64 v[0:1], v[0:1], v[22:23]
	v_add_f64 v[2:3], v[2:3], v[20:21]
.LBB110_21:
	global_store_dwordx4 v[16:17], v[0:3], off
.LBB110_22:
	s_or_b64 exec, exec, s[2:3]
	v_add_u32_e32 v18, 16, v26
	v_cmp_gt_i32_e64 s[2:3], s6, v18
	v_mad_i64_i32 v[0:1], s[6:7], v18, s7, 0
	v_cmp_le_i32_e32 vcc, v4, v18
	v_lshl_add_u64 v[16:17], v[0:1], 4, s[4:5]
	s_and_b64 s[6:7], s[2:3], vcc
	s_and_saveexec_b64 s[4:5], s[6:7]
	s_cbranch_execz .LBB110_26
; %bb.23:
	v_mul_f64 v[0:1], s[14:15], v[14:15]
	v_mul_f64 v[2:3], s[12:13], v[14:15]
	v_fma_f64 v[0:1], s[12:13], v[12:13], -v[0:1]
	v_fmac_f64_e32 v[2:3], s[14:15], v[12:13]
	s_and_b64 vcc, exec, s[0:1]
	v_lshl_add_u64 v[4:5], v[4:5], 4, v[16:17]
	s_cbranch_vccnz .LBB110_25
; %bb.24:
	global_load_dwordx4 v[12:15], v[4:5], off
	s_waitcnt vmcnt(0)
	v_mul_f64 v[20:21], s[10:11], v[14:15]
	v_mul_f64 v[14:15], s[8:9], v[14:15]
	v_fma_f64 v[20:21], s[8:9], v[12:13], -v[20:21]
	v_fmac_f64_e32 v[14:15], s[10:11], v[12:13]
	v_add_f64 v[0:1], v[0:1], v[20:21]
	v_add_f64 v[2:3], v[2:3], v[14:15]
.LBB110_25:
	global_store_dwordx4 v[4:5], v[0:3], off
.LBB110_26:
	s_or_b64 exec, exec, s[4:5]
	v_cmp_le_i32_e32 vcc, v6, v18
	s_and_b64 s[2:3], s[2:3], vcc
	s_and_saveexec_b64 s[4:5], s[2:3]
	s_cbranch_execz .LBB110_30
; %bb.27:
	v_mul_f64 v[0:1], s[14:15], v[8:9]
	v_mul_f64 v[2:3], s[12:13], v[8:9]
	v_fma_f64 v[0:1], s[12:13], v[10:11], -v[0:1]
	v_fmac_f64_e32 v[2:3], s[14:15], v[10:11]
	s_and_b64 vcc, exec, s[0:1]
	v_lshl_add_u64 v[4:5], v[6:7], 4, v[16:17]
	s_cbranch_vccnz .LBB110_29
; %bb.28:
	global_load_dwordx4 v[6:9], v[4:5], off
	s_waitcnt vmcnt(0)
	v_mul_f64 v[10:11], s[10:11], v[8:9]
	v_mul_f64 v[8:9], s[8:9], v[8:9]
	v_fma_f64 v[10:11], s[8:9], v[6:7], -v[10:11]
	v_fmac_f64_e32 v[8:9], s[10:11], v[6:7]
	v_add_f64 v[0:1], v[0:1], v[10:11]
	v_add_f64 v[2:3], v[2:3], v[8:9]
.LBB110_29:
	global_store_dwordx4 v[4:5], v[0:3], off
.LBB110_30:
	s_endpgm
	.section	.rodata,"a",@progbits
	.p2align	6, 0x0
	.amdhsa_kernel _ZL29rocblas_internal_gemmt_kernelIiLi16ELi32ELi8ELc78ELc67ELc85ELb0ELb1E19rocblas_complex_numIdEPKS1_S3_PS1_EviT_T9_T10_S5_lS7_S5_lS6_T11_S5_li
		.amdhsa_group_segment_fixed_size 8192
		.amdhsa_private_segment_fixed_size 0
		.amdhsa_kernarg_size 100
		.amdhsa_user_sgpr_count 2
		.amdhsa_user_sgpr_dispatch_ptr 0
		.amdhsa_user_sgpr_queue_ptr 0
		.amdhsa_user_sgpr_kernarg_segment_ptr 1
		.amdhsa_user_sgpr_dispatch_id 0
		.amdhsa_user_sgpr_kernarg_preload_length 0
		.amdhsa_user_sgpr_kernarg_preload_offset 0
		.amdhsa_user_sgpr_private_segment_size 0
		.amdhsa_uses_dynamic_stack 0
		.amdhsa_enable_private_segment 0
		.amdhsa_system_sgpr_workgroup_id_x 1
		.amdhsa_system_sgpr_workgroup_id_y 1
		.amdhsa_system_sgpr_workgroup_id_z 1
		.amdhsa_system_sgpr_workgroup_info 0
		.amdhsa_system_vgpr_workitem_id 1
		.amdhsa_next_free_vgpr 62
		.amdhsa_next_free_sgpr 38
		.amdhsa_accum_offset 64
		.amdhsa_reserve_vcc 1
		.amdhsa_float_round_mode_32 0
		.amdhsa_float_round_mode_16_64 0
		.amdhsa_float_denorm_mode_32 3
		.amdhsa_float_denorm_mode_16_64 3
		.amdhsa_dx10_clamp 1
		.amdhsa_ieee_mode 1
		.amdhsa_fp16_overflow 0
		.amdhsa_tg_split 0
		.amdhsa_exception_fp_ieee_invalid_op 0
		.amdhsa_exception_fp_denorm_src 0
		.amdhsa_exception_fp_ieee_div_zero 0
		.amdhsa_exception_fp_ieee_overflow 0
		.amdhsa_exception_fp_ieee_underflow 0
		.amdhsa_exception_fp_ieee_inexact 0
		.amdhsa_exception_int_div_zero 0
	.end_amdhsa_kernel
	.section	.text._ZL29rocblas_internal_gemmt_kernelIiLi16ELi32ELi8ELc78ELc67ELc85ELb0ELb1E19rocblas_complex_numIdEPKS1_S3_PS1_EviT_T9_T10_S5_lS7_S5_lS6_T11_S5_li,"axG",@progbits,_ZL29rocblas_internal_gemmt_kernelIiLi16ELi32ELi8ELc78ELc67ELc85ELb0ELb1E19rocblas_complex_numIdEPKS1_S3_PS1_EviT_T9_T10_S5_lS7_S5_lS6_T11_S5_li,comdat
.Lfunc_end110:
	.size	_ZL29rocblas_internal_gemmt_kernelIiLi16ELi32ELi8ELc78ELc67ELc85ELb0ELb1E19rocblas_complex_numIdEPKS1_S3_PS1_EviT_T9_T10_S5_lS7_S5_lS6_T11_S5_li, .Lfunc_end110-_ZL29rocblas_internal_gemmt_kernelIiLi16ELi32ELi8ELc78ELc67ELc85ELb0ELb1E19rocblas_complex_numIdEPKS1_S3_PS1_EviT_T9_T10_S5_lS7_S5_lS6_T11_S5_li
                                        ; -- End function
	.set _ZL29rocblas_internal_gemmt_kernelIiLi16ELi32ELi8ELc78ELc67ELc85ELb0ELb1E19rocblas_complex_numIdEPKS1_S3_PS1_EviT_T9_T10_S5_lS7_S5_lS6_T11_S5_li.num_vgpr, 62
	.set _ZL29rocblas_internal_gemmt_kernelIiLi16ELi32ELi8ELc78ELc67ELc85ELb0ELb1E19rocblas_complex_numIdEPKS1_S3_PS1_EviT_T9_T10_S5_lS7_S5_lS6_T11_S5_li.num_agpr, 0
	.set _ZL29rocblas_internal_gemmt_kernelIiLi16ELi32ELi8ELc78ELc67ELc85ELb0ELb1E19rocblas_complex_numIdEPKS1_S3_PS1_EviT_T9_T10_S5_lS7_S5_lS6_T11_S5_li.numbered_sgpr, 38
	.set _ZL29rocblas_internal_gemmt_kernelIiLi16ELi32ELi8ELc78ELc67ELc85ELb0ELb1E19rocblas_complex_numIdEPKS1_S3_PS1_EviT_T9_T10_S5_lS7_S5_lS6_T11_S5_li.num_named_barrier, 0
	.set _ZL29rocblas_internal_gemmt_kernelIiLi16ELi32ELi8ELc78ELc67ELc85ELb0ELb1E19rocblas_complex_numIdEPKS1_S3_PS1_EviT_T9_T10_S5_lS7_S5_lS6_T11_S5_li.private_seg_size, 0
	.set _ZL29rocblas_internal_gemmt_kernelIiLi16ELi32ELi8ELc78ELc67ELc85ELb0ELb1E19rocblas_complex_numIdEPKS1_S3_PS1_EviT_T9_T10_S5_lS7_S5_lS6_T11_S5_li.uses_vcc, 1
	.set _ZL29rocblas_internal_gemmt_kernelIiLi16ELi32ELi8ELc78ELc67ELc85ELb0ELb1E19rocblas_complex_numIdEPKS1_S3_PS1_EviT_T9_T10_S5_lS7_S5_lS6_T11_S5_li.uses_flat_scratch, 0
	.set _ZL29rocblas_internal_gemmt_kernelIiLi16ELi32ELi8ELc78ELc67ELc85ELb0ELb1E19rocblas_complex_numIdEPKS1_S3_PS1_EviT_T9_T10_S5_lS7_S5_lS6_T11_S5_li.has_dyn_sized_stack, 0
	.set _ZL29rocblas_internal_gemmt_kernelIiLi16ELi32ELi8ELc78ELc67ELc85ELb0ELb1E19rocblas_complex_numIdEPKS1_S3_PS1_EviT_T9_T10_S5_lS7_S5_lS6_T11_S5_li.has_recursion, 0
	.set _ZL29rocblas_internal_gemmt_kernelIiLi16ELi32ELi8ELc78ELc67ELc85ELb0ELb1E19rocblas_complex_numIdEPKS1_S3_PS1_EviT_T9_T10_S5_lS7_S5_lS6_T11_S5_li.has_indirect_call, 0
	.section	.AMDGPU.csdata,"",@progbits
; Kernel info:
; codeLenInByte = 3136
; TotalNumSgprs: 44
; NumVgprs: 62
; NumAgprs: 0
; TotalNumVgprs: 62
; ScratchSize: 0
; MemoryBound: 1
; FloatMode: 240
; IeeeMode: 1
; LDSByteSize: 8192 bytes/workgroup (compile time only)
; SGPRBlocks: 5
; VGPRBlocks: 7
; NumSGPRsForWavesPerEU: 44
; NumVGPRsForWavesPerEU: 62
; AccumOffset: 64
; Occupancy: 8
; WaveLimiterHint : 0
; COMPUTE_PGM_RSRC2:SCRATCH_EN: 0
; COMPUTE_PGM_RSRC2:USER_SGPR: 2
; COMPUTE_PGM_RSRC2:TRAP_HANDLER: 0
; COMPUTE_PGM_RSRC2:TGID_X_EN: 1
; COMPUTE_PGM_RSRC2:TGID_Y_EN: 1
; COMPUTE_PGM_RSRC2:TGID_Z_EN: 1
; COMPUTE_PGM_RSRC2:TIDIG_COMP_CNT: 1
; COMPUTE_PGM_RSRC3_GFX90A:ACCUM_OFFSET: 15
; COMPUTE_PGM_RSRC3_GFX90A:TG_SPLIT: 0
	.section	.text._ZL29rocblas_internal_gemmt_kernelIiLi16ELi32ELi8ELc84ELc78ELc85ELb0ELb0E19rocblas_complex_numIdEPKS1_S3_PS1_EviT_T9_T10_S5_lS7_S5_lS6_T11_S5_li,"axG",@progbits,_ZL29rocblas_internal_gemmt_kernelIiLi16ELi32ELi8ELc84ELc78ELc85ELb0ELb0E19rocblas_complex_numIdEPKS1_S3_PS1_EviT_T9_T10_S5_lS7_S5_lS6_T11_S5_li,comdat
	.globl	_ZL29rocblas_internal_gemmt_kernelIiLi16ELi32ELi8ELc84ELc78ELc85ELb0ELb0E19rocblas_complex_numIdEPKS1_S3_PS1_EviT_T9_T10_S5_lS7_S5_lS6_T11_S5_li ; -- Begin function _ZL29rocblas_internal_gemmt_kernelIiLi16ELi32ELi8ELc84ELc78ELc85ELb0ELb0E19rocblas_complex_numIdEPKS1_S3_PS1_EviT_T9_T10_S5_lS7_S5_lS6_T11_S5_li
	.p2align	8
	.type	_ZL29rocblas_internal_gemmt_kernelIiLi16ELi32ELi8ELc84ELc78ELc85ELb0ELb0E19rocblas_complex_numIdEPKS1_S3_PS1_EviT_T9_T10_S5_lS7_S5_lS6_T11_S5_li,@function
_ZL29rocblas_internal_gemmt_kernelIiLi16ELi32ELi8ELc84ELc78ELc85ELb0ELb0E19rocblas_complex_numIdEPKS1_S3_PS1_EviT_T9_T10_S5_lS7_S5_lS6_T11_S5_li: ; @_ZL29rocblas_internal_gemmt_kernelIiLi16ELi32ELi8ELc84ELc78ELc85ELb0ELb0E19rocblas_complex_numIdEPKS1_S3_PS1_EviT_T9_T10_S5_lS7_S5_lS6_T11_S5_li
; %bb.0:
	s_load_dwordx4 s[16:19], s[0:1], 0x38
	s_load_dwordx4 s[20:23], s[0:1], 0x8
	s_mov_b64 s[24:25], 0
	s_waitcnt lgkmcnt(0)
	s_load_dwordx4 s[8:11], s[18:19], 0x0
	s_load_dwordx2 s[6:7], s[0:1], 0x0
	s_load_dwordx4 s[12:15], s[20:21], 0x0
	s_waitcnt lgkmcnt(0)
	v_cmp_eq_f64_e64 s[20:21], s[8:9], 1.0
	v_cmp_eq_f64_e64 s[18:19], s[10:11], 0
	s_and_b64 s[20:21], s[20:21], s[18:19]
	s_andn2_b64 vcc, exec, s[20:21]
	s_mov_b64 s[20:21], -1
	s_cbranch_vccnz .LBB111_4
; %bb.1:
	s_cmp_lg_u32 s7, 0
	s_cbranch_scc0 .LBB111_3
; %bb.2:
	v_cmp_neq_f64_e64 s[20:21], s[12:13], 0
	v_cmp_neq_f64_e64 s[24:25], s[14:15], 0
	s_or_b64 s[24:25], s[20:21], s[24:25]
.LBB111_3:
	s_mov_b64 s[20:21], s[24:25]
.LBB111_4:
	s_and_b64 vcc, exec, s[20:21]
	s_cbranch_vccz .LBB111_32
; %bb.5:
	s_lshl_b32 s5, s2, 5
	s_lshl_b32 s28, s3, 5
	v_cmp_eq_f64_e64 s[2:3], s[12:13], 0
	v_cmp_eq_f64_e64 s[24:25], s[14:15], 0
	s_load_dwordx2 s[20:21], s[0:1], 0x48
	s_and_b64 s[2:3], s[2:3], s[24:25]
	s_cmp_lt_i32 s7, 1
	s_cselect_b64 s[24:25], -1, 0
	s_or_b64 s[2:3], s[2:3], s[24:25]
	v_and_b32_e32 v25, 0x3ff, v0
	v_bfe_u32 v24, v0, 10, 10
	s_mov_b32 s29, 0
	v_mov_b64_e32 v[20:21], 0
	s_and_b64 vcc, exec, s[2:3]
	v_mov_b64_e32 v[22:23], 0
	v_mov_b64_e32 v[16:17], 0
	;; [unrolled: 1-line block ×7, first 2 shown]
	s_cbranch_vccnz .LBB111_16
; %bb.6:
	v_lshl_add_u32 v0, v24, 4, v25
	v_lshrrev_b32_e32 v27, 5, v0
	v_lshrrev_b32_e32 v1, 3, v0
	v_and_b32_e32 v0, 31, v0
	v_or_b32_e32 v2, s5, v0
	v_and_b32_e32 v26, 7, v25
	v_cmp_gt_i32_e32 vcc, s6, v2
	v_lshlrev_b32_e32 v2, 4, v0
	s_load_dword s30, s[0:1], 0x18
	s_load_dwordx4 s[24:27], s[0:1], 0x20
	s_load_dword s33, s[0:1], 0x30
	v_lshl_or_b32 v28, v27, 9, v2
	v_lshlrev_b32_e32 v2, 4, v26
	v_add_u32_e32 v3, s28, v1
	v_lshl_or_b32 v1, v1, 7, v2
	v_add_u32_e32 v29, 0x1000, v1
	v_mov_b32_e32 v1, 0x1000
	v_add_u32_e32 v0, s5, v0
	v_lshl_add_u32 v31, v24, 7, v1
	s_waitcnt lgkmcnt(0)
	v_mad_i64_i32 v[0:1], s[30:31], s30, v0, 0
	s_mul_i32 s25, s25, s4
	s_mul_hi_u32 s30, s24, s4
	s_add_i32 s25, s30, s25
	s_mul_i32 s24, s24, s4
	s_lshl_b64 s[24:25], s[24:25], 4
	v_lshl_add_u64 v[4:5], v[0:1], 4, s[24:25]
	v_lshlrev_b32_e32 v0, 4, v27
	v_mov_b32_e32 v1, 0
	v_lshl_add_u64 v[4:5], v[4:5], 0, v[0:1]
	v_lshl_add_u64 v[4:5], s[22:23], 0, v[4:5]
	v_mad_i64_i32 v[6:7], s[22:23], s33, v3, 0
	s_mul_i32 s17, s17, s4
	s_mul_hi_u32 s22, s16, s4
	s_add_i32 s17, s22, s17
	s_mul_i32 s16, s16, s4
	s_lshl_b64 s[16:17], s[16:17], 4
	v_cmp_gt_i32_e64 s[2:3], s6, v3
	v_lshl_add_u64 v[6:7], v[6:7], 4, s[16:17]
	v_mov_b32_e32 v3, v1
	v_lshl_add_u64 v[2:3], v[6:7], 0, v[2:3]
	v_lshlrev_b32_e32 v30, 4, v25
	v_lshl_add_u64 v[6:7], s[26:27], 0, v[2:3]
	v_mov_b64_e32 v[8:9], 0
	s_xor_b64 s[16:17], vcc, -1
	s_xor_b64 s[2:3], s[2:3], -1
	s_mov_b64 s[22:23], 0x80
	v_mov_b32_e32 v0, v1
	v_mov_b32_e32 v2, v1
	;; [unrolled: 1-line block ×3, first 2 shown]
	v_mov_b64_e32 v[10:11], 0
	v_mov_b64_e32 v[14:15], 0
	;; [unrolled: 1-line block ×7, first 2 shown]
	s_branch .LBB111_8
.LBB111_7:                              ;   in Loop: Header=BB111_8 Depth=1
	s_or_b64 exec, exec, s[24:25]
	s_waitcnt lgkmcnt(0)
	s_barrier
	ds_read_b128 v[32:35], v30
	ds_read_b128 v[36:39], v31
	ds_read_b128 v[40:43], v31 offset:16
	ds_read_b128 v[44:47], v31 offset:32
	ds_read_b128 v[48:51], v31 offset:48
	ds_read_b128 v[52:55], v30 offset:256
	s_waitcnt lgkmcnt(4)
	v_mul_f64 v[56:57], v[38:39], v[34:35]
	v_fma_f64 v[56:57], v[36:37], v[32:33], -v[56:57]
	v_mul_f64 v[58:59], v[36:37], v[34:35]
	v_fmac_f64_e32 v[58:59], v[38:39], v[32:33]
	v_add_f64 v[56:57], v[20:21], v[56:57]
	s_waitcnt lgkmcnt(0)
	v_mul_f64 v[20:21], v[38:39], v[54:55]
	v_add_f64 v[58:59], v[58:59], v[22:23]
	v_fma_f64 v[60:61], v[36:37], v[52:53], -v[20:21]
	ds_read_b128 v[20:23], v31 offset:2048
	v_mul_f64 v[36:37], v[36:37], v[54:55]
	v_fmac_f64_e32 v[36:37], v[38:39], v[52:53]
	v_add_f64 v[38:39], v[16:17], v[60:61]
	v_add_f64 v[36:37], v[36:37], v[18:19]
	ds_read_b128 v[16:19], v31 offset:2064
	s_waitcnt lgkmcnt(1)
	v_mul_f64 v[60:61], v[22:23], v[34:35]
	v_fma_f64 v[60:61], v[20:21], v[32:33], -v[60:61]
	v_mul_f64 v[34:35], v[20:21], v[34:35]
	v_fmac_f64_e32 v[34:35], v[22:23], v[32:33]
	v_add_f64 v[32:33], v[12:13], v[60:61]
	v_mul_f64 v[12:13], v[22:23], v[54:55]
	v_add_f64 v[34:35], v[34:35], v[14:15]
	v_fma_f64 v[60:61], v[20:21], v[52:53], -v[12:13]
	v_mul_f64 v[20:21], v[20:21], v[54:55]
	ds_read_b128 v[12:15], v30 offset:512
	v_fmac_f64_e32 v[20:21], v[22:23], v[52:53]
	v_add_f64 v[22:23], v[10:11], v[60:61]
	v_add_f64 v[20:21], v[20:21], v[8:9]
	ds_read_b128 v[8:11], v30 offset:768
	s_waitcnt lgkmcnt(1)
	v_mul_f64 v[52:53], v[42:43], v[14:15]
	v_fma_f64 v[52:53], v[40:41], v[12:13], -v[52:53]
	v_add_f64 v[52:53], v[56:57], v[52:53]
	v_mul_f64 v[54:55], v[40:41], v[14:15]
	s_waitcnt lgkmcnt(0)
	v_mul_f64 v[56:57], v[42:43], v[10:11]
	v_fma_f64 v[56:57], v[40:41], v[8:9], -v[56:57]
	v_mul_f64 v[40:41], v[40:41], v[10:11]
	v_fmac_f64_e32 v[40:41], v[42:43], v[8:9]
	v_add_f64 v[36:37], v[40:41], v[36:37]
	v_mul_f64 v[40:41], v[18:19], v[14:15]
	v_mul_f64 v[14:15], v[16:17], v[14:15]
	v_fmac_f64_e32 v[54:55], v[42:43], v[12:13]
	v_fma_f64 v[40:41], v[16:17], v[12:13], -v[40:41]
	v_fmac_f64_e32 v[14:15], v[18:19], v[12:13]
	v_mul_f64 v[12:13], v[18:19], v[10:11]
	v_add_f64 v[42:43], v[14:15], v[34:35]
	v_fma_f64 v[14:15], v[16:17], v[8:9], -v[12:13]
	v_mul_f64 v[16:17], v[16:17], v[10:11]
	ds_read_b128 v[10:13], v30 offset:1024
	v_fmac_f64_e32 v[16:17], v[18:19], v[8:9]
	v_add_f64 v[38:39], v[38:39], v[56:57]
	v_add_f64 v[22:23], v[22:23], v[14:15]
	;; [unrolled: 1-line block ×3, first 2 shown]
	ds_read_b128 v[14:17], v30 offset:1280
	s_waitcnt lgkmcnt(1)
	v_mul_f64 v[18:19], v[44:45], v[12:13]
	v_add_f64 v[54:55], v[54:55], v[58:59]
	v_fmac_f64_e32 v[18:19], v[46:47], v[10:11]
	v_add_f64 v[54:55], v[18:19], v[54:55]
	ds_read_b128 v[18:21], v31 offset:2080
	v_mul_f64 v[8:9], v[46:47], v[12:13]
	v_fma_f64 v[8:9], v[44:45], v[10:11], -v[8:9]
	v_add_f64 v[40:41], v[32:33], v[40:41]
	v_add_f64 v[52:53], v[52:53], v[8:9]
	s_waitcnt lgkmcnt(1)
	v_mul_f64 v[8:9], v[46:47], v[16:17]
	v_mul_f64 v[32:33], v[44:45], v[16:17]
	v_fma_f64 v[8:9], v[44:45], v[14:15], -v[8:9]
	v_fmac_f64_e32 v[32:33], v[46:47], v[14:15]
	v_add_f64 v[38:39], v[38:39], v[8:9]
	v_add_f64 v[36:37], v[32:33], v[36:37]
	ds_read_b128 v[32:35], v31 offset:2096
	s_waitcnt lgkmcnt(1)
	v_mul_f64 v[8:9], v[20:21], v[12:13]
	v_fma_f64 v[8:9], v[18:19], v[10:11], -v[8:9]
	v_mul_f64 v[12:13], v[18:19], v[12:13]
	v_fmac_f64_e32 v[12:13], v[20:21], v[10:11]
	v_add_f64 v[40:41], v[40:41], v[8:9]
	v_mul_f64 v[8:9], v[20:21], v[16:17]
	v_add_f64 v[42:43], v[12:13], v[42:43]
	v_fma_f64 v[12:13], v[18:19], v[14:15], -v[8:9]
	ds_read_b128 v[8:11], v30 offset:1536
	v_mul_f64 v[16:17], v[18:19], v[16:17]
	v_fmac_f64_e32 v[16:17], v[20:21], v[14:15]
	v_add_f64 v[18:19], v[22:23], v[12:13]
	ds_read_b128 v[12:15], v30 offset:1792
	s_waitcnt lgkmcnt(1)
	v_mul_f64 v[20:21], v[50:51], v[10:11]
	v_fma_f64 v[20:21], v[48:49], v[8:9], -v[20:21]
	v_mul_f64 v[22:23], v[48:49], v[10:11]
	v_fmac_f64_e32 v[22:23], v[50:51], v[8:9]
	v_add_f64 v[44:45], v[52:53], v[20:21]
	s_waitcnt lgkmcnt(0)
	v_mul_f64 v[20:21], v[50:51], v[14:15]
	v_add_f64 v[46:47], v[22:23], v[54:55]
	v_fma_f64 v[20:21], v[48:49], v[12:13], -v[20:21]
	v_mul_f64 v[22:23], v[48:49], v[14:15]
	v_fmac_f64_e32 v[22:23], v[50:51], v[12:13]
	v_add_f64 v[38:39], v[38:39], v[20:21]
	v_mul_f64 v[20:21], v[34:35], v[10:11]
	v_mul_f64 v[10:11], v[32:33], v[10:11]
	v_add_f64 v[36:37], v[22:23], v[36:37]
	v_fma_f64 v[20:21], v[32:33], v[8:9], -v[20:21]
	v_fmac_f64_e32 v[10:11], v[34:35], v[8:9]
	v_mul_f64 v[8:9], v[34:35], v[14:15]
	v_mul_f64 v[22:23], v[32:33], v[14:15]
	v_add_f64 v[40:41], v[40:41], v[20:21]
	v_add_f64 v[42:43], v[10:11], v[42:43]
	v_fma_f64 v[20:21], v[32:33], v[12:13], -v[8:9]
	v_fmac_f64_e32 v[22:23], v[34:35], v[12:13]
	ds_read_b128 v[8:11], v31 offset:64
	ds_read_b128 v[12:15], v30 offset:2048
	v_add_f64 v[16:17], v[16:17], v[56:57]
	v_add_f64 v[48:49], v[18:19], v[20:21]
	;; [unrolled: 1-line block ×3, first 2 shown]
	ds_read_b128 v[16:19], v30 offset:2304
	ds_read_b128 v[20:23], v31 offset:80
	s_waitcnt lgkmcnt(2)
	v_mul_f64 v[32:33], v[10:11], v[14:15]
	v_fma_f64 v[32:33], v[8:9], v[12:13], -v[32:33]
	v_mul_f64 v[34:35], v[8:9], v[14:15]
	v_fmac_f64_e32 v[34:35], v[10:11], v[12:13]
	v_add_f64 v[44:45], v[44:45], v[32:33]
	s_waitcnt lgkmcnt(1)
	v_mul_f64 v[32:33], v[10:11], v[18:19]
	v_add_f64 v[46:47], v[34:35], v[46:47]
	v_fma_f64 v[52:53], v[8:9], v[16:17], -v[32:33]
	ds_read_b128 v[32:35], v31 offset:2112
	v_mul_f64 v[8:9], v[8:9], v[18:19]
	v_fmac_f64_e32 v[8:9], v[10:11], v[16:17]
	v_add_f64 v[38:39], v[38:39], v[52:53]
	v_add_f64 v[36:37], v[8:9], v[36:37]
	ds_read_b128 v[8:11], v31 offset:2128
	s_waitcnt lgkmcnt(1)
	v_mul_f64 v[52:53], v[34:35], v[14:15]
	v_mul_f64 v[14:15], v[32:33], v[14:15]
	v_fma_f64 v[52:53], v[32:33], v[12:13], -v[52:53]
	v_fmac_f64_e32 v[14:15], v[34:35], v[12:13]
	v_mul_f64 v[12:13], v[34:35], v[18:19]
	v_add_f64 v[40:41], v[40:41], v[52:53]
	v_add_f64 v[42:43], v[14:15], v[42:43]
	v_fma_f64 v[52:53], v[32:33], v[16:17], -v[12:13]
	v_mul_f64 v[18:19], v[32:33], v[18:19]
	ds_read_b128 v[12:15], v30 offset:2560
	v_fmac_f64_e32 v[18:19], v[34:35], v[16:17]
	v_add_f64 v[34:35], v[18:19], v[50:51]
	ds_read_b128 v[16:19], v30 offset:2816
	v_add_f64 v[32:33], v[48:49], v[52:53]
	s_waitcnt lgkmcnt(1)
	v_mul_f64 v[48:49], v[22:23], v[14:15]
	v_fma_f64 v[48:49], v[20:21], v[12:13], -v[48:49]
	v_add_f64 v[44:45], v[44:45], v[48:49]
	s_waitcnt lgkmcnt(0)
	v_mul_f64 v[48:49], v[22:23], v[18:19]
	v_mul_f64 v[50:51], v[20:21], v[14:15]
	v_fma_f64 v[48:49], v[20:21], v[16:17], -v[48:49]
	v_mul_f64 v[20:21], v[20:21], v[18:19]
	v_fmac_f64_e32 v[20:21], v[22:23], v[16:17]
	v_add_f64 v[36:37], v[20:21], v[36:37]
	v_mul_f64 v[20:21], v[10:11], v[14:15]
	v_mul_f64 v[14:15], v[8:9], v[14:15]
	v_fmac_f64_e32 v[50:51], v[22:23], v[12:13]
	v_fma_f64 v[20:21], v[8:9], v[12:13], -v[20:21]
	v_fmac_f64_e32 v[14:15], v[10:11], v[12:13]
	v_mul_f64 v[12:13], v[10:11], v[18:19]
	v_mul_f64 v[18:19], v[8:9], v[18:19]
	v_add_f64 v[40:41], v[40:41], v[20:21]
	v_add_f64 v[42:43], v[14:15], v[42:43]
	v_fma_f64 v[20:21], v[8:9], v[16:17], -v[12:13]
	v_fmac_f64_e32 v[18:19], v[10:11], v[16:17]
	ds_read_b128 v[8:11], v31 offset:96
	ds_read_b128 v[12:15], v30 offset:3072
	v_add_f64 v[46:47], v[50:51], v[46:47]
	v_add_f64 v[38:39], v[38:39], v[48:49]
	;; [unrolled: 1-line block ×4, first 2 shown]
	ds_read_b128 v[16:19], v30 offset:3328
	ds_read_b128 v[32:35], v31 offset:112
	s_waitcnt lgkmcnt(2)
	v_mul_f64 v[20:21], v[10:11], v[14:15]
	v_fma_f64 v[20:21], v[8:9], v[12:13], -v[20:21]
	v_mul_f64 v[22:23], v[8:9], v[14:15]
	v_fmac_f64_e32 v[22:23], v[10:11], v[12:13]
	v_add_f64 v[44:45], v[44:45], v[20:21]
	s_waitcnt lgkmcnt(1)
	v_mul_f64 v[20:21], v[10:11], v[18:19]
	v_add_f64 v[46:47], v[22:23], v[46:47]
	v_fma_f64 v[52:53], v[8:9], v[16:17], -v[20:21]
	ds_read_b128 v[20:23], v31 offset:2144
	v_mul_f64 v[8:9], v[8:9], v[18:19]
	v_fmac_f64_e32 v[8:9], v[10:11], v[16:17]
	v_add_f64 v[54:55], v[8:9], v[36:37]
	ds_read_b128 v[8:11], v31 offset:2160
	s_waitcnt lgkmcnt(1)
	v_mul_f64 v[36:37], v[22:23], v[14:15]
	v_mul_f64 v[14:15], v[20:21], v[14:15]
	v_fma_f64 v[36:37], v[20:21], v[12:13], -v[36:37]
	v_fmac_f64_e32 v[14:15], v[22:23], v[12:13]
	v_mul_f64 v[12:13], v[22:23], v[18:19]
	v_add_f64 v[40:41], v[40:41], v[36:37]
	v_add_f64 v[42:43], v[14:15], v[42:43]
	v_fma_f64 v[36:37], v[20:21], v[16:17], -v[12:13]
	ds_read_b128 v[12:15], v30 offset:3584
	v_add_f64 v[52:53], v[38:39], v[52:53]
	v_add_f64 v[48:49], v[48:49], v[36:37]
	ds_read_b128 v[36:39], v30 offset:3840
	v_mul_f64 v[18:19], v[20:21], v[18:19]
	v_fmac_f64_e32 v[18:19], v[22:23], v[16:17]
	s_waitcnt lgkmcnt(1)
	v_mul_f64 v[16:17], v[34:35], v[14:15]
	v_add_f64 v[50:51], v[18:19], v[50:51]
	v_fma_f64 v[16:17], v[32:33], v[12:13], -v[16:17]
	v_mul_f64 v[18:19], v[32:33], v[14:15]
	v_fmac_f64_e32 v[18:19], v[34:35], v[12:13]
	v_add_f64 v[20:21], v[44:45], v[16:17]
	s_waitcnt lgkmcnt(0)
	v_mul_f64 v[16:17], v[34:35], v[38:39]
	v_add_f64 v[22:23], v[18:19], v[46:47]
	v_fma_f64 v[16:17], v[32:33], v[36:37], -v[16:17]
	v_mul_f64 v[18:19], v[32:33], v[38:39]
	v_mul_f64 v[32:33], v[10:11], v[14:15]
	v_fma_f64 v[32:33], v[8:9], v[12:13], -v[32:33]
	v_mul_f64 v[14:15], v[8:9], v[14:15]
	v_fmac_f64_e32 v[14:15], v[10:11], v[12:13]
	v_add_f64 v[12:13], v[40:41], v[32:33]
	v_mul_f64 v[32:33], v[10:11], v[38:39]
	v_fma_f64 v[32:33], v[8:9], v[36:37], -v[32:33]
	v_mul_f64 v[8:9], v[8:9], v[38:39]
	v_fmac_f64_e32 v[18:19], v[34:35], v[36:37]
	v_fmac_f64_e32 v[8:9], v[10:11], v[36:37]
	s_add_i32 s29, s29, 8
	v_add_f64 v[16:17], v[52:53], v[16:17]
	v_add_f64 v[18:19], v[18:19], v[54:55]
	;; [unrolled: 1-line block ×5, first 2 shown]
	v_lshl_add_u64 v[4:5], v[4:5], 0, s[22:23]
	s_cmp_lt_i32 s29, s7
	v_lshl_add_u64 v[6:7], v[6:7], 0, s[22:23]
	s_barrier
	s_cbranch_scc0 .LBB111_16
.LBB111_8:                              ; =>This Inner Loop Header: Depth=1
	v_add_u32_e32 v32, s29, v27
	v_cmp_le_i32_e32 vcc, s7, v32
	s_or_b64 s[24:25], s[16:17], vcc
	s_and_saveexec_b64 s[26:27], s[24:25]
	s_xor_b64 s[24:25], exec, s[26:27]
; %bb.9:                                ;   in Loop: Header=BB111_8 Depth=1
	ds_write_b128 v28, v[0:3]
; %bb.10:                               ;   in Loop: Header=BB111_8 Depth=1
	s_andn2_saveexec_b64 s[24:25], s[24:25]
	s_cbranch_execz .LBB111_12
; %bb.11:                               ;   in Loop: Header=BB111_8 Depth=1
	global_load_dwordx4 v[32:35], v[4:5], off
	s_waitcnt vmcnt(0)
	ds_write2_b64 v28, v[32:33], v[34:35] offset1:1
.LBB111_12:                             ;   in Loop: Header=BB111_8 Depth=1
	s_or_b64 exec, exec, s[24:25]
	v_add_u32_e32 v32, s29, v26
	v_cmp_le_i32_e32 vcc, s7, v32
	s_or_b64 s[24:25], vcc, s[2:3]
	s_and_saveexec_b64 s[26:27], s[24:25]
	s_xor_b64 s[24:25], exec, s[26:27]
; %bb.13:                               ;   in Loop: Header=BB111_8 Depth=1
	ds_write_b128 v29, v[0:3]
; %bb.14:                               ;   in Loop: Header=BB111_8 Depth=1
	s_andn2_saveexec_b64 s[24:25], s[24:25]
	s_cbranch_execz .LBB111_7
; %bb.15:                               ;   in Loop: Header=BB111_8 Depth=1
	global_load_dwordx4 v[32:35], v[6:7], off
	s_waitcnt vmcnt(0)
	ds_write2_b64 v29, v[32:33], v[34:35] offset1:1
	s_branch .LBB111_7
.LBB111_16:
	s_load_dwordx2 s[2:3], s[0:1], 0x58
	s_load_dword s7, s[0:1], 0x50
	v_add_u32_e32 v4, s5, v25
	v_add_u32_e32 v26, s28, v24
	v_cmp_le_i32_e32 vcc, v4, v26
	s_waitcnt lgkmcnt(0)
	s_mul_i32 s1, s3, s4
	s_mul_hi_u32 s3, s2, s4
	s_mul_i32 s0, s2, s4
	s_add_i32 s1, s3, s1
	s_lshl_b64 s[0:1], s[0:1], 4
	s_add_u32 s4, s20, s0
	s_addc_u32 s5, s21, s1
	v_cmp_neq_f64_e64 s[0:1], s[8:9], 0
	s_xor_b64 s[16:17], s[18:19], -1
	v_mad_i64_i32 v[0:1], s[18:19], v26, s7, 0
	s_or_b64 s[0:1], s[0:1], s[16:17]
	v_cmp_gt_i32_e64 s[2:3], s6, v26
	v_lshl_add_u64 v[24:25], v[0:1], 4, s[4:5]
	v_cndmask_b32_e64 v0, 0, 1, s[0:1]
	s_and_b64 s[18:19], s[2:3], vcc
	v_ashrrev_i32_e32 v5, 31, v4
	v_cmp_ne_u32_e64 s[0:1], 1, v0
	s_and_saveexec_b64 s[16:17], s[18:19]
	s_cbranch_execz .LBB111_20
; %bb.17:
	v_mul_f64 v[0:1], s[14:15], v[22:23]
	v_mul_f64 v[2:3], s[12:13], v[22:23]
	v_fma_f64 v[0:1], s[12:13], v[20:21], -v[0:1]
	v_fmac_f64_e32 v[2:3], s[14:15], v[20:21]
	s_and_b64 vcc, exec, s[0:1]
	v_lshl_add_u64 v[6:7], v[4:5], 4, v[24:25]
	s_cbranch_vccnz .LBB111_19
; %bb.18:
	global_load_dwordx4 v[20:23], v[6:7], off
	s_waitcnt vmcnt(0)
	v_mul_f64 v[28:29], s[10:11], v[22:23]
	v_mul_f64 v[22:23], s[8:9], v[22:23]
	v_fma_f64 v[28:29], s[8:9], v[20:21], -v[28:29]
	v_fmac_f64_e32 v[22:23], s[10:11], v[20:21]
	v_add_f64 v[0:1], v[0:1], v[28:29]
	v_add_f64 v[2:3], v[2:3], v[22:23]
.LBB111_19:
	global_store_dwordx4 v[6:7], v[0:3], off
.LBB111_20:
	s_or_b64 exec, exec, s[16:17]
	v_add_u32_e32 v6, 16, v4
	v_cmp_le_i32_e32 vcc, v6, v26
	s_and_b64 s[16:17], s[2:3], vcc
	v_ashrrev_i32_e32 v7, 31, v6
	s_and_saveexec_b64 s[2:3], s[16:17]
	s_cbranch_execz .LBB111_24
; %bb.21:
	v_mul_f64 v[0:1], s[14:15], v[18:19]
	v_mul_f64 v[2:3], s[12:13], v[18:19]
	v_fma_f64 v[0:1], s[12:13], v[16:17], -v[0:1]
	v_fmac_f64_e32 v[2:3], s[14:15], v[16:17]
	s_and_b64 vcc, exec, s[0:1]
	v_lshl_add_u64 v[16:17], v[6:7], 4, v[24:25]
	s_cbranch_vccnz .LBB111_23
; %bb.22:
	global_load_dwordx4 v[18:21], v[16:17], off
	s_waitcnt vmcnt(0)
	v_mul_f64 v[22:23], s[10:11], v[20:21]
	v_mul_f64 v[20:21], s[8:9], v[20:21]
	v_fma_f64 v[22:23], s[8:9], v[18:19], -v[22:23]
	v_fmac_f64_e32 v[20:21], s[10:11], v[18:19]
	v_add_f64 v[0:1], v[0:1], v[22:23]
	v_add_f64 v[2:3], v[2:3], v[20:21]
.LBB111_23:
	global_store_dwordx4 v[16:17], v[0:3], off
.LBB111_24:
	s_or_b64 exec, exec, s[2:3]
	v_add_u32_e32 v18, 16, v26
	v_cmp_gt_i32_e64 s[2:3], s6, v18
	v_mad_i64_i32 v[0:1], s[6:7], v18, s7, 0
	v_cmp_le_i32_e32 vcc, v4, v18
	v_lshl_add_u64 v[16:17], v[0:1], 4, s[4:5]
	s_and_b64 s[6:7], s[2:3], vcc
	s_and_saveexec_b64 s[4:5], s[6:7]
	s_cbranch_execz .LBB111_28
; %bb.25:
	v_mul_f64 v[0:1], s[14:15], v[14:15]
	v_mul_f64 v[2:3], s[12:13], v[14:15]
	v_fma_f64 v[0:1], s[12:13], v[12:13], -v[0:1]
	v_fmac_f64_e32 v[2:3], s[14:15], v[12:13]
	s_and_b64 vcc, exec, s[0:1]
	v_lshl_add_u64 v[4:5], v[4:5], 4, v[16:17]
	s_cbranch_vccnz .LBB111_27
; %bb.26:
	global_load_dwordx4 v[12:15], v[4:5], off
	s_waitcnt vmcnt(0)
	v_mul_f64 v[20:21], s[10:11], v[14:15]
	v_mul_f64 v[14:15], s[8:9], v[14:15]
	v_fma_f64 v[20:21], s[8:9], v[12:13], -v[20:21]
	v_fmac_f64_e32 v[14:15], s[10:11], v[12:13]
	v_add_f64 v[0:1], v[0:1], v[20:21]
	v_add_f64 v[2:3], v[2:3], v[14:15]
.LBB111_27:
	global_store_dwordx4 v[4:5], v[0:3], off
.LBB111_28:
	s_or_b64 exec, exec, s[4:5]
	v_cmp_le_i32_e32 vcc, v6, v18
	s_and_b64 s[2:3], s[2:3], vcc
	s_and_saveexec_b64 s[4:5], s[2:3]
	s_cbranch_execz .LBB111_32
; %bb.29:
	v_mul_f64 v[0:1], s[14:15], v[8:9]
	v_mul_f64 v[2:3], s[12:13], v[8:9]
	v_fma_f64 v[0:1], s[12:13], v[10:11], -v[0:1]
	v_fmac_f64_e32 v[2:3], s[14:15], v[10:11]
	s_and_b64 vcc, exec, s[0:1]
	v_lshl_add_u64 v[4:5], v[6:7], 4, v[16:17]
	s_cbranch_vccnz .LBB111_31
; %bb.30:
	global_load_dwordx4 v[6:9], v[4:5], off
	s_waitcnt vmcnt(0)
	v_mul_f64 v[10:11], s[10:11], v[8:9]
	v_mul_f64 v[8:9], s[8:9], v[8:9]
	v_fma_f64 v[10:11], s[8:9], v[6:7], -v[10:11]
	v_fmac_f64_e32 v[8:9], s[10:11], v[6:7]
	v_add_f64 v[0:1], v[0:1], v[10:11]
	v_add_f64 v[2:3], v[2:3], v[8:9]
.LBB111_31:
	global_store_dwordx4 v[4:5], v[0:3], off
.LBB111_32:
	s_endpgm
	.section	.rodata,"a",@progbits
	.p2align	6, 0x0
	.amdhsa_kernel _ZL29rocblas_internal_gemmt_kernelIiLi16ELi32ELi8ELc84ELc78ELc85ELb0ELb0E19rocblas_complex_numIdEPKS1_S3_PS1_EviT_T9_T10_S5_lS7_S5_lS6_T11_S5_li
		.amdhsa_group_segment_fixed_size 8192
		.amdhsa_private_segment_fixed_size 0
		.amdhsa_kernarg_size 100
		.amdhsa_user_sgpr_count 2
		.amdhsa_user_sgpr_dispatch_ptr 0
		.amdhsa_user_sgpr_queue_ptr 0
		.amdhsa_user_sgpr_kernarg_segment_ptr 1
		.amdhsa_user_sgpr_dispatch_id 0
		.amdhsa_user_sgpr_kernarg_preload_length 0
		.amdhsa_user_sgpr_kernarg_preload_offset 0
		.amdhsa_user_sgpr_private_segment_size 0
		.amdhsa_uses_dynamic_stack 0
		.amdhsa_enable_private_segment 0
		.amdhsa_system_sgpr_workgroup_id_x 1
		.amdhsa_system_sgpr_workgroup_id_y 1
		.amdhsa_system_sgpr_workgroup_id_z 1
		.amdhsa_system_sgpr_workgroup_info 0
		.amdhsa_system_vgpr_workitem_id 1
		.amdhsa_next_free_vgpr 62
		.amdhsa_next_free_sgpr 34
		.amdhsa_accum_offset 64
		.amdhsa_reserve_vcc 1
		.amdhsa_float_round_mode_32 0
		.amdhsa_float_round_mode_16_64 0
		.amdhsa_float_denorm_mode_32 3
		.amdhsa_float_denorm_mode_16_64 3
		.amdhsa_dx10_clamp 1
		.amdhsa_ieee_mode 1
		.amdhsa_fp16_overflow 0
		.amdhsa_tg_split 0
		.amdhsa_exception_fp_ieee_invalid_op 0
		.amdhsa_exception_fp_denorm_src 0
		.amdhsa_exception_fp_ieee_div_zero 0
		.amdhsa_exception_fp_ieee_overflow 0
		.amdhsa_exception_fp_ieee_underflow 0
		.amdhsa_exception_fp_ieee_inexact 0
		.amdhsa_exception_int_div_zero 0
	.end_amdhsa_kernel
	.section	.text._ZL29rocblas_internal_gemmt_kernelIiLi16ELi32ELi8ELc84ELc78ELc85ELb0ELb0E19rocblas_complex_numIdEPKS1_S3_PS1_EviT_T9_T10_S5_lS7_S5_lS6_T11_S5_li,"axG",@progbits,_ZL29rocblas_internal_gemmt_kernelIiLi16ELi32ELi8ELc84ELc78ELc85ELb0ELb0E19rocblas_complex_numIdEPKS1_S3_PS1_EviT_T9_T10_S5_lS7_S5_lS6_T11_S5_li,comdat
.Lfunc_end111:
	.size	_ZL29rocblas_internal_gemmt_kernelIiLi16ELi32ELi8ELc84ELc78ELc85ELb0ELb0E19rocblas_complex_numIdEPKS1_S3_PS1_EviT_T9_T10_S5_lS7_S5_lS6_T11_S5_li, .Lfunc_end111-_ZL29rocblas_internal_gemmt_kernelIiLi16ELi32ELi8ELc84ELc78ELc85ELb0ELb0E19rocblas_complex_numIdEPKS1_S3_PS1_EviT_T9_T10_S5_lS7_S5_lS6_T11_S5_li
                                        ; -- End function
	.set _ZL29rocblas_internal_gemmt_kernelIiLi16ELi32ELi8ELc84ELc78ELc85ELb0ELb0E19rocblas_complex_numIdEPKS1_S3_PS1_EviT_T9_T10_S5_lS7_S5_lS6_T11_S5_li.num_vgpr, 62
	.set _ZL29rocblas_internal_gemmt_kernelIiLi16ELi32ELi8ELc84ELc78ELc85ELb0ELb0E19rocblas_complex_numIdEPKS1_S3_PS1_EviT_T9_T10_S5_lS7_S5_lS6_T11_S5_li.num_agpr, 0
	.set _ZL29rocblas_internal_gemmt_kernelIiLi16ELi32ELi8ELc84ELc78ELc85ELb0ELb0E19rocblas_complex_numIdEPKS1_S3_PS1_EviT_T9_T10_S5_lS7_S5_lS6_T11_S5_li.numbered_sgpr, 34
	.set _ZL29rocblas_internal_gemmt_kernelIiLi16ELi32ELi8ELc84ELc78ELc85ELb0ELb0E19rocblas_complex_numIdEPKS1_S3_PS1_EviT_T9_T10_S5_lS7_S5_lS6_T11_S5_li.num_named_barrier, 0
	.set _ZL29rocblas_internal_gemmt_kernelIiLi16ELi32ELi8ELc84ELc78ELc85ELb0ELb0E19rocblas_complex_numIdEPKS1_S3_PS1_EviT_T9_T10_S5_lS7_S5_lS6_T11_S5_li.private_seg_size, 0
	.set _ZL29rocblas_internal_gemmt_kernelIiLi16ELi32ELi8ELc84ELc78ELc85ELb0ELb0E19rocblas_complex_numIdEPKS1_S3_PS1_EviT_T9_T10_S5_lS7_S5_lS6_T11_S5_li.uses_vcc, 1
	.set _ZL29rocblas_internal_gemmt_kernelIiLi16ELi32ELi8ELc84ELc78ELc85ELb0ELb0E19rocblas_complex_numIdEPKS1_S3_PS1_EviT_T9_T10_S5_lS7_S5_lS6_T11_S5_li.uses_flat_scratch, 0
	.set _ZL29rocblas_internal_gemmt_kernelIiLi16ELi32ELi8ELc84ELc78ELc85ELb0ELb0E19rocblas_complex_numIdEPKS1_S3_PS1_EviT_T9_T10_S5_lS7_S5_lS6_T11_S5_li.has_dyn_sized_stack, 0
	.set _ZL29rocblas_internal_gemmt_kernelIiLi16ELi32ELi8ELc84ELc78ELc85ELb0ELb0E19rocblas_complex_numIdEPKS1_S3_PS1_EviT_T9_T10_S5_lS7_S5_lS6_T11_S5_li.has_recursion, 0
	.set _ZL29rocblas_internal_gemmt_kernelIiLi16ELi32ELi8ELc84ELc78ELc85ELb0ELb0E19rocblas_complex_numIdEPKS1_S3_PS1_EviT_T9_T10_S5_lS7_S5_lS6_T11_S5_li.has_indirect_call, 0
	.section	.AMDGPU.csdata,"",@progbits
; Kernel info:
; codeLenInByte = 3112
; TotalNumSgprs: 40
; NumVgprs: 62
; NumAgprs: 0
; TotalNumVgprs: 62
; ScratchSize: 0
; MemoryBound: 0
; FloatMode: 240
; IeeeMode: 1
; LDSByteSize: 8192 bytes/workgroup (compile time only)
; SGPRBlocks: 4
; VGPRBlocks: 7
; NumSGPRsForWavesPerEU: 40
; NumVGPRsForWavesPerEU: 62
; AccumOffset: 64
; Occupancy: 8
; WaveLimiterHint : 0
; COMPUTE_PGM_RSRC2:SCRATCH_EN: 0
; COMPUTE_PGM_RSRC2:USER_SGPR: 2
; COMPUTE_PGM_RSRC2:TRAP_HANDLER: 0
; COMPUTE_PGM_RSRC2:TGID_X_EN: 1
; COMPUTE_PGM_RSRC2:TGID_Y_EN: 1
; COMPUTE_PGM_RSRC2:TGID_Z_EN: 1
; COMPUTE_PGM_RSRC2:TIDIG_COMP_CNT: 1
; COMPUTE_PGM_RSRC3_GFX90A:ACCUM_OFFSET: 15
; COMPUTE_PGM_RSRC3_GFX90A:TG_SPLIT: 0
	.section	.text._ZL29rocblas_internal_gemmt_kernelIiLi16ELi32ELi8ELc84ELc84ELc85ELb0ELb0E19rocblas_complex_numIdEPKS1_S3_PS1_EviT_T9_T10_S5_lS7_S5_lS6_T11_S5_li,"axG",@progbits,_ZL29rocblas_internal_gemmt_kernelIiLi16ELi32ELi8ELc84ELc84ELc85ELb0ELb0E19rocblas_complex_numIdEPKS1_S3_PS1_EviT_T9_T10_S5_lS7_S5_lS6_T11_S5_li,comdat
	.globl	_ZL29rocblas_internal_gemmt_kernelIiLi16ELi32ELi8ELc84ELc84ELc85ELb0ELb0E19rocblas_complex_numIdEPKS1_S3_PS1_EviT_T9_T10_S5_lS7_S5_lS6_T11_S5_li ; -- Begin function _ZL29rocblas_internal_gemmt_kernelIiLi16ELi32ELi8ELc84ELc84ELc85ELb0ELb0E19rocblas_complex_numIdEPKS1_S3_PS1_EviT_T9_T10_S5_lS7_S5_lS6_T11_S5_li
	.p2align	8
	.type	_ZL29rocblas_internal_gemmt_kernelIiLi16ELi32ELi8ELc84ELc84ELc85ELb0ELb0E19rocblas_complex_numIdEPKS1_S3_PS1_EviT_T9_T10_S5_lS7_S5_lS6_T11_S5_li,@function
_ZL29rocblas_internal_gemmt_kernelIiLi16ELi32ELi8ELc84ELc84ELc85ELb0ELb0E19rocblas_complex_numIdEPKS1_S3_PS1_EviT_T9_T10_S5_lS7_S5_lS6_T11_S5_li: ; @_ZL29rocblas_internal_gemmt_kernelIiLi16ELi32ELi8ELc84ELc84ELc85ELb0ELb0E19rocblas_complex_numIdEPKS1_S3_PS1_EviT_T9_T10_S5_lS7_S5_lS6_T11_S5_li
; %bb.0:
	s_load_dwordx4 s[16:19], s[0:1], 0x38
	s_load_dwordx4 s[20:23], s[0:1], 0x8
	s_mov_b64 s[24:25], 0
	s_waitcnt lgkmcnt(0)
	s_load_dwordx4 s[8:11], s[18:19], 0x0
	s_load_dwordx2 s[6:7], s[0:1], 0x0
	s_load_dwordx4 s[12:15], s[20:21], 0x0
	s_waitcnt lgkmcnt(0)
	v_cmp_eq_f64_e64 s[20:21], s[8:9], 1.0
	v_cmp_eq_f64_e64 s[18:19], s[10:11], 0
	s_and_b64 s[20:21], s[20:21], s[18:19]
	s_andn2_b64 vcc, exec, s[20:21]
	s_mov_b64 s[20:21], -1
	s_cbranch_vccnz .LBB112_4
; %bb.1:
	s_cmp_lg_u32 s7, 0
	s_cbranch_scc0 .LBB112_3
; %bb.2:
	v_cmp_neq_f64_e64 s[20:21], s[12:13], 0
	v_cmp_neq_f64_e64 s[24:25], s[14:15], 0
	s_or_b64 s[24:25], s[20:21], s[24:25]
.LBB112_3:
	s_mov_b64 s[20:21], s[24:25]
.LBB112_4:
	s_and_b64 vcc, exec, s[20:21]
	s_cbranch_vccz .LBB112_32
; %bb.5:
	s_lshl_b32 s5, s2, 5
	s_lshl_b32 s28, s3, 5
	v_cmp_eq_f64_e64 s[2:3], s[12:13], 0
	v_cmp_eq_f64_e64 s[24:25], s[14:15], 0
	s_load_dwordx2 s[20:21], s[0:1], 0x48
	s_and_b64 s[2:3], s[2:3], s[24:25]
	s_cmp_lt_i32 s7, 1
	s_cselect_b64 s[24:25], -1, 0
	s_or_b64 s[2:3], s[2:3], s[24:25]
	v_and_b32_e32 v25, 0x3ff, v0
	v_bfe_u32 v24, v0, 10, 10
	s_mov_b32 s29, 0
	v_mov_b64_e32 v[20:21], 0
	s_and_b64 vcc, exec, s[2:3]
	v_mov_b64_e32 v[22:23], 0
	v_mov_b64_e32 v[16:17], 0
	v_mov_b64_e32 v[18:19], 0
	v_mov_b64_e32 v[12:13], 0
	v_mov_b64_e32 v[14:15], 0
	v_mov_b64_e32 v[10:11], 0
	v_mov_b64_e32 v[8:9], 0
	s_cbranch_vccnz .LBB112_16
; %bb.6:
	v_lshl_add_u32 v0, v24, 4, v25
	v_lshrrev_b32_e32 v27, 5, v0
	v_lshrrev_b32_e32 v1, 3, v0
	v_and_b32_e32 v0, 31, v0
	s_load_dword s33, s[0:1], 0x18
	s_load_dword s30, s[0:1], 0x30
	s_load_dwordx4 s[24:27], s[0:1], 0x20
	v_or_b32_e32 v3, s5, v0
	v_and_b32_e32 v26, 7, v25
	v_cmp_gt_i32_e32 vcc, s6, v3
	v_lshlrev_b32_e32 v3, 4, v0
	v_lshl_or_b32 v28, v27, 9, v3
	v_lshlrev_b32_e32 v3, 4, v26
	v_add_u32_e32 v2, s28, v1
	v_lshl_or_b32 v1, v1, 7, v3
	v_add_u32_e32 v29, 0x1000, v1
	v_mov_b32_e32 v1, 0x1000
	v_add_u32_e32 v0, s5, v0
	v_lshl_add_u32 v31, v24, 7, v1
	s_waitcnt lgkmcnt(0)
	v_mad_i64_i32 v[0:1], s[34:35], s33, v0, 0
	s_mul_i32 s25, s25, s4
	s_mul_hi_u32 s33, s24, s4
	s_add_i32 s25, s33, s25
	s_mul_i32 s24, s24, s4
	s_lshl_b64 s[24:25], s[24:25], 4
	v_lshl_add_u64 v[4:5], v[0:1], 4, s[24:25]
	v_lshlrev_b32_e32 v0, 4, v27
	v_mov_b32_e32 v1, 0
	v_lshl_add_u64 v[4:5], v[4:5], 0, v[0:1]
	v_lshl_add_u64 v[4:5], s[22:23], 0, v[4:5]
	s_mul_i32 s17, s17, s4
	s_mul_hi_u32 s22, s16, s4
	s_add_i32 s17, s22, s17
	v_mad_i64_i32 v[6:7], s[22:23], s30, v26, 0
	s_mul_i32 s16, s16, s4
	v_lshlrev_b64 v[6:7], 4, v[6:7]
	v_ashrrev_i32_e32 v3, 31, v2
	v_lshl_add_u64 v[6:7], s[16:17], 4, v[6:7]
	s_ashr_i32 s31, s30, 31
	v_cmp_gt_i32_e64 s[2:3], s6, v2
	v_lshl_add_u64 v[2:3], v[2:3], 4, v[6:7]
	v_lshlrev_b32_e32 v30, 4, v25
	v_lshl_add_u64 v[6:7], s[26:27], 0, v[2:3]
	s_lshl_b64 s[16:17], s[30:31], 7
	v_mov_b64_e32 v[8:9], 0
	s_xor_b64 s[22:23], vcc, -1
	s_xor_b64 s[2:3], s[2:3], -1
	s_mov_b64 s[24:25], 0x80
	v_mov_b32_e32 v0, v1
	v_mov_b32_e32 v2, v1
	;; [unrolled: 1-line block ×3, first 2 shown]
	v_mov_b64_e32 v[10:11], 0
	v_mov_b64_e32 v[14:15], 0
	;; [unrolled: 1-line block ×7, first 2 shown]
	s_branch .LBB112_8
.LBB112_7:                              ;   in Loop: Header=BB112_8 Depth=1
	s_or_b64 exec, exec, s[26:27]
	s_waitcnt lgkmcnt(0)
	s_barrier
	ds_read_b128 v[32:35], v30
	ds_read_b128 v[36:39], v31
	ds_read_b128 v[40:43], v31 offset:16
	ds_read_b128 v[44:47], v31 offset:32
	ds_read_b128 v[48:51], v31 offset:48
	ds_read_b128 v[52:55], v30 offset:256
	s_waitcnt lgkmcnt(4)
	v_mul_f64 v[56:57], v[38:39], v[34:35]
	v_fma_f64 v[56:57], v[36:37], v[32:33], -v[56:57]
	v_mul_f64 v[58:59], v[36:37], v[34:35]
	v_fmac_f64_e32 v[58:59], v[38:39], v[32:33]
	v_add_f64 v[56:57], v[20:21], v[56:57]
	s_waitcnt lgkmcnt(0)
	v_mul_f64 v[20:21], v[38:39], v[54:55]
	v_add_f64 v[58:59], v[58:59], v[22:23]
	v_fma_f64 v[60:61], v[36:37], v[52:53], -v[20:21]
	ds_read_b128 v[20:23], v31 offset:2048
	v_mul_f64 v[36:37], v[36:37], v[54:55]
	v_fmac_f64_e32 v[36:37], v[38:39], v[52:53]
	v_add_f64 v[38:39], v[16:17], v[60:61]
	v_add_f64 v[36:37], v[36:37], v[18:19]
	ds_read_b128 v[16:19], v31 offset:2064
	s_waitcnt lgkmcnt(1)
	v_mul_f64 v[60:61], v[22:23], v[34:35]
	v_fma_f64 v[60:61], v[20:21], v[32:33], -v[60:61]
	v_mul_f64 v[34:35], v[20:21], v[34:35]
	v_fmac_f64_e32 v[34:35], v[22:23], v[32:33]
	v_add_f64 v[32:33], v[12:13], v[60:61]
	v_mul_f64 v[12:13], v[22:23], v[54:55]
	v_add_f64 v[34:35], v[34:35], v[14:15]
	v_fma_f64 v[60:61], v[20:21], v[52:53], -v[12:13]
	v_mul_f64 v[20:21], v[20:21], v[54:55]
	ds_read_b128 v[12:15], v30 offset:512
	v_fmac_f64_e32 v[20:21], v[22:23], v[52:53]
	v_add_f64 v[22:23], v[10:11], v[60:61]
	v_add_f64 v[20:21], v[20:21], v[8:9]
	ds_read_b128 v[8:11], v30 offset:768
	s_waitcnt lgkmcnt(1)
	v_mul_f64 v[52:53], v[42:43], v[14:15]
	v_fma_f64 v[52:53], v[40:41], v[12:13], -v[52:53]
	v_add_f64 v[52:53], v[56:57], v[52:53]
	v_mul_f64 v[54:55], v[40:41], v[14:15]
	s_waitcnt lgkmcnt(0)
	v_mul_f64 v[56:57], v[42:43], v[10:11]
	v_fma_f64 v[56:57], v[40:41], v[8:9], -v[56:57]
	v_mul_f64 v[40:41], v[40:41], v[10:11]
	v_fmac_f64_e32 v[40:41], v[42:43], v[8:9]
	v_add_f64 v[36:37], v[40:41], v[36:37]
	v_mul_f64 v[40:41], v[18:19], v[14:15]
	v_mul_f64 v[14:15], v[16:17], v[14:15]
	v_fmac_f64_e32 v[54:55], v[42:43], v[12:13]
	v_fma_f64 v[40:41], v[16:17], v[12:13], -v[40:41]
	v_fmac_f64_e32 v[14:15], v[18:19], v[12:13]
	v_mul_f64 v[12:13], v[18:19], v[10:11]
	v_add_f64 v[42:43], v[14:15], v[34:35]
	v_fma_f64 v[14:15], v[16:17], v[8:9], -v[12:13]
	v_mul_f64 v[16:17], v[16:17], v[10:11]
	ds_read_b128 v[10:13], v30 offset:1024
	v_fmac_f64_e32 v[16:17], v[18:19], v[8:9]
	v_add_f64 v[38:39], v[38:39], v[56:57]
	v_add_f64 v[22:23], v[22:23], v[14:15]
	;; [unrolled: 1-line block ×3, first 2 shown]
	ds_read_b128 v[14:17], v30 offset:1280
	s_waitcnt lgkmcnt(1)
	v_mul_f64 v[18:19], v[44:45], v[12:13]
	v_add_f64 v[54:55], v[54:55], v[58:59]
	v_fmac_f64_e32 v[18:19], v[46:47], v[10:11]
	v_add_f64 v[54:55], v[18:19], v[54:55]
	ds_read_b128 v[18:21], v31 offset:2080
	v_mul_f64 v[8:9], v[46:47], v[12:13]
	v_fma_f64 v[8:9], v[44:45], v[10:11], -v[8:9]
	v_add_f64 v[40:41], v[32:33], v[40:41]
	v_add_f64 v[52:53], v[52:53], v[8:9]
	s_waitcnt lgkmcnt(1)
	v_mul_f64 v[8:9], v[46:47], v[16:17]
	v_mul_f64 v[32:33], v[44:45], v[16:17]
	v_fma_f64 v[8:9], v[44:45], v[14:15], -v[8:9]
	v_fmac_f64_e32 v[32:33], v[46:47], v[14:15]
	v_add_f64 v[38:39], v[38:39], v[8:9]
	v_add_f64 v[36:37], v[32:33], v[36:37]
	ds_read_b128 v[32:35], v31 offset:2096
	s_waitcnt lgkmcnt(1)
	v_mul_f64 v[8:9], v[20:21], v[12:13]
	v_fma_f64 v[8:9], v[18:19], v[10:11], -v[8:9]
	v_mul_f64 v[12:13], v[18:19], v[12:13]
	v_fmac_f64_e32 v[12:13], v[20:21], v[10:11]
	v_add_f64 v[40:41], v[40:41], v[8:9]
	v_mul_f64 v[8:9], v[20:21], v[16:17]
	v_add_f64 v[42:43], v[12:13], v[42:43]
	v_fma_f64 v[12:13], v[18:19], v[14:15], -v[8:9]
	ds_read_b128 v[8:11], v30 offset:1536
	v_mul_f64 v[16:17], v[18:19], v[16:17]
	v_fmac_f64_e32 v[16:17], v[20:21], v[14:15]
	v_add_f64 v[18:19], v[22:23], v[12:13]
	ds_read_b128 v[12:15], v30 offset:1792
	s_waitcnt lgkmcnt(1)
	v_mul_f64 v[20:21], v[50:51], v[10:11]
	v_fma_f64 v[20:21], v[48:49], v[8:9], -v[20:21]
	v_mul_f64 v[22:23], v[48:49], v[10:11]
	v_fmac_f64_e32 v[22:23], v[50:51], v[8:9]
	v_add_f64 v[44:45], v[52:53], v[20:21]
	s_waitcnt lgkmcnt(0)
	v_mul_f64 v[20:21], v[50:51], v[14:15]
	v_add_f64 v[46:47], v[22:23], v[54:55]
	v_fma_f64 v[20:21], v[48:49], v[12:13], -v[20:21]
	v_mul_f64 v[22:23], v[48:49], v[14:15]
	v_fmac_f64_e32 v[22:23], v[50:51], v[12:13]
	v_add_f64 v[38:39], v[38:39], v[20:21]
	v_mul_f64 v[20:21], v[34:35], v[10:11]
	v_mul_f64 v[10:11], v[32:33], v[10:11]
	v_add_f64 v[36:37], v[22:23], v[36:37]
	v_fma_f64 v[20:21], v[32:33], v[8:9], -v[20:21]
	v_fmac_f64_e32 v[10:11], v[34:35], v[8:9]
	v_mul_f64 v[8:9], v[34:35], v[14:15]
	v_mul_f64 v[22:23], v[32:33], v[14:15]
	v_add_f64 v[40:41], v[40:41], v[20:21]
	v_add_f64 v[42:43], v[10:11], v[42:43]
	v_fma_f64 v[20:21], v[32:33], v[12:13], -v[8:9]
	v_fmac_f64_e32 v[22:23], v[34:35], v[12:13]
	ds_read_b128 v[8:11], v31 offset:64
	ds_read_b128 v[12:15], v30 offset:2048
	v_add_f64 v[16:17], v[16:17], v[56:57]
	v_add_f64 v[48:49], v[18:19], v[20:21]
	;; [unrolled: 1-line block ×3, first 2 shown]
	ds_read_b128 v[16:19], v30 offset:2304
	ds_read_b128 v[20:23], v31 offset:80
	s_waitcnt lgkmcnt(2)
	v_mul_f64 v[32:33], v[10:11], v[14:15]
	v_fma_f64 v[32:33], v[8:9], v[12:13], -v[32:33]
	v_mul_f64 v[34:35], v[8:9], v[14:15]
	v_fmac_f64_e32 v[34:35], v[10:11], v[12:13]
	v_add_f64 v[44:45], v[44:45], v[32:33]
	s_waitcnt lgkmcnt(1)
	v_mul_f64 v[32:33], v[10:11], v[18:19]
	v_add_f64 v[46:47], v[34:35], v[46:47]
	v_fma_f64 v[52:53], v[8:9], v[16:17], -v[32:33]
	ds_read_b128 v[32:35], v31 offset:2112
	v_mul_f64 v[8:9], v[8:9], v[18:19]
	v_fmac_f64_e32 v[8:9], v[10:11], v[16:17]
	v_add_f64 v[38:39], v[38:39], v[52:53]
	v_add_f64 v[36:37], v[8:9], v[36:37]
	ds_read_b128 v[8:11], v31 offset:2128
	s_waitcnt lgkmcnt(1)
	v_mul_f64 v[52:53], v[34:35], v[14:15]
	v_mul_f64 v[14:15], v[32:33], v[14:15]
	v_fma_f64 v[52:53], v[32:33], v[12:13], -v[52:53]
	v_fmac_f64_e32 v[14:15], v[34:35], v[12:13]
	v_mul_f64 v[12:13], v[34:35], v[18:19]
	v_add_f64 v[40:41], v[40:41], v[52:53]
	v_add_f64 v[42:43], v[14:15], v[42:43]
	v_fma_f64 v[52:53], v[32:33], v[16:17], -v[12:13]
	v_mul_f64 v[18:19], v[32:33], v[18:19]
	ds_read_b128 v[12:15], v30 offset:2560
	v_fmac_f64_e32 v[18:19], v[34:35], v[16:17]
	v_add_f64 v[34:35], v[18:19], v[50:51]
	ds_read_b128 v[16:19], v30 offset:2816
	v_add_f64 v[32:33], v[48:49], v[52:53]
	s_waitcnt lgkmcnt(1)
	v_mul_f64 v[48:49], v[22:23], v[14:15]
	v_fma_f64 v[48:49], v[20:21], v[12:13], -v[48:49]
	v_add_f64 v[44:45], v[44:45], v[48:49]
	s_waitcnt lgkmcnt(0)
	v_mul_f64 v[48:49], v[22:23], v[18:19]
	v_mul_f64 v[50:51], v[20:21], v[14:15]
	v_fma_f64 v[48:49], v[20:21], v[16:17], -v[48:49]
	v_mul_f64 v[20:21], v[20:21], v[18:19]
	v_fmac_f64_e32 v[20:21], v[22:23], v[16:17]
	v_add_f64 v[36:37], v[20:21], v[36:37]
	v_mul_f64 v[20:21], v[10:11], v[14:15]
	v_mul_f64 v[14:15], v[8:9], v[14:15]
	v_fmac_f64_e32 v[50:51], v[22:23], v[12:13]
	v_fma_f64 v[20:21], v[8:9], v[12:13], -v[20:21]
	v_fmac_f64_e32 v[14:15], v[10:11], v[12:13]
	v_mul_f64 v[12:13], v[10:11], v[18:19]
	v_mul_f64 v[18:19], v[8:9], v[18:19]
	v_add_f64 v[40:41], v[40:41], v[20:21]
	v_add_f64 v[42:43], v[14:15], v[42:43]
	v_fma_f64 v[20:21], v[8:9], v[16:17], -v[12:13]
	v_fmac_f64_e32 v[18:19], v[10:11], v[16:17]
	ds_read_b128 v[8:11], v31 offset:96
	ds_read_b128 v[12:15], v30 offset:3072
	v_add_f64 v[46:47], v[50:51], v[46:47]
	v_add_f64 v[38:39], v[38:39], v[48:49]
	;; [unrolled: 1-line block ×4, first 2 shown]
	ds_read_b128 v[16:19], v30 offset:3328
	ds_read_b128 v[32:35], v31 offset:112
	s_waitcnt lgkmcnt(2)
	v_mul_f64 v[20:21], v[10:11], v[14:15]
	v_fma_f64 v[20:21], v[8:9], v[12:13], -v[20:21]
	v_mul_f64 v[22:23], v[8:9], v[14:15]
	v_fmac_f64_e32 v[22:23], v[10:11], v[12:13]
	v_add_f64 v[44:45], v[44:45], v[20:21]
	s_waitcnt lgkmcnt(1)
	v_mul_f64 v[20:21], v[10:11], v[18:19]
	v_add_f64 v[46:47], v[22:23], v[46:47]
	v_fma_f64 v[52:53], v[8:9], v[16:17], -v[20:21]
	ds_read_b128 v[20:23], v31 offset:2144
	v_mul_f64 v[8:9], v[8:9], v[18:19]
	v_fmac_f64_e32 v[8:9], v[10:11], v[16:17]
	v_add_f64 v[54:55], v[8:9], v[36:37]
	ds_read_b128 v[8:11], v31 offset:2160
	s_waitcnt lgkmcnt(1)
	v_mul_f64 v[36:37], v[22:23], v[14:15]
	v_mul_f64 v[14:15], v[20:21], v[14:15]
	v_fma_f64 v[36:37], v[20:21], v[12:13], -v[36:37]
	v_fmac_f64_e32 v[14:15], v[22:23], v[12:13]
	v_mul_f64 v[12:13], v[22:23], v[18:19]
	v_add_f64 v[40:41], v[40:41], v[36:37]
	v_add_f64 v[42:43], v[14:15], v[42:43]
	v_fma_f64 v[36:37], v[20:21], v[16:17], -v[12:13]
	ds_read_b128 v[12:15], v30 offset:3584
	v_add_f64 v[52:53], v[38:39], v[52:53]
	v_add_f64 v[48:49], v[48:49], v[36:37]
	ds_read_b128 v[36:39], v30 offset:3840
	v_mul_f64 v[18:19], v[20:21], v[18:19]
	v_fmac_f64_e32 v[18:19], v[22:23], v[16:17]
	s_waitcnt lgkmcnt(1)
	v_mul_f64 v[16:17], v[34:35], v[14:15]
	v_add_f64 v[50:51], v[18:19], v[50:51]
	v_fma_f64 v[16:17], v[32:33], v[12:13], -v[16:17]
	v_mul_f64 v[18:19], v[32:33], v[14:15]
	v_fmac_f64_e32 v[18:19], v[34:35], v[12:13]
	v_add_f64 v[20:21], v[44:45], v[16:17]
	s_waitcnt lgkmcnt(0)
	v_mul_f64 v[16:17], v[34:35], v[38:39]
	v_add_f64 v[22:23], v[18:19], v[46:47]
	v_fma_f64 v[16:17], v[32:33], v[36:37], -v[16:17]
	v_mul_f64 v[18:19], v[32:33], v[38:39]
	v_mul_f64 v[32:33], v[10:11], v[14:15]
	v_fma_f64 v[32:33], v[8:9], v[12:13], -v[32:33]
	v_mul_f64 v[14:15], v[8:9], v[14:15]
	v_fmac_f64_e32 v[14:15], v[10:11], v[12:13]
	v_add_f64 v[12:13], v[40:41], v[32:33]
	v_mul_f64 v[32:33], v[10:11], v[38:39]
	v_fma_f64 v[32:33], v[8:9], v[36:37], -v[32:33]
	v_mul_f64 v[8:9], v[8:9], v[38:39]
	v_fmac_f64_e32 v[18:19], v[34:35], v[36:37]
	v_fmac_f64_e32 v[8:9], v[10:11], v[36:37]
	s_add_i32 s29, s29, 8
	v_add_f64 v[16:17], v[52:53], v[16:17]
	v_add_f64 v[18:19], v[18:19], v[54:55]
	;; [unrolled: 1-line block ×5, first 2 shown]
	v_lshl_add_u64 v[4:5], v[4:5], 0, s[24:25]
	s_cmp_lt_i32 s29, s7
	v_lshl_add_u64 v[6:7], v[6:7], 0, s[16:17]
	s_barrier
	s_cbranch_scc0 .LBB112_16
.LBB112_8:                              ; =>This Inner Loop Header: Depth=1
	v_add_u32_e32 v32, s29, v27
	v_cmp_le_i32_e32 vcc, s7, v32
	s_or_b64 s[26:27], s[22:23], vcc
	s_and_saveexec_b64 s[30:31], s[26:27]
	s_xor_b64 s[26:27], exec, s[30:31]
; %bb.9:                                ;   in Loop: Header=BB112_8 Depth=1
	ds_write_b128 v28, v[0:3]
; %bb.10:                               ;   in Loop: Header=BB112_8 Depth=1
	s_andn2_saveexec_b64 s[26:27], s[26:27]
	s_cbranch_execz .LBB112_12
; %bb.11:                               ;   in Loop: Header=BB112_8 Depth=1
	global_load_dwordx4 v[32:35], v[4:5], off
	s_waitcnt vmcnt(0)
	ds_write2_b64 v28, v[32:33], v[34:35] offset1:1
.LBB112_12:                             ;   in Loop: Header=BB112_8 Depth=1
	s_or_b64 exec, exec, s[26:27]
	v_add_u32_e32 v32, s29, v26
	v_cmp_le_i32_e32 vcc, s7, v32
	s_or_b64 s[26:27], vcc, s[2:3]
	s_and_saveexec_b64 s[30:31], s[26:27]
	s_xor_b64 s[26:27], exec, s[30:31]
; %bb.13:                               ;   in Loop: Header=BB112_8 Depth=1
	ds_write_b128 v29, v[0:3]
; %bb.14:                               ;   in Loop: Header=BB112_8 Depth=1
	s_andn2_saveexec_b64 s[26:27], s[26:27]
	s_cbranch_execz .LBB112_7
; %bb.15:                               ;   in Loop: Header=BB112_8 Depth=1
	global_load_dwordx4 v[32:35], v[6:7], off
	s_waitcnt vmcnt(0)
	ds_write2_b64 v29, v[32:33], v[34:35] offset1:1
	s_branch .LBB112_7
.LBB112_16:
	s_load_dwordx2 s[2:3], s[0:1], 0x58
	s_load_dword s7, s[0:1], 0x50
	v_add_u32_e32 v4, s5, v25
	v_add_u32_e32 v26, s28, v24
	v_cmp_le_i32_e32 vcc, v4, v26
	s_waitcnt lgkmcnt(0)
	s_mul_i32 s1, s3, s4
	s_mul_hi_u32 s3, s2, s4
	s_mul_i32 s0, s2, s4
	s_add_i32 s1, s3, s1
	s_lshl_b64 s[0:1], s[0:1], 4
	s_add_u32 s4, s20, s0
	s_addc_u32 s5, s21, s1
	v_cmp_neq_f64_e64 s[0:1], s[8:9], 0
	s_xor_b64 s[16:17], s[18:19], -1
	v_mad_i64_i32 v[0:1], s[18:19], v26, s7, 0
	s_or_b64 s[0:1], s[0:1], s[16:17]
	v_cmp_gt_i32_e64 s[2:3], s6, v26
	v_lshl_add_u64 v[24:25], v[0:1], 4, s[4:5]
	v_cndmask_b32_e64 v0, 0, 1, s[0:1]
	s_and_b64 s[18:19], s[2:3], vcc
	v_ashrrev_i32_e32 v5, 31, v4
	v_cmp_ne_u32_e64 s[0:1], 1, v0
	s_and_saveexec_b64 s[16:17], s[18:19]
	s_cbranch_execz .LBB112_20
; %bb.17:
	v_mul_f64 v[0:1], s[14:15], v[22:23]
	v_mul_f64 v[2:3], s[12:13], v[22:23]
	v_fma_f64 v[0:1], s[12:13], v[20:21], -v[0:1]
	v_fmac_f64_e32 v[2:3], s[14:15], v[20:21]
	s_and_b64 vcc, exec, s[0:1]
	v_lshl_add_u64 v[6:7], v[4:5], 4, v[24:25]
	s_cbranch_vccnz .LBB112_19
; %bb.18:
	global_load_dwordx4 v[20:23], v[6:7], off
	s_waitcnt vmcnt(0)
	v_mul_f64 v[28:29], s[10:11], v[22:23]
	v_mul_f64 v[22:23], s[8:9], v[22:23]
	v_fma_f64 v[28:29], s[8:9], v[20:21], -v[28:29]
	v_fmac_f64_e32 v[22:23], s[10:11], v[20:21]
	v_add_f64 v[0:1], v[0:1], v[28:29]
	v_add_f64 v[2:3], v[2:3], v[22:23]
.LBB112_19:
	global_store_dwordx4 v[6:7], v[0:3], off
.LBB112_20:
	s_or_b64 exec, exec, s[16:17]
	v_add_u32_e32 v6, 16, v4
	v_cmp_le_i32_e32 vcc, v6, v26
	s_and_b64 s[16:17], s[2:3], vcc
	v_ashrrev_i32_e32 v7, 31, v6
	s_and_saveexec_b64 s[2:3], s[16:17]
	s_cbranch_execz .LBB112_24
; %bb.21:
	v_mul_f64 v[0:1], s[14:15], v[18:19]
	v_mul_f64 v[2:3], s[12:13], v[18:19]
	v_fma_f64 v[0:1], s[12:13], v[16:17], -v[0:1]
	v_fmac_f64_e32 v[2:3], s[14:15], v[16:17]
	s_and_b64 vcc, exec, s[0:1]
	v_lshl_add_u64 v[16:17], v[6:7], 4, v[24:25]
	s_cbranch_vccnz .LBB112_23
; %bb.22:
	global_load_dwordx4 v[18:21], v[16:17], off
	s_waitcnt vmcnt(0)
	v_mul_f64 v[22:23], s[10:11], v[20:21]
	v_mul_f64 v[20:21], s[8:9], v[20:21]
	v_fma_f64 v[22:23], s[8:9], v[18:19], -v[22:23]
	v_fmac_f64_e32 v[20:21], s[10:11], v[18:19]
	v_add_f64 v[0:1], v[0:1], v[22:23]
	v_add_f64 v[2:3], v[2:3], v[20:21]
.LBB112_23:
	global_store_dwordx4 v[16:17], v[0:3], off
.LBB112_24:
	s_or_b64 exec, exec, s[2:3]
	v_add_u32_e32 v18, 16, v26
	v_cmp_gt_i32_e64 s[2:3], s6, v18
	v_mad_i64_i32 v[0:1], s[6:7], v18, s7, 0
	v_cmp_le_i32_e32 vcc, v4, v18
	v_lshl_add_u64 v[16:17], v[0:1], 4, s[4:5]
	s_and_b64 s[6:7], s[2:3], vcc
	s_and_saveexec_b64 s[4:5], s[6:7]
	s_cbranch_execz .LBB112_28
; %bb.25:
	v_mul_f64 v[0:1], s[14:15], v[14:15]
	v_mul_f64 v[2:3], s[12:13], v[14:15]
	v_fma_f64 v[0:1], s[12:13], v[12:13], -v[0:1]
	v_fmac_f64_e32 v[2:3], s[14:15], v[12:13]
	s_and_b64 vcc, exec, s[0:1]
	v_lshl_add_u64 v[4:5], v[4:5], 4, v[16:17]
	s_cbranch_vccnz .LBB112_27
; %bb.26:
	global_load_dwordx4 v[12:15], v[4:5], off
	s_waitcnt vmcnt(0)
	v_mul_f64 v[20:21], s[10:11], v[14:15]
	v_mul_f64 v[14:15], s[8:9], v[14:15]
	v_fma_f64 v[20:21], s[8:9], v[12:13], -v[20:21]
	v_fmac_f64_e32 v[14:15], s[10:11], v[12:13]
	v_add_f64 v[0:1], v[0:1], v[20:21]
	v_add_f64 v[2:3], v[2:3], v[14:15]
.LBB112_27:
	global_store_dwordx4 v[4:5], v[0:3], off
.LBB112_28:
	s_or_b64 exec, exec, s[4:5]
	v_cmp_le_i32_e32 vcc, v6, v18
	s_and_b64 s[2:3], s[2:3], vcc
	s_and_saveexec_b64 s[4:5], s[2:3]
	s_cbranch_execz .LBB112_32
; %bb.29:
	v_mul_f64 v[0:1], s[14:15], v[8:9]
	v_mul_f64 v[2:3], s[12:13], v[8:9]
	v_fma_f64 v[0:1], s[12:13], v[10:11], -v[0:1]
	v_fmac_f64_e32 v[2:3], s[14:15], v[10:11]
	s_and_b64 vcc, exec, s[0:1]
	v_lshl_add_u64 v[4:5], v[6:7], 4, v[16:17]
	s_cbranch_vccnz .LBB112_31
; %bb.30:
	global_load_dwordx4 v[6:9], v[4:5], off
	s_waitcnt vmcnt(0)
	v_mul_f64 v[10:11], s[10:11], v[8:9]
	v_mul_f64 v[8:9], s[8:9], v[8:9]
	v_fma_f64 v[10:11], s[8:9], v[6:7], -v[10:11]
	v_fmac_f64_e32 v[8:9], s[10:11], v[6:7]
	v_add_f64 v[0:1], v[0:1], v[10:11]
	v_add_f64 v[2:3], v[2:3], v[8:9]
.LBB112_31:
	global_store_dwordx4 v[4:5], v[0:3], off
.LBB112_32:
	s_endpgm
	.section	.rodata,"a",@progbits
	.p2align	6, 0x0
	.amdhsa_kernel _ZL29rocblas_internal_gemmt_kernelIiLi16ELi32ELi8ELc84ELc84ELc85ELb0ELb0E19rocblas_complex_numIdEPKS1_S3_PS1_EviT_T9_T10_S5_lS7_S5_lS6_T11_S5_li
		.amdhsa_group_segment_fixed_size 8192
		.amdhsa_private_segment_fixed_size 0
		.amdhsa_kernarg_size 100
		.amdhsa_user_sgpr_count 2
		.amdhsa_user_sgpr_dispatch_ptr 0
		.amdhsa_user_sgpr_queue_ptr 0
		.amdhsa_user_sgpr_kernarg_segment_ptr 1
		.amdhsa_user_sgpr_dispatch_id 0
		.amdhsa_user_sgpr_kernarg_preload_length 0
		.amdhsa_user_sgpr_kernarg_preload_offset 0
		.amdhsa_user_sgpr_private_segment_size 0
		.amdhsa_uses_dynamic_stack 0
		.amdhsa_enable_private_segment 0
		.amdhsa_system_sgpr_workgroup_id_x 1
		.amdhsa_system_sgpr_workgroup_id_y 1
		.amdhsa_system_sgpr_workgroup_id_z 1
		.amdhsa_system_sgpr_workgroup_info 0
		.amdhsa_system_vgpr_workitem_id 1
		.amdhsa_next_free_vgpr 62
		.amdhsa_next_free_sgpr 36
		.amdhsa_accum_offset 64
		.amdhsa_reserve_vcc 1
		.amdhsa_float_round_mode_32 0
		.amdhsa_float_round_mode_16_64 0
		.amdhsa_float_denorm_mode_32 3
		.amdhsa_float_denorm_mode_16_64 3
		.amdhsa_dx10_clamp 1
		.amdhsa_ieee_mode 1
		.amdhsa_fp16_overflow 0
		.amdhsa_tg_split 0
		.amdhsa_exception_fp_ieee_invalid_op 0
		.amdhsa_exception_fp_denorm_src 0
		.amdhsa_exception_fp_ieee_div_zero 0
		.amdhsa_exception_fp_ieee_overflow 0
		.amdhsa_exception_fp_ieee_underflow 0
		.amdhsa_exception_fp_ieee_inexact 0
		.amdhsa_exception_int_div_zero 0
	.end_amdhsa_kernel
	.section	.text._ZL29rocblas_internal_gemmt_kernelIiLi16ELi32ELi8ELc84ELc84ELc85ELb0ELb0E19rocblas_complex_numIdEPKS1_S3_PS1_EviT_T9_T10_S5_lS7_S5_lS6_T11_S5_li,"axG",@progbits,_ZL29rocblas_internal_gemmt_kernelIiLi16ELi32ELi8ELc84ELc84ELc85ELb0ELb0E19rocblas_complex_numIdEPKS1_S3_PS1_EviT_T9_T10_S5_lS7_S5_lS6_T11_S5_li,comdat
.Lfunc_end112:
	.size	_ZL29rocblas_internal_gemmt_kernelIiLi16ELi32ELi8ELc84ELc84ELc85ELb0ELb0E19rocblas_complex_numIdEPKS1_S3_PS1_EviT_T9_T10_S5_lS7_S5_lS6_T11_S5_li, .Lfunc_end112-_ZL29rocblas_internal_gemmt_kernelIiLi16ELi32ELi8ELc84ELc84ELc85ELb0ELb0E19rocblas_complex_numIdEPKS1_S3_PS1_EviT_T9_T10_S5_lS7_S5_lS6_T11_S5_li
                                        ; -- End function
	.set _ZL29rocblas_internal_gemmt_kernelIiLi16ELi32ELi8ELc84ELc84ELc85ELb0ELb0E19rocblas_complex_numIdEPKS1_S3_PS1_EviT_T9_T10_S5_lS7_S5_lS6_T11_S5_li.num_vgpr, 62
	.set _ZL29rocblas_internal_gemmt_kernelIiLi16ELi32ELi8ELc84ELc84ELc85ELb0ELb0E19rocblas_complex_numIdEPKS1_S3_PS1_EviT_T9_T10_S5_lS7_S5_lS6_T11_S5_li.num_agpr, 0
	.set _ZL29rocblas_internal_gemmt_kernelIiLi16ELi32ELi8ELc84ELc84ELc85ELb0ELb0E19rocblas_complex_numIdEPKS1_S3_PS1_EviT_T9_T10_S5_lS7_S5_lS6_T11_S5_li.numbered_sgpr, 36
	.set _ZL29rocblas_internal_gemmt_kernelIiLi16ELi32ELi8ELc84ELc84ELc85ELb0ELb0E19rocblas_complex_numIdEPKS1_S3_PS1_EviT_T9_T10_S5_lS7_S5_lS6_T11_S5_li.num_named_barrier, 0
	.set _ZL29rocblas_internal_gemmt_kernelIiLi16ELi32ELi8ELc84ELc84ELc85ELb0ELb0E19rocblas_complex_numIdEPKS1_S3_PS1_EviT_T9_T10_S5_lS7_S5_lS6_T11_S5_li.private_seg_size, 0
	.set _ZL29rocblas_internal_gemmt_kernelIiLi16ELi32ELi8ELc84ELc84ELc85ELb0ELb0E19rocblas_complex_numIdEPKS1_S3_PS1_EviT_T9_T10_S5_lS7_S5_lS6_T11_S5_li.uses_vcc, 1
	.set _ZL29rocblas_internal_gemmt_kernelIiLi16ELi32ELi8ELc84ELc84ELc85ELb0ELb0E19rocblas_complex_numIdEPKS1_S3_PS1_EviT_T9_T10_S5_lS7_S5_lS6_T11_S5_li.uses_flat_scratch, 0
	.set _ZL29rocblas_internal_gemmt_kernelIiLi16ELi32ELi8ELc84ELc84ELc85ELb0ELb0E19rocblas_complex_numIdEPKS1_S3_PS1_EviT_T9_T10_S5_lS7_S5_lS6_T11_S5_li.has_dyn_sized_stack, 0
	.set _ZL29rocblas_internal_gemmt_kernelIiLi16ELi32ELi8ELc84ELc84ELc85ELb0ELb0E19rocblas_complex_numIdEPKS1_S3_PS1_EviT_T9_T10_S5_lS7_S5_lS6_T11_S5_li.has_recursion, 0
	.set _ZL29rocblas_internal_gemmt_kernelIiLi16ELi32ELi8ELc84ELc84ELc85ELb0ELb0E19rocblas_complex_numIdEPKS1_S3_PS1_EviT_T9_T10_S5_lS7_S5_lS6_T11_S5_li.has_indirect_call, 0
	.section	.AMDGPU.csdata,"",@progbits
; Kernel info:
; codeLenInByte = 3124
; TotalNumSgprs: 42
; NumVgprs: 62
; NumAgprs: 0
; TotalNumVgprs: 62
; ScratchSize: 0
; MemoryBound: 0
; FloatMode: 240
; IeeeMode: 1
; LDSByteSize: 8192 bytes/workgroup (compile time only)
; SGPRBlocks: 5
; VGPRBlocks: 7
; NumSGPRsForWavesPerEU: 42
; NumVGPRsForWavesPerEU: 62
; AccumOffset: 64
; Occupancy: 8
; WaveLimiterHint : 0
; COMPUTE_PGM_RSRC2:SCRATCH_EN: 0
; COMPUTE_PGM_RSRC2:USER_SGPR: 2
; COMPUTE_PGM_RSRC2:TRAP_HANDLER: 0
; COMPUTE_PGM_RSRC2:TGID_X_EN: 1
; COMPUTE_PGM_RSRC2:TGID_Y_EN: 1
; COMPUTE_PGM_RSRC2:TGID_Z_EN: 1
; COMPUTE_PGM_RSRC2:TIDIG_COMP_CNT: 1
; COMPUTE_PGM_RSRC3_GFX90A:ACCUM_OFFSET: 15
; COMPUTE_PGM_RSRC3_GFX90A:TG_SPLIT: 0
	.section	.text._ZL29rocblas_internal_gemmt_kernelIiLi16ELi32ELi8ELc84ELc67ELc85ELb0ELb1E19rocblas_complex_numIdEPKS1_S3_PS1_EviT_T9_T10_S5_lS7_S5_lS6_T11_S5_li,"axG",@progbits,_ZL29rocblas_internal_gemmt_kernelIiLi16ELi32ELi8ELc84ELc67ELc85ELb0ELb1E19rocblas_complex_numIdEPKS1_S3_PS1_EviT_T9_T10_S5_lS7_S5_lS6_T11_S5_li,comdat
	.globl	_ZL29rocblas_internal_gemmt_kernelIiLi16ELi32ELi8ELc84ELc67ELc85ELb0ELb1E19rocblas_complex_numIdEPKS1_S3_PS1_EviT_T9_T10_S5_lS7_S5_lS6_T11_S5_li ; -- Begin function _ZL29rocblas_internal_gemmt_kernelIiLi16ELi32ELi8ELc84ELc67ELc85ELb0ELb1E19rocblas_complex_numIdEPKS1_S3_PS1_EviT_T9_T10_S5_lS7_S5_lS6_T11_S5_li
	.p2align	8
	.type	_ZL29rocblas_internal_gemmt_kernelIiLi16ELi32ELi8ELc84ELc67ELc85ELb0ELb1E19rocblas_complex_numIdEPKS1_S3_PS1_EviT_T9_T10_S5_lS7_S5_lS6_T11_S5_li,@function
_ZL29rocblas_internal_gemmt_kernelIiLi16ELi32ELi8ELc84ELc67ELc85ELb0ELb1E19rocblas_complex_numIdEPKS1_S3_PS1_EviT_T9_T10_S5_lS7_S5_lS6_T11_S5_li: ; @_ZL29rocblas_internal_gemmt_kernelIiLi16ELi32ELi8ELc84ELc67ELc85ELb0ELb1E19rocblas_complex_numIdEPKS1_S3_PS1_EviT_T9_T10_S5_lS7_S5_lS6_T11_S5_li
; %bb.0:
	s_load_dwordx4 s[16:19], s[0:1], 0x38
	s_load_dwordx4 s[20:23], s[0:1], 0x8
	s_mov_b64 s[24:25], 0
	s_waitcnt lgkmcnt(0)
	s_load_dwordx4 s[8:11], s[18:19], 0x0
	s_load_dwordx2 s[6:7], s[0:1], 0x0
	s_load_dwordx4 s[12:15], s[20:21], 0x0
	s_waitcnt lgkmcnt(0)
	v_cmp_eq_f64_e64 s[20:21], s[8:9], 1.0
	v_cmp_eq_f64_e64 s[18:19], s[10:11], 0
	s_and_b64 s[20:21], s[20:21], s[18:19]
	s_andn2_b64 vcc, exec, s[20:21]
	s_mov_b64 s[20:21], -1
	s_cbranch_vccnz .LBB113_4
; %bb.1:
	s_cmp_lg_u32 s7, 0
	s_cbranch_scc0 .LBB113_3
; %bb.2:
	v_cmp_neq_f64_e64 s[20:21], s[12:13], 0
	v_cmp_neq_f64_e64 s[24:25], s[14:15], 0
	s_or_b64 s[24:25], s[20:21], s[24:25]
.LBB113_3:
	s_mov_b64 s[20:21], s[24:25]
.LBB113_4:
	s_and_b64 vcc, exec, s[20:21]
	s_cbranch_vccz .LBB113_30
; %bb.5:
	s_lshl_b32 s5, s2, 5
	s_lshl_b32 s28, s3, 5
	v_cmp_eq_f64_e64 s[2:3], s[12:13], 0
	v_cmp_eq_f64_e64 s[24:25], s[14:15], 0
	s_load_dwordx2 s[20:21], s[0:1], 0x48
	s_and_b64 s[2:3], s[2:3], s[24:25]
	s_cmp_lt_i32 s7, 1
	s_cselect_b64 s[24:25], -1, 0
	s_or_b64 s[2:3], s[2:3], s[24:25]
	v_and_b32_e32 v29, 0x3ff, v0
	v_bfe_u32 v28, v0, 10, 10
	s_mov_b32 s29, 0
	v_mov_b64_e32 v[24:25], 0
	s_and_b64 vcc, exec, s[2:3]
	v_mov_b64_e32 v[26:27], 0
	v_mov_b64_e32 v[20:21], 0
	;; [unrolled: 1-line block ×7, first 2 shown]
	s_cbranch_vccnz .LBB113_14
; %bb.6:
	v_lshl_add_u32 v0, v28, 4, v29
	v_lshrrev_b32_e32 v31, 5, v0
	v_lshrrev_b32_e32 v1, 3, v0
	v_and_b32_e32 v0, 31, v0
	s_load_dword s33, s[0:1], 0x18
	s_load_dword s30, s[0:1], 0x30
	s_load_dwordx4 s[24:27], s[0:1], 0x20
	v_or_b32_e32 v3, s5, v0
	v_and_b32_e32 v30, 7, v29
	v_cmp_gt_i32_e64 s[2:3], s6, v3
	v_lshlrev_b32_e32 v3, 4, v0
	v_lshl_or_b32 v32, v31, 9, v3
	v_lshlrev_b32_e32 v3, 4, v30
	v_add_u32_e32 v2, s28, v1
	v_lshl_or_b32 v1, v1, 7, v3
	v_add_u32_e32 v33, 0x1000, v1
	v_mov_b32_e32 v1, 0x1000
	v_add_u32_e32 v0, s5, v0
	v_lshl_add_u32 v35, v28, 7, v1
	s_waitcnt lgkmcnt(0)
	v_mad_i64_i32 v[0:1], s[34:35], s33, v0, 0
	s_mul_i32 s25, s25, s4
	s_mul_hi_u32 s33, s24, s4
	s_add_i32 s25, s33, s25
	s_mul_i32 s24, s24, s4
	s_lshl_b64 s[24:25], s[24:25], 4
	v_lshl_add_u64 v[4:5], v[0:1], 4, s[24:25]
	v_lshlrev_b32_e32 v0, 4, v31
	v_mov_b32_e32 v1, 0
	v_lshl_add_u64 v[4:5], v[4:5], 0, v[0:1]
	v_lshl_add_u64 v[8:9], s[22:23], 0, v[4:5]
	s_mul_i32 s17, s17, s4
	s_mul_hi_u32 s22, s16, s4
	s_add_i32 s17, s22, s17
	v_mad_i64_i32 v[4:5], s[22:23], s30, v30, 0
	s_mul_i32 s16, s16, s4
	v_lshlrev_b64 v[4:5], 4, v[4:5]
	v_ashrrev_i32_e32 v3, 31, v2
	v_lshl_add_u64 v[4:5], s[16:17], 4, v[4:5]
	v_cmp_gt_i32_e32 vcc, s6, v2
	v_lshl_add_u64 v[2:3], v[2:3], 4, v[4:5]
	s_ashr_i32 s31, s30, 31
	v_lshl_add_u64 v[2:3], s[26:27], 0, v[2:3]
	v_lshlrev_b32_e32 v34, 4, v29
	v_lshl_add_u64 v[10:11], v[2:3], 0, 8
	s_lshl_b64 s[16:17], s[30:31], 7
	v_mov_b64_e32 v[12:13], 0
	s_xor_b64 s[22:23], s[2:3], -1
	s_mov_b64 s[24:25], 0x80
	v_mov_b32_e32 v0, v1
	v_mov_b32_e32 v2, v1
	;; [unrolled: 1-line block ×3, first 2 shown]
	v_mov_b64_e32 v[14:15], 0
	v_mov_b64_e32 v[18:19], 0
	v_mov_b64_e32 v[16:17], 0
	v_mov_b64_e32 v[22:23], 0
	v_mov_b64_e32 v[20:21], 0
	v_mov_b64_e32 v[26:27], 0
	v_mov_b64_e32 v[24:25], 0
	s_branch .LBB113_8
.LBB113_7:                              ;   in Loop: Header=BB113_8 Depth=1
	s_or_b64 exec, exec, s[2:3]
	ds_write_b128 v33, v[4:7]
	s_waitcnt lgkmcnt(0)
	s_barrier
	ds_read_b128 v[4:7], v34
	ds_read_b128 v[36:39], v35
	ds_read_b128 v[40:43], v35 offset:16
	ds_read_b128 v[44:47], v35 offset:32
	;; [unrolled: 1-line block ×4, first 2 shown]
	s_waitcnt lgkmcnt(4)
	v_mul_f64 v[56:57], v[38:39], v[6:7]
	v_fma_f64 v[56:57], v[36:37], v[4:5], -v[56:57]
	v_mul_f64 v[58:59], v[36:37], v[6:7]
	v_fmac_f64_e32 v[58:59], v[38:39], v[4:5]
	v_add_f64 v[56:57], v[24:25], v[56:57]
	s_waitcnt lgkmcnt(0)
	v_mul_f64 v[24:25], v[38:39], v[54:55]
	v_add_f64 v[58:59], v[58:59], v[26:27]
	v_fma_f64 v[60:61], v[36:37], v[52:53], -v[24:25]
	ds_read_b128 v[24:27], v35 offset:2048
	v_mul_f64 v[36:37], v[36:37], v[54:55]
	v_fmac_f64_e32 v[36:37], v[38:39], v[52:53]
	v_add_f64 v[38:39], v[20:21], v[60:61]
	v_add_f64 v[36:37], v[36:37], v[22:23]
	ds_read_b128 v[20:23], v35 offset:2064
	s_waitcnt lgkmcnt(1)
	v_mul_f64 v[60:61], v[26:27], v[6:7]
	v_mul_f64 v[6:7], v[24:25], v[6:7]
	v_fma_f64 v[60:61], v[24:25], v[4:5], -v[60:61]
	v_fmac_f64_e32 v[6:7], v[26:27], v[4:5]
	v_mul_f64 v[4:5], v[26:27], v[54:55]
	v_add_f64 v[16:17], v[16:17], v[60:61]
	v_add_f64 v[18:19], v[6:7], v[18:19]
	v_fma_f64 v[60:61], v[24:25], v[52:53], -v[4:5]
	v_mul_f64 v[24:25], v[24:25], v[54:55]
	ds_read_b128 v[4:7], v34 offset:512
	v_fmac_f64_e32 v[24:25], v[26:27], v[52:53]
	v_add_f64 v[26:27], v[14:15], v[60:61]
	v_add_f64 v[24:25], v[24:25], v[12:13]
	ds_read_b128 v[12:15], v34 offset:768
	s_waitcnt lgkmcnt(1)
	v_mul_f64 v[52:53], v[42:43], v[6:7]
	v_fma_f64 v[52:53], v[40:41], v[4:5], -v[52:53]
	v_add_f64 v[52:53], v[56:57], v[52:53]
	v_mul_f64 v[54:55], v[40:41], v[6:7]
	s_waitcnt lgkmcnt(0)
	v_mul_f64 v[56:57], v[42:43], v[14:15]
	v_fma_f64 v[56:57], v[40:41], v[12:13], -v[56:57]
	v_mul_f64 v[40:41], v[40:41], v[14:15]
	v_fmac_f64_e32 v[40:41], v[42:43], v[12:13]
	v_add_f64 v[36:37], v[40:41], v[36:37]
	v_mul_f64 v[40:41], v[22:23], v[6:7]
	v_mul_f64 v[6:7], v[20:21], v[6:7]
	v_fmac_f64_e32 v[54:55], v[42:43], v[4:5]
	v_fma_f64 v[40:41], v[20:21], v[4:5], -v[40:41]
	v_fmac_f64_e32 v[6:7], v[22:23], v[4:5]
	v_mul_f64 v[4:5], v[22:23], v[14:15]
	v_add_f64 v[40:41], v[16:17], v[40:41]
	v_add_f64 v[42:43], v[6:7], v[18:19]
	v_fma_f64 v[16:17], v[20:21], v[12:13], -v[4:5]
	v_mul_f64 v[14:15], v[20:21], v[14:15]
	ds_read_b128 v[4:7], v34 offset:1024
	v_fmac_f64_e32 v[14:15], v[22:23], v[12:13]
	v_add_f64 v[24:25], v[14:15], v[24:25]
	ds_read_b128 v[12:15], v34 offset:1280
	v_add_f64 v[26:27], v[26:27], v[16:17]
	s_waitcnt lgkmcnt(1)
	v_mul_f64 v[16:17], v[46:47], v[6:7]
	v_fma_f64 v[16:17], v[44:45], v[4:5], -v[16:17]
	v_mul_f64 v[18:19], v[44:45], v[6:7]
	v_add_f64 v[54:55], v[54:55], v[58:59]
	v_fmac_f64_e32 v[18:19], v[46:47], v[4:5]
	v_add_f64 v[52:53], v[52:53], v[16:17]
	s_waitcnt lgkmcnt(0)
	v_mul_f64 v[16:17], v[46:47], v[14:15]
	v_add_f64 v[54:55], v[18:19], v[54:55]
	v_fma_f64 v[20:21], v[44:45], v[12:13], -v[16:17]
	ds_read_b128 v[16:19], v35 offset:2080
	v_mul_f64 v[22:23], v[44:45], v[14:15]
	v_add_f64 v[38:39], v[38:39], v[56:57]
	v_fmac_f64_e32 v[22:23], v[46:47], v[12:13]
	v_add_f64 v[38:39], v[38:39], v[20:21]
	v_add_f64 v[36:37], v[22:23], v[36:37]
	ds_read_b128 v[20:23], v35 offset:2096
	s_waitcnt lgkmcnt(1)
	v_mul_f64 v[44:45], v[18:19], v[6:7]
	v_mul_f64 v[6:7], v[16:17], v[6:7]
	v_fma_f64 v[44:45], v[16:17], v[4:5], -v[44:45]
	v_fmac_f64_e32 v[6:7], v[18:19], v[4:5]
	v_mul_f64 v[4:5], v[18:19], v[14:15]
	v_mul_f64 v[14:15], v[16:17], v[14:15]
	v_fmac_f64_e32 v[14:15], v[18:19], v[12:13]
	v_add_f64 v[40:41], v[40:41], v[44:45]
	v_add_f64 v[42:43], v[6:7], v[42:43]
	v_fma_f64 v[44:45], v[16:17], v[12:13], -v[4:5]
	ds_read_b128 v[4:7], v34 offset:1536
	v_add_f64 v[18:19], v[14:15], v[24:25]
	ds_read_b128 v[12:15], v34 offset:1792
	v_add_f64 v[16:17], v[26:27], v[44:45]
	s_add_i32 s29, s29, 8
	s_waitcnt lgkmcnt(1)
	v_mul_f64 v[24:25], v[50:51], v[6:7]
	v_mul_f64 v[26:27], v[48:49], v[6:7]
	s_waitcnt lgkmcnt(0)
	v_mul_f64 v[44:45], v[50:51], v[14:15]
	v_fma_f64 v[44:45], v[48:49], v[12:13], -v[44:45]
	v_add_f64 v[38:39], v[38:39], v[44:45]
	v_mul_f64 v[44:45], v[22:23], v[6:7]
	v_mul_f64 v[6:7], v[20:21], v[6:7]
	v_fma_f64 v[24:25], v[48:49], v[4:5], -v[24:25]
	v_fmac_f64_e32 v[26:27], v[50:51], v[4:5]
	v_fma_f64 v[44:45], v[20:21], v[4:5], -v[44:45]
	v_fmac_f64_e32 v[6:7], v[22:23], v[4:5]
	v_mul_f64 v[4:5], v[22:23], v[14:15]
	v_mul_f64 v[46:47], v[48:49], v[14:15]
	v_add_f64 v[40:41], v[40:41], v[44:45]
	v_fma_f64 v[44:45], v[20:21], v[12:13], -v[4:5]
	v_mul_f64 v[20:21], v[20:21], v[14:15]
	v_fmac_f64_e32 v[46:47], v[50:51], v[12:13]
	v_add_f64 v[42:43], v[6:7], v[42:43]
	v_fmac_f64_e32 v[20:21], v[22:23], v[12:13]
	ds_read_b128 v[4:7], v35 offset:64
	ds_read_b128 v[12:15], v34 offset:2048
	v_add_f64 v[36:37], v[46:47], v[36:37]
	v_add_f64 v[44:45], v[16:17], v[44:45]
	;; [unrolled: 1-line block ×3, first 2 shown]
	ds_read_b128 v[16:19], v34 offset:2304
	ds_read_b128 v[20:23], v35 offset:80
	s_waitcnt lgkmcnt(2)
	v_mul_f64 v[48:49], v[6:7], v[14:15]
	v_add_f64 v[24:25], v[52:53], v[24:25]
	v_fma_f64 v[48:49], v[4:5], v[12:13], -v[48:49]
	v_mul_f64 v[50:51], v[4:5], v[14:15]
	v_add_f64 v[26:27], v[26:27], v[54:55]
	v_fmac_f64_e32 v[50:51], v[6:7], v[12:13]
	v_add_f64 v[48:49], v[24:25], v[48:49]
	s_waitcnt lgkmcnt(1)
	v_mul_f64 v[24:25], v[6:7], v[18:19]
	v_add_f64 v[50:51], v[50:51], v[26:27]
	v_fma_f64 v[52:53], v[4:5], v[16:17], -v[24:25]
	ds_read_b128 v[24:27], v35 offset:2112
	v_mul_f64 v[4:5], v[4:5], v[18:19]
	v_fmac_f64_e32 v[4:5], v[6:7], v[16:17]
	v_add_f64 v[38:39], v[38:39], v[52:53]
	v_add_f64 v[36:37], v[4:5], v[36:37]
	ds_read_b128 v[4:7], v35 offset:2128
	s_waitcnt lgkmcnt(1)
	v_mul_f64 v[52:53], v[26:27], v[14:15]
	v_mul_f64 v[14:15], v[24:25], v[14:15]
	v_fma_f64 v[52:53], v[24:25], v[12:13], -v[52:53]
	v_fmac_f64_e32 v[14:15], v[26:27], v[12:13]
	v_mul_f64 v[12:13], v[26:27], v[18:19]
	v_add_f64 v[40:41], v[40:41], v[52:53]
	v_add_f64 v[42:43], v[14:15], v[42:43]
	v_fma_f64 v[52:53], v[24:25], v[16:17], -v[12:13]
	v_mul_f64 v[18:19], v[24:25], v[18:19]
	ds_read_b128 v[12:15], v34 offset:2560
	v_fmac_f64_e32 v[18:19], v[26:27], v[16:17]
	v_add_f64 v[26:27], v[18:19], v[46:47]
	ds_read_b128 v[16:19], v34 offset:2816
	v_add_f64 v[24:25], v[44:45], v[52:53]
	s_waitcnt lgkmcnt(1)
	v_mul_f64 v[44:45], v[22:23], v[14:15]
	v_fma_f64 v[44:45], v[20:21], v[12:13], -v[44:45]
	v_add_f64 v[44:45], v[48:49], v[44:45]
	s_waitcnt lgkmcnt(0)
	v_mul_f64 v[48:49], v[22:23], v[18:19]
	v_mul_f64 v[46:47], v[20:21], v[14:15]
	v_fma_f64 v[48:49], v[20:21], v[16:17], -v[48:49]
	v_mul_f64 v[20:21], v[20:21], v[18:19]
	v_fmac_f64_e32 v[20:21], v[22:23], v[16:17]
	v_add_f64 v[36:37], v[20:21], v[36:37]
	v_mul_f64 v[20:21], v[6:7], v[14:15]
	v_mul_f64 v[14:15], v[4:5], v[14:15]
	v_fmac_f64_e32 v[46:47], v[22:23], v[12:13]
	v_fma_f64 v[20:21], v[4:5], v[12:13], -v[20:21]
	v_fmac_f64_e32 v[14:15], v[6:7], v[12:13]
	v_mul_f64 v[12:13], v[6:7], v[18:19]
	v_mul_f64 v[18:19], v[4:5], v[18:19]
	v_add_f64 v[40:41], v[40:41], v[20:21]
	v_add_f64 v[42:43], v[14:15], v[42:43]
	v_fma_f64 v[20:21], v[4:5], v[16:17], -v[12:13]
	v_fmac_f64_e32 v[18:19], v[6:7], v[16:17]
	ds_read_b128 v[4:7], v35 offset:96
	ds_read_b128 v[12:15], v34 offset:3072
	v_add_f64 v[46:47], v[46:47], v[50:51]
	v_add_f64 v[38:39], v[38:39], v[48:49]
	;; [unrolled: 1-line block ×4, first 2 shown]
	ds_read_b128 v[16:19], v34 offset:3328
	ds_read_b128 v[20:23], v35 offset:112
	s_waitcnt lgkmcnt(2)
	v_mul_f64 v[24:25], v[6:7], v[14:15]
	v_fma_f64 v[24:25], v[4:5], v[12:13], -v[24:25]
	v_mul_f64 v[26:27], v[4:5], v[14:15]
	v_fmac_f64_e32 v[26:27], v[6:7], v[12:13]
	v_add_f64 v[44:45], v[44:45], v[24:25]
	s_waitcnt lgkmcnt(1)
	v_mul_f64 v[24:25], v[6:7], v[18:19]
	v_add_f64 v[46:47], v[26:27], v[46:47]
	v_fma_f64 v[52:53], v[4:5], v[16:17], -v[24:25]
	ds_read_b128 v[24:27], v35 offset:2144
	v_mul_f64 v[4:5], v[4:5], v[18:19]
	v_fmac_f64_e32 v[4:5], v[6:7], v[16:17]
	v_add_f64 v[54:55], v[4:5], v[36:37]
	ds_read_b128 v[4:7], v35 offset:2160
	s_waitcnt lgkmcnt(1)
	v_mul_f64 v[36:37], v[26:27], v[14:15]
	v_mul_f64 v[14:15], v[24:25], v[14:15]
	v_fma_f64 v[36:37], v[24:25], v[12:13], -v[36:37]
	v_fmac_f64_e32 v[14:15], v[26:27], v[12:13]
	v_mul_f64 v[12:13], v[26:27], v[18:19]
	v_add_f64 v[40:41], v[40:41], v[36:37]
	v_add_f64 v[42:43], v[14:15], v[42:43]
	v_fma_f64 v[36:37], v[24:25], v[16:17], -v[12:13]
	ds_read_b128 v[12:15], v34 offset:3584
	v_add_f64 v[52:53], v[38:39], v[52:53]
	v_add_f64 v[48:49], v[48:49], v[36:37]
	ds_read_b128 v[36:39], v34 offset:3840
	v_mul_f64 v[18:19], v[24:25], v[18:19]
	v_fmac_f64_e32 v[18:19], v[26:27], v[16:17]
	s_waitcnt lgkmcnt(1)
	v_mul_f64 v[16:17], v[22:23], v[14:15]
	v_fma_f64 v[16:17], v[20:21], v[12:13], -v[16:17]
	v_add_f64 v[50:51], v[18:19], v[50:51]
	v_mul_f64 v[18:19], v[20:21], v[14:15]
	v_add_f64 v[24:25], v[44:45], v[16:17]
	s_waitcnt lgkmcnt(0)
	v_mul_f64 v[16:17], v[22:23], v[38:39]
	v_fmac_f64_e32 v[18:19], v[22:23], v[12:13]
	v_fma_f64 v[16:17], v[20:21], v[36:37], -v[16:17]
	v_add_f64 v[26:27], v[18:19], v[46:47]
	v_mul_f64 v[18:19], v[20:21], v[38:39]
	v_add_f64 v[20:21], v[52:53], v[16:17]
	v_mul_f64 v[16:17], v[6:7], v[14:15]
	v_mul_f64 v[14:15], v[4:5], v[14:15]
	v_fma_f64 v[16:17], v[4:5], v[12:13], -v[16:17]
	v_fmac_f64_e32 v[14:15], v[6:7], v[12:13]
	v_mul_f64 v[12:13], v[6:7], v[38:39]
	v_fma_f64 v[12:13], v[4:5], v[36:37], -v[12:13]
	v_mul_f64 v[4:5], v[4:5], v[38:39]
	v_fmac_f64_e32 v[18:19], v[22:23], v[36:37]
	v_fmac_f64_e32 v[4:5], v[6:7], v[36:37]
	v_add_f64 v[22:23], v[18:19], v[54:55]
	v_add_f64 v[16:17], v[40:41], v[16:17]
	;; [unrolled: 1-line block ×5, first 2 shown]
	v_lshl_add_u64 v[8:9], v[8:9], 0, s[24:25]
	s_cmp_lt_i32 s29, s7
	v_lshl_add_u64 v[10:11], v[10:11], 0, s[16:17]
	s_barrier
	s_cbranch_scc0 .LBB113_14
.LBB113_8:                              ; =>This Inner Loop Header: Depth=1
	v_add_u32_e32 v4, s29, v31
	v_cmp_le_i32_e64 s[2:3], s7, v4
	s_or_b64 s[2:3], s[22:23], s[2:3]
	s_and_saveexec_b64 s[26:27], s[2:3]
	s_xor_b64 s[2:3], exec, s[26:27]
; %bb.9:                                ;   in Loop: Header=BB113_8 Depth=1
	ds_write_b128 v32, v[0:3]
; %bb.10:                               ;   in Loop: Header=BB113_8 Depth=1
	s_andn2_saveexec_b64 s[2:3], s[2:3]
	s_cbranch_execz .LBB113_12
; %bb.11:                               ;   in Loop: Header=BB113_8 Depth=1
	global_load_dwordx4 v[4:7], v[8:9], off
	s_waitcnt vmcnt(0)
	ds_write2_b64 v32, v[4:5], v[6:7] offset1:1
.LBB113_12:                             ;   in Loop: Header=BB113_8 Depth=1
	s_or_b64 exec, exec, s[2:3]
	v_add_u32_e32 v4, s29, v30
	v_cmp_gt_i32_e64 s[2:3], s7, v4
	s_and_b64 s[26:27], s[2:3], vcc
	v_mov_b64_e32 v[4:5], 0
	v_mov_b64_e32 v[6:7], 0
	s_and_saveexec_b64 s[2:3], s[26:27]
	s_cbranch_execz .LBB113_7
; %bb.13:                               ;   in Loop: Header=BB113_8 Depth=1
	global_load_dwordx4 v[4:7], v[10:11], off offset:-8
	s_waitcnt vmcnt(0)
	v_xor_b32_e32 v7, 0x80000000, v7
	s_branch .LBB113_7
.LBB113_14:
	s_load_dwordx2 s[2:3], s[0:1], 0x58
	s_load_dword s7, s[0:1], 0x50
	v_add_u32_e32 v4, s5, v29
	v_add_u32_e32 v10, s28, v28
	v_cmp_le_i32_e32 vcc, v4, v10
	s_waitcnt lgkmcnt(0)
	s_mul_i32 s1, s3, s4
	s_mul_hi_u32 s3, s2, s4
	s_mul_i32 s0, s2, s4
	s_add_i32 s1, s3, s1
	s_lshl_b64 s[0:1], s[0:1], 4
	s_add_u32 s4, s20, s0
	s_addc_u32 s5, s21, s1
	v_cmp_neq_f64_e64 s[0:1], s[8:9], 0
	s_xor_b64 s[16:17], s[18:19], -1
	v_mad_i64_i32 v[0:1], s[18:19], v10, s7, 0
	s_or_b64 s[0:1], s[0:1], s[16:17]
	v_cmp_gt_i32_e64 s[2:3], s6, v10
	v_lshl_add_u64 v[8:9], v[0:1], 4, s[4:5]
	v_cndmask_b32_e64 v0, 0, 1, s[0:1]
	s_and_b64 s[18:19], s[2:3], vcc
	v_ashrrev_i32_e32 v5, 31, v4
	v_cmp_ne_u32_e64 s[0:1], 1, v0
	s_and_saveexec_b64 s[16:17], s[18:19]
	s_cbranch_execz .LBB113_18
; %bb.15:
	v_mul_f64 v[0:1], s[14:15], v[26:27]
	v_mul_f64 v[2:3], s[12:13], v[26:27]
	v_fma_f64 v[0:1], s[12:13], v[24:25], -v[0:1]
	v_fmac_f64_e32 v[2:3], s[14:15], v[24:25]
	s_and_b64 vcc, exec, s[0:1]
	v_lshl_add_u64 v[6:7], v[4:5], 4, v[8:9]
	s_cbranch_vccnz .LBB113_17
; %bb.16:
	global_load_dwordx4 v[24:27], v[6:7], off
	s_waitcnt vmcnt(0)
	v_mul_f64 v[28:29], s[10:11], v[26:27]
	v_mul_f64 v[26:27], s[8:9], v[26:27]
	v_fma_f64 v[28:29], s[8:9], v[24:25], -v[28:29]
	v_fmac_f64_e32 v[26:27], s[10:11], v[24:25]
	v_add_f64 v[0:1], v[0:1], v[28:29]
	v_add_f64 v[2:3], v[2:3], v[26:27]
.LBB113_17:
	global_store_dwordx4 v[6:7], v[0:3], off
.LBB113_18:
	s_or_b64 exec, exec, s[16:17]
	v_add_u32_e32 v6, 16, v4
	v_cmp_le_i32_e32 vcc, v6, v10
	s_and_b64 s[16:17], s[2:3], vcc
	v_ashrrev_i32_e32 v7, 31, v6
	s_and_saveexec_b64 s[2:3], s[16:17]
	s_cbranch_execz .LBB113_22
; %bb.19:
	v_mul_f64 v[0:1], s[14:15], v[22:23]
	v_mul_f64 v[2:3], s[12:13], v[22:23]
	v_fma_f64 v[0:1], s[12:13], v[20:21], -v[0:1]
	v_fmac_f64_e32 v[2:3], s[14:15], v[20:21]
	s_and_b64 vcc, exec, s[0:1]
	v_lshl_add_u64 v[8:9], v[6:7], 4, v[8:9]
	s_cbranch_vccnz .LBB113_21
; %bb.20:
	global_load_dwordx4 v[20:23], v[8:9], off
	s_waitcnt vmcnt(0)
	v_mul_f64 v[24:25], s[10:11], v[22:23]
	v_mul_f64 v[22:23], s[8:9], v[22:23]
	v_fma_f64 v[24:25], s[8:9], v[20:21], -v[24:25]
	v_fmac_f64_e32 v[22:23], s[10:11], v[20:21]
	v_add_f64 v[0:1], v[0:1], v[24:25]
	v_add_f64 v[2:3], v[2:3], v[22:23]
.LBB113_21:
	global_store_dwordx4 v[8:9], v[0:3], off
.LBB113_22:
	s_or_b64 exec, exec, s[2:3]
	v_add_u32_e32 v10, 16, v10
	v_cmp_gt_i32_e64 s[2:3], s6, v10
	v_mad_i64_i32 v[0:1], s[6:7], v10, s7, 0
	v_cmp_le_i32_e32 vcc, v4, v10
	v_lshl_add_u64 v[8:9], v[0:1], 4, s[4:5]
	s_and_b64 s[6:7], s[2:3], vcc
	s_and_saveexec_b64 s[4:5], s[6:7]
	s_cbranch_execz .LBB113_26
; %bb.23:
	v_mul_f64 v[0:1], s[14:15], v[18:19]
	v_mul_f64 v[2:3], s[12:13], v[18:19]
	v_fma_f64 v[0:1], s[12:13], v[16:17], -v[0:1]
	v_fmac_f64_e32 v[2:3], s[14:15], v[16:17]
	s_and_b64 vcc, exec, s[0:1]
	v_lshl_add_u64 v[4:5], v[4:5], 4, v[8:9]
	s_cbranch_vccnz .LBB113_25
; %bb.24:
	global_load_dwordx4 v[16:19], v[4:5], off
	s_waitcnt vmcnt(0)
	v_mul_f64 v[20:21], s[10:11], v[18:19]
	v_mul_f64 v[18:19], s[8:9], v[18:19]
	v_fma_f64 v[20:21], s[8:9], v[16:17], -v[20:21]
	v_fmac_f64_e32 v[18:19], s[10:11], v[16:17]
	v_add_f64 v[0:1], v[0:1], v[20:21]
	v_add_f64 v[2:3], v[2:3], v[18:19]
.LBB113_25:
	global_store_dwordx4 v[4:5], v[0:3], off
.LBB113_26:
	s_or_b64 exec, exec, s[4:5]
	v_cmp_le_i32_e32 vcc, v6, v10
	s_and_b64 s[2:3], s[2:3], vcc
	s_and_saveexec_b64 s[4:5], s[2:3]
	s_cbranch_execz .LBB113_30
; %bb.27:
	v_mul_f64 v[0:1], s[14:15], v[12:13]
	v_mul_f64 v[2:3], s[12:13], v[12:13]
	v_fma_f64 v[0:1], s[12:13], v[14:15], -v[0:1]
	v_fmac_f64_e32 v[2:3], s[14:15], v[14:15]
	s_and_b64 vcc, exec, s[0:1]
	v_lshl_add_u64 v[4:5], v[6:7], 4, v[8:9]
	s_cbranch_vccnz .LBB113_29
; %bb.28:
	global_load_dwordx4 v[6:9], v[4:5], off
	s_waitcnt vmcnt(0)
	v_mul_f64 v[10:11], s[10:11], v[8:9]
	v_mul_f64 v[8:9], s[8:9], v[8:9]
	v_fma_f64 v[10:11], s[8:9], v[6:7], -v[10:11]
	v_fmac_f64_e32 v[8:9], s[10:11], v[6:7]
	v_add_f64 v[0:1], v[0:1], v[10:11]
	v_add_f64 v[2:3], v[2:3], v[8:9]
.LBB113_29:
	global_store_dwordx4 v[4:5], v[0:3], off
.LBB113_30:
	s_endpgm
	.section	.rodata,"a",@progbits
	.p2align	6, 0x0
	.amdhsa_kernel _ZL29rocblas_internal_gemmt_kernelIiLi16ELi32ELi8ELc84ELc67ELc85ELb0ELb1E19rocblas_complex_numIdEPKS1_S3_PS1_EviT_T9_T10_S5_lS7_S5_lS6_T11_S5_li
		.amdhsa_group_segment_fixed_size 8192
		.amdhsa_private_segment_fixed_size 0
		.amdhsa_kernarg_size 100
		.amdhsa_user_sgpr_count 2
		.amdhsa_user_sgpr_dispatch_ptr 0
		.amdhsa_user_sgpr_queue_ptr 0
		.amdhsa_user_sgpr_kernarg_segment_ptr 1
		.amdhsa_user_sgpr_dispatch_id 0
		.amdhsa_user_sgpr_kernarg_preload_length 0
		.amdhsa_user_sgpr_kernarg_preload_offset 0
		.amdhsa_user_sgpr_private_segment_size 0
		.amdhsa_uses_dynamic_stack 0
		.amdhsa_enable_private_segment 0
		.amdhsa_system_sgpr_workgroup_id_x 1
		.amdhsa_system_sgpr_workgroup_id_y 1
		.amdhsa_system_sgpr_workgroup_id_z 1
		.amdhsa_system_sgpr_workgroup_info 0
		.amdhsa_system_vgpr_workitem_id 1
		.amdhsa_next_free_vgpr 62
		.amdhsa_next_free_sgpr 36
		.amdhsa_accum_offset 64
		.amdhsa_reserve_vcc 1
		.amdhsa_float_round_mode_32 0
		.amdhsa_float_round_mode_16_64 0
		.amdhsa_float_denorm_mode_32 3
		.amdhsa_float_denorm_mode_16_64 3
		.amdhsa_dx10_clamp 1
		.amdhsa_ieee_mode 1
		.amdhsa_fp16_overflow 0
		.amdhsa_tg_split 0
		.amdhsa_exception_fp_ieee_invalid_op 0
		.amdhsa_exception_fp_denorm_src 0
		.amdhsa_exception_fp_ieee_div_zero 0
		.amdhsa_exception_fp_ieee_overflow 0
		.amdhsa_exception_fp_ieee_underflow 0
		.amdhsa_exception_fp_ieee_inexact 0
		.amdhsa_exception_int_div_zero 0
	.end_amdhsa_kernel
	.section	.text._ZL29rocblas_internal_gemmt_kernelIiLi16ELi32ELi8ELc84ELc67ELc85ELb0ELb1E19rocblas_complex_numIdEPKS1_S3_PS1_EviT_T9_T10_S5_lS7_S5_lS6_T11_S5_li,"axG",@progbits,_ZL29rocblas_internal_gemmt_kernelIiLi16ELi32ELi8ELc84ELc67ELc85ELb0ELb1E19rocblas_complex_numIdEPKS1_S3_PS1_EviT_T9_T10_S5_lS7_S5_lS6_T11_S5_li,comdat
.Lfunc_end113:
	.size	_ZL29rocblas_internal_gemmt_kernelIiLi16ELi32ELi8ELc84ELc67ELc85ELb0ELb1E19rocblas_complex_numIdEPKS1_S3_PS1_EviT_T9_T10_S5_lS7_S5_lS6_T11_S5_li, .Lfunc_end113-_ZL29rocblas_internal_gemmt_kernelIiLi16ELi32ELi8ELc84ELc67ELc85ELb0ELb1E19rocblas_complex_numIdEPKS1_S3_PS1_EviT_T9_T10_S5_lS7_S5_lS6_T11_S5_li
                                        ; -- End function
	.set _ZL29rocblas_internal_gemmt_kernelIiLi16ELi32ELi8ELc84ELc67ELc85ELb0ELb1E19rocblas_complex_numIdEPKS1_S3_PS1_EviT_T9_T10_S5_lS7_S5_lS6_T11_S5_li.num_vgpr, 62
	.set _ZL29rocblas_internal_gemmt_kernelIiLi16ELi32ELi8ELc84ELc67ELc85ELb0ELb1E19rocblas_complex_numIdEPKS1_S3_PS1_EviT_T9_T10_S5_lS7_S5_lS6_T11_S5_li.num_agpr, 0
	.set _ZL29rocblas_internal_gemmt_kernelIiLi16ELi32ELi8ELc84ELc67ELc85ELb0ELb1E19rocblas_complex_numIdEPKS1_S3_PS1_EviT_T9_T10_S5_lS7_S5_lS6_T11_S5_li.numbered_sgpr, 36
	.set _ZL29rocblas_internal_gemmt_kernelIiLi16ELi32ELi8ELc84ELc67ELc85ELb0ELb1E19rocblas_complex_numIdEPKS1_S3_PS1_EviT_T9_T10_S5_lS7_S5_lS6_T11_S5_li.num_named_barrier, 0
	.set _ZL29rocblas_internal_gemmt_kernelIiLi16ELi32ELi8ELc84ELc67ELc85ELb0ELb1E19rocblas_complex_numIdEPKS1_S3_PS1_EviT_T9_T10_S5_lS7_S5_lS6_T11_S5_li.private_seg_size, 0
	.set _ZL29rocblas_internal_gemmt_kernelIiLi16ELi32ELi8ELc84ELc67ELc85ELb0ELb1E19rocblas_complex_numIdEPKS1_S3_PS1_EviT_T9_T10_S5_lS7_S5_lS6_T11_S5_li.uses_vcc, 1
	.set _ZL29rocblas_internal_gemmt_kernelIiLi16ELi32ELi8ELc84ELc67ELc85ELb0ELb1E19rocblas_complex_numIdEPKS1_S3_PS1_EviT_T9_T10_S5_lS7_S5_lS6_T11_S5_li.uses_flat_scratch, 0
	.set _ZL29rocblas_internal_gemmt_kernelIiLi16ELi32ELi8ELc84ELc67ELc85ELb0ELb1E19rocblas_complex_numIdEPKS1_S3_PS1_EviT_T9_T10_S5_lS7_S5_lS6_T11_S5_li.has_dyn_sized_stack, 0
	.set _ZL29rocblas_internal_gemmt_kernelIiLi16ELi32ELi8ELc84ELc67ELc85ELb0ELb1E19rocblas_complex_numIdEPKS1_S3_PS1_EviT_T9_T10_S5_lS7_S5_lS6_T11_S5_li.has_recursion, 0
	.set _ZL29rocblas_internal_gemmt_kernelIiLi16ELi32ELi8ELc84ELc67ELc85ELb0ELb1E19rocblas_complex_numIdEPKS1_S3_PS1_EviT_T9_T10_S5_lS7_S5_lS6_T11_S5_li.has_indirect_call, 0
	.section	.AMDGPU.csdata,"",@progbits
; Kernel info:
; codeLenInByte = 3136
; TotalNumSgprs: 42
; NumVgprs: 62
; NumAgprs: 0
; TotalNumVgprs: 62
; ScratchSize: 0
; MemoryBound: 1
; FloatMode: 240
; IeeeMode: 1
; LDSByteSize: 8192 bytes/workgroup (compile time only)
; SGPRBlocks: 5
; VGPRBlocks: 7
; NumSGPRsForWavesPerEU: 42
; NumVGPRsForWavesPerEU: 62
; AccumOffset: 64
; Occupancy: 8
; WaveLimiterHint : 0
; COMPUTE_PGM_RSRC2:SCRATCH_EN: 0
; COMPUTE_PGM_RSRC2:USER_SGPR: 2
; COMPUTE_PGM_RSRC2:TRAP_HANDLER: 0
; COMPUTE_PGM_RSRC2:TGID_X_EN: 1
; COMPUTE_PGM_RSRC2:TGID_Y_EN: 1
; COMPUTE_PGM_RSRC2:TGID_Z_EN: 1
; COMPUTE_PGM_RSRC2:TIDIG_COMP_CNT: 1
; COMPUTE_PGM_RSRC3_GFX90A:ACCUM_OFFSET: 15
; COMPUTE_PGM_RSRC3_GFX90A:TG_SPLIT: 0
	.section	.text._ZL29rocblas_internal_gemmt_kernelIiLi16ELi32ELi8ELc67ELc78ELc85ELb1ELb0E19rocblas_complex_numIdEPKS1_S3_PS1_EviT_T9_T10_S5_lS7_S5_lS6_T11_S5_li,"axG",@progbits,_ZL29rocblas_internal_gemmt_kernelIiLi16ELi32ELi8ELc67ELc78ELc85ELb1ELb0E19rocblas_complex_numIdEPKS1_S3_PS1_EviT_T9_T10_S5_lS7_S5_lS6_T11_S5_li,comdat
	.globl	_ZL29rocblas_internal_gemmt_kernelIiLi16ELi32ELi8ELc67ELc78ELc85ELb1ELb0E19rocblas_complex_numIdEPKS1_S3_PS1_EviT_T9_T10_S5_lS7_S5_lS6_T11_S5_li ; -- Begin function _ZL29rocblas_internal_gemmt_kernelIiLi16ELi32ELi8ELc67ELc78ELc85ELb1ELb0E19rocblas_complex_numIdEPKS1_S3_PS1_EviT_T9_T10_S5_lS7_S5_lS6_T11_S5_li
	.p2align	8
	.type	_ZL29rocblas_internal_gemmt_kernelIiLi16ELi32ELi8ELc67ELc78ELc85ELb1ELb0E19rocblas_complex_numIdEPKS1_S3_PS1_EviT_T9_T10_S5_lS7_S5_lS6_T11_S5_li,@function
_ZL29rocblas_internal_gemmt_kernelIiLi16ELi32ELi8ELc67ELc78ELc85ELb1ELb0E19rocblas_complex_numIdEPKS1_S3_PS1_EviT_T9_T10_S5_lS7_S5_lS6_T11_S5_li: ; @_ZL29rocblas_internal_gemmt_kernelIiLi16ELi32ELi8ELc67ELc78ELc85ELb1ELb0E19rocblas_complex_numIdEPKS1_S3_PS1_EviT_T9_T10_S5_lS7_S5_lS6_T11_S5_li
; %bb.0:
	s_load_dwordx4 s[16:19], s[0:1], 0x38
	s_load_dwordx4 s[20:23], s[0:1], 0x8
	s_mov_b64 s[24:25], 0
	s_waitcnt lgkmcnt(0)
	s_load_dwordx4 s[8:11], s[18:19], 0x0
	s_load_dwordx2 s[6:7], s[0:1], 0x0
	s_load_dwordx4 s[12:15], s[20:21], 0x0
	s_waitcnt lgkmcnt(0)
	v_cmp_eq_f64_e64 s[20:21], s[8:9], 1.0
	v_cmp_eq_f64_e64 s[18:19], s[10:11], 0
	s_and_b64 s[20:21], s[20:21], s[18:19]
	s_andn2_b64 vcc, exec, s[20:21]
	s_mov_b64 s[20:21], -1
	s_cbranch_vccnz .LBB114_4
; %bb.1:
	s_cmp_lg_u32 s7, 0
	s_cbranch_scc0 .LBB114_3
; %bb.2:
	v_cmp_neq_f64_e64 s[20:21], s[12:13], 0
	v_cmp_neq_f64_e64 s[24:25], s[14:15], 0
	s_or_b64 s[24:25], s[20:21], s[24:25]
.LBB114_3:
	s_mov_b64 s[20:21], s[24:25]
.LBB114_4:
	s_and_b64 vcc, exec, s[20:21]
	s_cbranch_vccz .LBB114_30
; %bb.5:
	s_lshl_b32 s5, s2, 5
	s_lshl_b32 s28, s3, 5
	v_cmp_eq_f64_e64 s[2:3], s[12:13], 0
	v_cmp_eq_f64_e64 s[24:25], s[14:15], 0
	s_load_dwordx2 s[20:21], s[0:1], 0x48
	s_and_b64 s[2:3], s[2:3], s[24:25]
	s_cmp_lt_i32 s7, 1
	s_cselect_b64 s[24:25], -1, 0
	s_or_b64 s[2:3], s[2:3], s[24:25]
	v_and_b32_e32 v29, 0x3ff, v0
	v_bfe_u32 v28, v0, 10, 10
	s_mov_b32 s29, 0
	v_mov_b64_e32 v[24:25], 0
	s_and_b64 vcc, exec, s[2:3]
	v_mov_b64_e32 v[26:27], 0
	v_mov_b64_e32 v[20:21], 0
	;; [unrolled: 1-line block ×7, first 2 shown]
	s_cbranch_vccnz .LBB114_14
; %bb.6:
	v_lshl_add_u32 v0, v28, 4, v29
	v_lshrrev_b32_e32 v31, 5, v0
	v_lshrrev_b32_e32 v1, 3, v0
	v_and_b32_e32 v0, 31, v0
	v_or_b32_e32 v2, s5, v0
	v_and_b32_e32 v30, 7, v29
	v_cmp_gt_i32_e32 vcc, s6, v2
	v_lshlrev_b32_e32 v2, 4, v0
	s_load_dword s30, s[0:1], 0x18
	s_load_dwordx4 s[24:27], s[0:1], 0x20
	s_load_dword s33, s[0:1], 0x30
	v_lshl_or_b32 v32, v31, 9, v2
	v_lshlrev_b32_e32 v2, 4, v30
	v_add_u32_e32 v3, s28, v1
	v_lshl_or_b32 v1, v1, 7, v2
	v_add_u32_e32 v33, 0x1000, v1
	v_mov_b32_e32 v1, 0x1000
	v_add_u32_e32 v0, s5, v0
	v_lshl_add_u32 v35, v28, 7, v1
	s_waitcnt lgkmcnt(0)
	v_mad_i64_i32 v[0:1], s[30:31], s30, v0, 0
	s_mul_i32 s25, s25, s4
	s_mul_hi_u32 s30, s24, s4
	s_add_i32 s25, s30, s25
	s_mul_i32 s24, s24, s4
	s_lshl_b64 s[24:25], s[24:25], 4
	v_lshl_add_u64 v[4:5], v[0:1], 4, s[24:25]
	v_lshlrev_b32_e32 v0, 4, v31
	v_mov_b32_e32 v1, 0
	v_lshl_add_u64 v[4:5], v[4:5], 0, v[0:1]
	v_lshl_add_u64 v[4:5], s[22:23], 0, v[4:5]
	;; [unrolled: 1-line block ×3, first 2 shown]
	v_mad_i64_i32 v[4:5], s[22:23], s33, v3, 0
	s_mul_i32 s17, s17, s4
	s_mul_hi_u32 s22, s16, s4
	s_add_i32 s17, s22, s17
	s_mul_i32 s16, s16, s4
	s_lshl_b64 s[16:17], s[16:17], 4
	v_cmp_gt_i32_e64 s[2:3], s6, v3
	v_lshl_add_u64 v[4:5], v[4:5], 4, s[16:17]
	v_mov_b32_e32 v3, v1
	v_lshl_add_u64 v[2:3], v[4:5], 0, v[2:3]
	v_lshlrev_b32_e32 v34, 4, v29
	v_lshl_add_u64 v[10:11], s[26:27], 0, v[2:3]
	v_mov_b64_e32 v[12:13], 0
	s_xor_b64 s[16:17], s[2:3], -1
	s_mov_b64 s[22:23], 0x80
	v_mov_b32_e32 v0, v1
	v_mov_b32_e32 v2, v1
	;; [unrolled: 1-line block ×3, first 2 shown]
	v_mov_b64_e32 v[14:15], 0
	v_mov_b64_e32 v[18:19], 0
	;; [unrolled: 1-line block ×7, first 2 shown]
	s_branch .LBB114_8
.LBB114_7:                              ;   in Loop: Header=BB114_8 Depth=1
	s_or_b64 exec, exec, s[2:3]
	s_waitcnt lgkmcnt(0)
	s_barrier
	ds_read_b128 v[4:7], v34
	ds_read_b128 v[36:39], v35
	ds_read_b128 v[40:43], v35 offset:16
	ds_read_b128 v[44:47], v35 offset:32
	;; [unrolled: 1-line block ×4, first 2 shown]
	s_waitcnt lgkmcnt(4)
	v_mul_f64 v[56:57], v[38:39], v[6:7]
	v_fma_f64 v[56:57], v[36:37], v[4:5], -v[56:57]
	v_mul_f64 v[58:59], v[36:37], v[6:7]
	v_fmac_f64_e32 v[58:59], v[38:39], v[4:5]
	v_add_f64 v[56:57], v[24:25], v[56:57]
	s_waitcnt lgkmcnt(0)
	v_mul_f64 v[24:25], v[38:39], v[54:55]
	v_add_f64 v[58:59], v[58:59], v[26:27]
	v_fma_f64 v[60:61], v[36:37], v[52:53], -v[24:25]
	ds_read_b128 v[24:27], v35 offset:2048
	v_mul_f64 v[36:37], v[36:37], v[54:55]
	v_fmac_f64_e32 v[36:37], v[38:39], v[52:53]
	v_add_f64 v[38:39], v[20:21], v[60:61]
	v_add_f64 v[36:37], v[36:37], v[22:23]
	ds_read_b128 v[20:23], v35 offset:2064
	s_waitcnt lgkmcnt(1)
	v_mul_f64 v[60:61], v[26:27], v[6:7]
	v_mul_f64 v[6:7], v[24:25], v[6:7]
	v_fma_f64 v[60:61], v[24:25], v[4:5], -v[60:61]
	v_fmac_f64_e32 v[6:7], v[26:27], v[4:5]
	v_mul_f64 v[4:5], v[26:27], v[54:55]
	v_add_f64 v[16:17], v[16:17], v[60:61]
	v_add_f64 v[18:19], v[6:7], v[18:19]
	v_fma_f64 v[60:61], v[24:25], v[52:53], -v[4:5]
	v_mul_f64 v[24:25], v[24:25], v[54:55]
	ds_read_b128 v[4:7], v34 offset:512
	v_fmac_f64_e32 v[24:25], v[26:27], v[52:53]
	v_add_f64 v[26:27], v[14:15], v[60:61]
	v_add_f64 v[24:25], v[24:25], v[12:13]
	ds_read_b128 v[12:15], v34 offset:768
	s_waitcnt lgkmcnt(1)
	v_mul_f64 v[52:53], v[42:43], v[6:7]
	v_fma_f64 v[52:53], v[40:41], v[4:5], -v[52:53]
	v_add_f64 v[52:53], v[56:57], v[52:53]
	v_mul_f64 v[54:55], v[40:41], v[6:7]
	s_waitcnt lgkmcnt(0)
	v_mul_f64 v[56:57], v[42:43], v[14:15]
	v_fma_f64 v[56:57], v[40:41], v[12:13], -v[56:57]
	v_mul_f64 v[40:41], v[40:41], v[14:15]
	v_fmac_f64_e32 v[40:41], v[42:43], v[12:13]
	v_add_f64 v[36:37], v[40:41], v[36:37]
	v_mul_f64 v[40:41], v[22:23], v[6:7]
	v_mul_f64 v[6:7], v[20:21], v[6:7]
	v_fmac_f64_e32 v[54:55], v[42:43], v[4:5]
	v_fma_f64 v[40:41], v[20:21], v[4:5], -v[40:41]
	v_fmac_f64_e32 v[6:7], v[22:23], v[4:5]
	v_mul_f64 v[4:5], v[22:23], v[14:15]
	v_add_f64 v[40:41], v[16:17], v[40:41]
	v_add_f64 v[42:43], v[6:7], v[18:19]
	v_fma_f64 v[16:17], v[20:21], v[12:13], -v[4:5]
	v_mul_f64 v[14:15], v[20:21], v[14:15]
	ds_read_b128 v[4:7], v34 offset:1024
	v_fmac_f64_e32 v[14:15], v[22:23], v[12:13]
	v_add_f64 v[24:25], v[14:15], v[24:25]
	ds_read_b128 v[12:15], v34 offset:1280
	v_add_f64 v[26:27], v[26:27], v[16:17]
	s_waitcnt lgkmcnt(1)
	v_mul_f64 v[16:17], v[46:47], v[6:7]
	v_fma_f64 v[16:17], v[44:45], v[4:5], -v[16:17]
	v_mul_f64 v[18:19], v[44:45], v[6:7]
	v_add_f64 v[54:55], v[54:55], v[58:59]
	v_fmac_f64_e32 v[18:19], v[46:47], v[4:5]
	v_add_f64 v[52:53], v[52:53], v[16:17]
	s_waitcnt lgkmcnt(0)
	v_mul_f64 v[16:17], v[46:47], v[14:15]
	v_add_f64 v[54:55], v[18:19], v[54:55]
	v_fma_f64 v[20:21], v[44:45], v[12:13], -v[16:17]
	ds_read_b128 v[16:19], v35 offset:2080
	v_mul_f64 v[22:23], v[44:45], v[14:15]
	v_add_f64 v[38:39], v[38:39], v[56:57]
	v_fmac_f64_e32 v[22:23], v[46:47], v[12:13]
	v_add_f64 v[38:39], v[38:39], v[20:21]
	v_add_f64 v[36:37], v[22:23], v[36:37]
	ds_read_b128 v[20:23], v35 offset:2096
	s_waitcnt lgkmcnt(1)
	v_mul_f64 v[44:45], v[18:19], v[6:7]
	v_mul_f64 v[6:7], v[16:17], v[6:7]
	v_fma_f64 v[44:45], v[16:17], v[4:5], -v[44:45]
	v_fmac_f64_e32 v[6:7], v[18:19], v[4:5]
	v_mul_f64 v[4:5], v[18:19], v[14:15]
	v_mul_f64 v[14:15], v[16:17], v[14:15]
	v_fmac_f64_e32 v[14:15], v[18:19], v[12:13]
	v_add_f64 v[40:41], v[40:41], v[44:45]
	v_add_f64 v[42:43], v[6:7], v[42:43]
	v_fma_f64 v[44:45], v[16:17], v[12:13], -v[4:5]
	ds_read_b128 v[4:7], v34 offset:1536
	v_add_f64 v[18:19], v[14:15], v[24:25]
	ds_read_b128 v[12:15], v34 offset:1792
	v_add_f64 v[16:17], v[26:27], v[44:45]
	s_add_i32 s29, s29, 8
	s_waitcnt lgkmcnt(1)
	v_mul_f64 v[24:25], v[50:51], v[6:7]
	v_mul_f64 v[26:27], v[48:49], v[6:7]
	s_waitcnt lgkmcnt(0)
	v_mul_f64 v[44:45], v[50:51], v[14:15]
	v_fma_f64 v[44:45], v[48:49], v[12:13], -v[44:45]
	v_add_f64 v[38:39], v[38:39], v[44:45]
	v_mul_f64 v[44:45], v[22:23], v[6:7]
	v_mul_f64 v[6:7], v[20:21], v[6:7]
	v_fma_f64 v[24:25], v[48:49], v[4:5], -v[24:25]
	v_fmac_f64_e32 v[26:27], v[50:51], v[4:5]
	v_fma_f64 v[44:45], v[20:21], v[4:5], -v[44:45]
	v_fmac_f64_e32 v[6:7], v[22:23], v[4:5]
	v_mul_f64 v[4:5], v[22:23], v[14:15]
	v_mul_f64 v[46:47], v[48:49], v[14:15]
	v_add_f64 v[40:41], v[40:41], v[44:45]
	v_fma_f64 v[44:45], v[20:21], v[12:13], -v[4:5]
	v_mul_f64 v[20:21], v[20:21], v[14:15]
	v_fmac_f64_e32 v[46:47], v[50:51], v[12:13]
	v_add_f64 v[42:43], v[6:7], v[42:43]
	v_fmac_f64_e32 v[20:21], v[22:23], v[12:13]
	ds_read_b128 v[4:7], v35 offset:64
	ds_read_b128 v[12:15], v34 offset:2048
	v_add_f64 v[36:37], v[46:47], v[36:37]
	v_add_f64 v[44:45], v[16:17], v[44:45]
	;; [unrolled: 1-line block ×3, first 2 shown]
	ds_read_b128 v[16:19], v34 offset:2304
	ds_read_b128 v[20:23], v35 offset:80
	s_waitcnt lgkmcnt(2)
	v_mul_f64 v[48:49], v[6:7], v[14:15]
	v_add_f64 v[24:25], v[52:53], v[24:25]
	v_fma_f64 v[48:49], v[4:5], v[12:13], -v[48:49]
	v_mul_f64 v[50:51], v[4:5], v[14:15]
	v_add_f64 v[26:27], v[26:27], v[54:55]
	v_fmac_f64_e32 v[50:51], v[6:7], v[12:13]
	v_add_f64 v[48:49], v[24:25], v[48:49]
	s_waitcnt lgkmcnt(1)
	v_mul_f64 v[24:25], v[6:7], v[18:19]
	v_add_f64 v[50:51], v[50:51], v[26:27]
	v_fma_f64 v[52:53], v[4:5], v[16:17], -v[24:25]
	ds_read_b128 v[24:27], v35 offset:2112
	v_mul_f64 v[4:5], v[4:5], v[18:19]
	v_fmac_f64_e32 v[4:5], v[6:7], v[16:17]
	v_add_f64 v[38:39], v[38:39], v[52:53]
	v_add_f64 v[36:37], v[4:5], v[36:37]
	ds_read_b128 v[4:7], v35 offset:2128
	s_waitcnt lgkmcnt(1)
	v_mul_f64 v[52:53], v[26:27], v[14:15]
	v_mul_f64 v[14:15], v[24:25], v[14:15]
	v_fma_f64 v[52:53], v[24:25], v[12:13], -v[52:53]
	v_fmac_f64_e32 v[14:15], v[26:27], v[12:13]
	v_mul_f64 v[12:13], v[26:27], v[18:19]
	v_add_f64 v[40:41], v[40:41], v[52:53]
	v_add_f64 v[42:43], v[14:15], v[42:43]
	v_fma_f64 v[52:53], v[24:25], v[16:17], -v[12:13]
	v_mul_f64 v[18:19], v[24:25], v[18:19]
	ds_read_b128 v[12:15], v34 offset:2560
	v_fmac_f64_e32 v[18:19], v[26:27], v[16:17]
	v_add_f64 v[26:27], v[18:19], v[46:47]
	ds_read_b128 v[16:19], v34 offset:2816
	v_add_f64 v[24:25], v[44:45], v[52:53]
	s_waitcnt lgkmcnt(1)
	v_mul_f64 v[44:45], v[22:23], v[14:15]
	v_fma_f64 v[44:45], v[20:21], v[12:13], -v[44:45]
	v_add_f64 v[44:45], v[48:49], v[44:45]
	s_waitcnt lgkmcnt(0)
	v_mul_f64 v[48:49], v[22:23], v[18:19]
	v_mul_f64 v[46:47], v[20:21], v[14:15]
	v_fma_f64 v[48:49], v[20:21], v[16:17], -v[48:49]
	v_mul_f64 v[20:21], v[20:21], v[18:19]
	v_fmac_f64_e32 v[20:21], v[22:23], v[16:17]
	v_add_f64 v[36:37], v[20:21], v[36:37]
	v_mul_f64 v[20:21], v[6:7], v[14:15]
	v_mul_f64 v[14:15], v[4:5], v[14:15]
	v_fmac_f64_e32 v[46:47], v[22:23], v[12:13]
	v_fma_f64 v[20:21], v[4:5], v[12:13], -v[20:21]
	v_fmac_f64_e32 v[14:15], v[6:7], v[12:13]
	v_mul_f64 v[12:13], v[6:7], v[18:19]
	v_mul_f64 v[18:19], v[4:5], v[18:19]
	v_add_f64 v[40:41], v[40:41], v[20:21]
	v_add_f64 v[42:43], v[14:15], v[42:43]
	v_fma_f64 v[20:21], v[4:5], v[16:17], -v[12:13]
	v_fmac_f64_e32 v[18:19], v[6:7], v[16:17]
	ds_read_b128 v[4:7], v35 offset:96
	ds_read_b128 v[12:15], v34 offset:3072
	v_add_f64 v[46:47], v[46:47], v[50:51]
	v_add_f64 v[38:39], v[38:39], v[48:49]
	;; [unrolled: 1-line block ×4, first 2 shown]
	ds_read_b128 v[16:19], v34 offset:3328
	ds_read_b128 v[20:23], v35 offset:112
	s_waitcnt lgkmcnt(2)
	v_mul_f64 v[24:25], v[6:7], v[14:15]
	v_fma_f64 v[24:25], v[4:5], v[12:13], -v[24:25]
	v_mul_f64 v[26:27], v[4:5], v[14:15]
	v_fmac_f64_e32 v[26:27], v[6:7], v[12:13]
	v_add_f64 v[44:45], v[44:45], v[24:25]
	s_waitcnt lgkmcnt(1)
	v_mul_f64 v[24:25], v[6:7], v[18:19]
	v_add_f64 v[46:47], v[26:27], v[46:47]
	v_fma_f64 v[52:53], v[4:5], v[16:17], -v[24:25]
	ds_read_b128 v[24:27], v35 offset:2144
	v_mul_f64 v[4:5], v[4:5], v[18:19]
	v_fmac_f64_e32 v[4:5], v[6:7], v[16:17]
	v_add_f64 v[54:55], v[4:5], v[36:37]
	ds_read_b128 v[4:7], v35 offset:2160
	s_waitcnt lgkmcnt(1)
	v_mul_f64 v[36:37], v[26:27], v[14:15]
	v_mul_f64 v[14:15], v[24:25], v[14:15]
	v_fma_f64 v[36:37], v[24:25], v[12:13], -v[36:37]
	v_fmac_f64_e32 v[14:15], v[26:27], v[12:13]
	v_mul_f64 v[12:13], v[26:27], v[18:19]
	v_add_f64 v[40:41], v[40:41], v[36:37]
	v_add_f64 v[42:43], v[14:15], v[42:43]
	v_fma_f64 v[36:37], v[24:25], v[16:17], -v[12:13]
	ds_read_b128 v[12:15], v34 offset:3584
	v_add_f64 v[52:53], v[38:39], v[52:53]
	v_add_f64 v[48:49], v[48:49], v[36:37]
	ds_read_b128 v[36:39], v34 offset:3840
	v_mul_f64 v[18:19], v[24:25], v[18:19]
	v_fmac_f64_e32 v[18:19], v[26:27], v[16:17]
	s_waitcnt lgkmcnt(1)
	v_mul_f64 v[16:17], v[22:23], v[14:15]
	v_fma_f64 v[16:17], v[20:21], v[12:13], -v[16:17]
	v_add_f64 v[50:51], v[18:19], v[50:51]
	v_mul_f64 v[18:19], v[20:21], v[14:15]
	v_add_f64 v[24:25], v[44:45], v[16:17]
	s_waitcnt lgkmcnt(0)
	v_mul_f64 v[16:17], v[22:23], v[38:39]
	v_fmac_f64_e32 v[18:19], v[22:23], v[12:13]
	v_fma_f64 v[16:17], v[20:21], v[36:37], -v[16:17]
	v_add_f64 v[26:27], v[18:19], v[46:47]
	v_mul_f64 v[18:19], v[20:21], v[38:39]
	v_add_f64 v[20:21], v[52:53], v[16:17]
	v_mul_f64 v[16:17], v[6:7], v[14:15]
	v_mul_f64 v[14:15], v[4:5], v[14:15]
	v_fma_f64 v[16:17], v[4:5], v[12:13], -v[16:17]
	v_fmac_f64_e32 v[14:15], v[6:7], v[12:13]
	v_mul_f64 v[12:13], v[6:7], v[38:39]
	v_fma_f64 v[12:13], v[4:5], v[36:37], -v[12:13]
	v_mul_f64 v[4:5], v[4:5], v[38:39]
	v_fmac_f64_e32 v[18:19], v[22:23], v[36:37]
	v_fmac_f64_e32 v[4:5], v[6:7], v[36:37]
	v_add_f64 v[22:23], v[18:19], v[54:55]
	v_add_f64 v[16:17], v[40:41], v[16:17]
	;; [unrolled: 1-line block ×5, first 2 shown]
	v_lshl_add_u64 v[8:9], v[8:9], 0, s[22:23]
	s_cmp_lt_i32 s29, s7
	v_lshl_add_u64 v[10:11], v[10:11], 0, s[22:23]
	s_barrier
	s_cbranch_scc0 .LBB114_14
.LBB114_8:                              ; =>This Inner Loop Header: Depth=1
	v_add_u32_e32 v4, s29, v31
	v_cmp_gt_i32_e64 s[2:3], s7, v4
	s_and_b64 s[24:25], vcc, s[2:3]
	v_mov_b64_e32 v[4:5], 0
	v_mov_b64_e32 v[6:7], 0
	s_and_saveexec_b64 s[2:3], s[24:25]
	s_cbranch_execz .LBB114_10
; %bb.9:                                ;   in Loop: Header=BB114_8 Depth=1
	global_load_dwordx4 v[4:7], v[8:9], off offset:-8
	s_waitcnt vmcnt(0)
	v_xor_b32_e32 v7, 0x80000000, v7
.LBB114_10:                             ;   in Loop: Header=BB114_8 Depth=1
	s_or_b64 exec, exec, s[2:3]
	ds_write_b128 v32, v[4:7]
	v_add_u32_e32 v4, s29, v30
	v_cmp_le_i32_e64 s[2:3], s7, v4
	s_or_b64 s[2:3], s[2:3], s[16:17]
	s_and_saveexec_b64 s[24:25], s[2:3]
	s_xor_b64 s[2:3], exec, s[24:25]
; %bb.11:                               ;   in Loop: Header=BB114_8 Depth=1
	ds_write_b128 v33, v[0:3]
; %bb.12:                               ;   in Loop: Header=BB114_8 Depth=1
	s_andn2_saveexec_b64 s[2:3], s[2:3]
	s_cbranch_execz .LBB114_7
; %bb.13:                               ;   in Loop: Header=BB114_8 Depth=1
	global_load_dwordx4 v[4:7], v[10:11], off
	s_waitcnt vmcnt(0)
	ds_write2_b64 v33, v[4:5], v[6:7] offset1:1
	s_branch .LBB114_7
.LBB114_14:
	s_load_dwordx2 s[2:3], s[0:1], 0x58
	s_load_dword s7, s[0:1], 0x50
	v_add_u32_e32 v4, s5, v29
	v_add_u32_e32 v10, s28, v28
	v_cmp_le_i32_e32 vcc, v4, v10
	s_waitcnt lgkmcnt(0)
	s_mul_i32 s1, s3, s4
	s_mul_hi_u32 s3, s2, s4
	s_mul_i32 s0, s2, s4
	s_add_i32 s1, s3, s1
	s_lshl_b64 s[0:1], s[0:1], 4
	s_add_u32 s4, s20, s0
	s_addc_u32 s5, s21, s1
	v_cmp_neq_f64_e64 s[0:1], s[8:9], 0
	s_xor_b64 s[16:17], s[18:19], -1
	v_mad_i64_i32 v[0:1], s[18:19], v10, s7, 0
	s_or_b64 s[0:1], s[0:1], s[16:17]
	v_cmp_gt_i32_e64 s[2:3], s6, v10
	v_lshl_add_u64 v[8:9], v[0:1], 4, s[4:5]
	v_cndmask_b32_e64 v0, 0, 1, s[0:1]
	s_and_b64 s[18:19], s[2:3], vcc
	v_ashrrev_i32_e32 v5, 31, v4
	v_cmp_ne_u32_e64 s[0:1], 1, v0
	s_and_saveexec_b64 s[16:17], s[18:19]
	s_cbranch_execz .LBB114_18
; %bb.15:
	v_mul_f64 v[0:1], s[14:15], v[26:27]
	v_mul_f64 v[2:3], s[12:13], v[26:27]
	v_fma_f64 v[0:1], s[12:13], v[24:25], -v[0:1]
	v_fmac_f64_e32 v[2:3], s[14:15], v[24:25]
	s_and_b64 vcc, exec, s[0:1]
	v_lshl_add_u64 v[6:7], v[4:5], 4, v[8:9]
	s_cbranch_vccnz .LBB114_17
; %bb.16:
	global_load_dwordx4 v[24:27], v[6:7], off
	s_waitcnt vmcnt(0)
	v_mul_f64 v[28:29], s[10:11], v[26:27]
	v_mul_f64 v[26:27], s[8:9], v[26:27]
	v_fma_f64 v[28:29], s[8:9], v[24:25], -v[28:29]
	v_fmac_f64_e32 v[26:27], s[10:11], v[24:25]
	v_add_f64 v[0:1], v[0:1], v[28:29]
	v_add_f64 v[2:3], v[2:3], v[26:27]
.LBB114_17:
	global_store_dwordx4 v[6:7], v[0:3], off
.LBB114_18:
	s_or_b64 exec, exec, s[16:17]
	v_add_u32_e32 v6, 16, v4
	v_cmp_le_i32_e32 vcc, v6, v10
	s_and_b64 s[16:17], s[2:3], vcc
	v_ashrrev_i32_e32 v7, 31, v6
	s_and_saveexec_b64 s[2:3], s[16:17]
	s_cbranch_execz .LBB114_22
; %bb.19:
	v_mul_f64 v[0:1], s[14:15], v[22:23]
	v_mul_f64 v[2:3], s[12:13], v[22:23]
	v_fma_f64 v[0:1], s[12:13], v[20:21], -v[0:1]
	v_fmac_f64_e32 v[2:3], s[14:15], v[20:21]
	s_and_b64 vcc, exec, s[0:1]
	v_lshl_add_u64 v[8:9], v[6:7], 4, v[8:9]
	s_cbranch_vccnz .LBB114_21
; %bb.20:
	global_load_dwordx4 v[20:23], v[8:9], off
	s_waitcnt vmcnt(0)
	v_mul_f64 v[24:25], s[10:11], v[22:23]
	v_mul_f64 v[22:23], s[8:9], v[22:23]
	v_fma_f64 v[24:25], s[8:9], v[20:21], -v[24:25]
	v_fmac_f64_e32 v[22:23], s[10:11], v[20:21]
	v_add_f64 v[0:1], v[0:1], v[24:25]
	v_add_f64 v[2:3], v[2:3], v[22:23]
.LBB114_21:
	global_store_dwordx4 v[8:9], v[0:3], off
.LBB114_22:
	s_or_b64 exec, exec, s[2:3]
	v_add_u32_e32 v10, 16, v10
	v_cmp_gt_i32_e64 s[2:3], s6, v10
	v_mad_i64_i32 v[0:1], s[6:7], v10, s7, 0
	v_cmp_le_i32_e32 vcc, v4, v10
	v_lshl_add_u64 v[8:9], v[0:1], 4, s[4:5]
	s_and_b64 s[6:7], s[2:3], vcc
	s_and_saveexec_b64 s[4:5], s[6:7]
	s_cbranch_execz .LBB114_26
; %bb.23:
	v_mul_f64 v[0:1], s[14:15], v[18:19]
	v_mul_f64 v[2:3], s[12:13], v[18:19]
	v_fma_f64 v[0:1], s[12:13], v[16:17], -v[0:1]
	v_fmac_f64_e32 v[2:3], s[14:15], v[16:17]
	s_and_b64 vcc, exec, s[0:1]
	v_lshl_add_u64 v[4:5], v[4:5], 4, v[8:9]
	s_cbranch_vccnz .LBB114_25
; %bb.24:
	global_load_dwordx4 v[16:19], v[4:5], off
	s_waitcnt vmcnt(0)
	v_mul_f64 v[20:21], s[10:11], v[18:19]
	v_mul_f64 v[18:19], s[8:9], v[18:19]
	v_fma_f64 v[20:21], s[8:9], v[16:17], -v[20:21]
	v_fmac_f64_e32 v[18:19], s[10:11], v[16:17]
	v_add_f64 v[0:1], v[0:1], v[20:21]
	v_add_f64 v[2:3], v[2:3], v[18:19]
.LBB114_25:
	global_store_dwordx4 v[4:5], v[0:3], off
.LBB114_26:
	s_or_b64 exec, exec, s[4:5]
	v_cmp_le_i32_e32 vcc, v6, v10
	s_and_b64 s[2:3], s[2:3], vcc
	s_and_saveexec_b64 s[4:5], s[2:3]
	s_cbranch_execz .LBB114_30
; %bb.27:
	v_mul_f64 v[0:1], s[14:15], v[12:13]
	v_mul_f64 v[2:3], s[12:13], v[12:13]
	v_fma_f64 v[0:1], s[12:13], v[14:15], -v[0:1]
	v_fmac_f64_e32 v[2:3], s[14:15], v[14:15]
	s_and_b64 vcc, exec, s[0:1]
	v_lshl_add_u64 v[4:5], v[6:7], 4, v[8:9]
	s_cbranch_vccnz .LBB114_29
; %bb.28:
	global_load_dwordx4 v[6:9], v[4:5], off
	s_waitcnt vmcnt(0)
	v_mul_f64 v[10:11], s[10:11], v[8:9]
	v_mul_f64 v[8:9], s[8:9], v[8:9]
	v_fma_f64 v[10:11], s[8:9], v[6:7], -v[10:11]
	v_fmac_f64_e32 v[8:9], s[10:11], v[6:7]
	v_add_f64 v[0:1], v[0:1], v[10:11]
	v_add_f64 v[2:3], v[2:3], v[8:9]
.LBB114_29:
	global_store_dwordx4 v[4:5], v[0:3], off
.LBB114_30:
	s_endpgm
	.section	.rodata,"a",@progbits
	.p2align	6, 0x0
	.amdhsa_kernel _ZL29rocblas_internal_gemmt_kernelIiLi16ELi32ELi8ELc67ELc78ELc85ELb1ELb0E19rocblas_complex_numIdEPKS1_S3_PS1_EviT_T9_T10_S5_lS7_S5_lS6_T11_S5_li
		.amdhsa_group_segment_fixed_size 8192
		.amdhsa_private_segment_fixed_size 0
		.amdhsa_kernarg_size 100
		.amdhsa_user_sgpr_count 2
		.amdhsa_user_sgpr_dispatch_ptr 0
		.amdhsa_user_sgpr_queue_ptr 0
		.amdhsa_user_sgpr_kernarg_segment_ptr 1
		.amdhsa_user_sgpr_dispatch_id 0
		.amdhsa_user_sgpr_kernarg_preload_length 0
		.amdhsa_user_sgpr_kernarg_preload_offset 0
		.amdhsa_user_sgpr_private_segment_size 0
		.amdhsa_uses_dynamic_stack 0
		.amdhsa_enable_private_segment 0
		.amdhsa_system_sgpr_workgroup_id_x 1
		.amdhsa_system_sgpr_workgroup_id_y 1
		.amdhsa_system_sgpr_workgroup_id_z 1
		.amdhsa_system_sgpr_workgroup_info 0
		.amdhsa_system_vgpr_workitem_id 1
		.amdhsa_next_free_vgpr 62
		.amdhsa_next_free_sgpr 34
		.amdhsa_accum_offset 64
		.amdhsa_reserve_vcc 1
		.amdhsa_float_round_mode_32 0
		.amdhsa_float_round_mode_16_64 0
		.amdhsa_float_denorm_mode_32 3
		.amdhsa_float_denorm_mode_16_64 3
		.amdhsa_dx10_clamp 1
		.amdhsa_ieee_mode 1
		.amdhsa_fp16_overflow 0
		.amdhsa_tg_split 0
		.amdhsa_exception_fp_ieee_invalid_op 0
		.amdhsa_exception_fp_denorm_src 0
		.amdhsa_exception_fp_ieee_div_zero 0
		.amdhsa_exception_fp_ieee_overflow 0
		.amdhsa_exception_fp_ieee_underflow 0
		.amdhsa_exception_fp_ieee_inexact 0
		.amdhsa_exception_int_div_zero 0
	.end_amdhsa_kernel
	.section	.text._ZL29rocblas_internal_gemmt_kernelIiLi16ELi32ELi8ELc67ELc78ELc85ELb1ELb0E19rocblas_complex_numIdEPKS1_S3_PS1_EviT_T9_T10_S5_lS7_S5_lS6_T11_S5_li,"axG",@progbits,_ZL29rocblas_internal_gemmt_kernelIiLi16ELi32ELi8ELc67ELc78ELc85ELb1ELb0E19rocblas_complex_numIdEPKS1_S3_PS1_EviT_T9_T10_S5_lS7_S5_lS6_T11_S5_li,comdat
.Lfunc_end114:
	.size	_ZL29rocblas_internal_gemmt_kernelIiLi16ELi32ELi8ELc67ELc78ELc85ELb1ELb0E19rocblas_complex_numIdEPKS1_S3_PS1_EviT_T9_T10_S5_lS7_S5_lS6_T11_S5_li, .Lfunc_end114-_ZL29rocblas_internal_gemmt_kernelIiLi16ELi32ELi8ELc67ELc78ELc85ELb1ELb0E19rocblas_complex_numIdEPKS1_S3_PS1_EviT_T9_T10_S5_lS7_S5_lS6_T11_S5_li
                                        ; -- End function
	.set _ZL29rocblas_internal_gemmt_kernelIiLi16ELi32ELi8ELc67ELc78ELc85ELb1ELb0E19rocblas_complex_numIdEPKS1_S3_PS1_EviT_T9_T10_S5_lS7_S5_lS6_T11_S5_li.num_vgpr, 62
	.set _ZL29rocblas_internal_gemmt_kernelIiLi16ELi32ELi8ELc67ELc78ELc85ELb1ELb0E19rocblas_complex_numIdEPKS1_S3_PS1_EviT_T9_T10_S5_lS7_S5_lS6_T11_S5_li.num_agpr, 0
	.set _ZL29rocblas_internal_gemmt_kernelIiLi16ELi32ELi8ELc67ELc78ELc85ELb1ELb0E19rocblas_complex_numIdEPKS1_S3_PS1_EviT_T9_T10_S5_lS7_S5_lS6_T11_S5_li.numbered_sgpr, 34
	.set _ZL29rocblas_internal_gemmt_kernelIiLi16ELi32ELi8ELc67ELc78ELc85ELb1ELb0E19rocblas_complex_numIdEPKS1_S3_PS1_EviT_T9_T10_S5_lS7_S5_lS6_T11_S5_li.num_named_barrier, 0
	.set _ZL29rocblas_internal_gemmt_kernelIiLi16ELi32ELi8ELc67ELc78ELc85ELb1ELb0E19rocblas_complex_numIdEPKS1_S3_PS1_EviT_T9_T10_S5_lS7_S5_lS6_T11_S5_li.private_seg_size, 0
	.set _ZL29rocblas_internal_gemmt_kernelIiLi16ELi32ELi8ELc67ELc78ELc85ELb1ELb0E19rocblas_complex_numIdEPKS1_S3_PS1_EviT_T9_T10_S5_lS7_S5_lS6_T11_S5_li.uses_vcc, 1
	.set _ZL29rocblas_internal_gemmt_kernelIiLi16ELi32ELi8ELc67ELc78ELc85ELb1ELb0E19rocblas_complex_numIdEPKS1_S3_PS1_EviT_T9_T10_S5_lS7_S5_lS6_T11_S5_li.uses_flat_scratch, 0
	.set _ZL29rocblas_internal_gemmt_kernelIiLi16ELi32ELi8ELc67ELc78ELc85ELb1ELb0E19rocblas_complex_numIdEPKS1_S3_PS1_EviT_T9_T10_S5_lS7_S5_lS6_T11_S5_li.has_dyn_sized_stack, 0
	.set _ZL29rocblas_internal_gemmt_kernelIiLi16ELi32ELi8ELc67ELc78ELc85ELb1ELb0E19rocblas_complex_numIdEPKS1_S3_PS1_EviT_T9_T10_S5_lS7_S5_lS6_T11_S5_li.has_recursion, 0
	.set _ZL29rocblas_internal_gemmt_kernelIiLi16ELi32ELi8ELc67ELc78ELc85ELb1ELb0E19rocblas_complex_numIdEPKS1_S3_PS1_EviT_T9_T10_S5_lS7_S5_lS6_T11_S5_li.has_indirect_call, 0
	.section	.AMDGPU.csdata,"",@progbits
; Kernel info:
; codeLenInByte = 3124
; TotalNumSgprs: 40
; NumVgprs: 62
; NumAgprs: 0
; TotalNumVgprs: 62
; ScratchSize: 0
; MemoryBound: 1
; FloatMode: 240
; IeeeMode: 1
; LDSByteSize: 8192 bytes/workgroup (compile time only)
; SGPRBlocks: 4
; VGPRBlocks: 7
; NumSGPRsForWavesPerEU: 40
; NumVGPRsForWavesPerEU: 62
; AccumOffset: 64
; Occupancy: 8
; WaveLimiterHint : 0
; COMPUTE_PGM_RSRC2:SCRATCH_EN: 0
; COMPUTE_PGM_RSRC2:USER_SGPR: 2
; COMPUTE_PGM_RSRC2:TRAP_HANDLER: 0
; COMPUTE_PGM_RSRC2:TGID_X_EN: 1
; COMPUTE_PGM_RSRC2:TGID_Y_EN: 1
; COMPUTE_PGM_RSRC2:TGID_Z_EN: 1
; COMPUTE_PGM_RSRC2:TIDIG_COMP_CNT: 1
; COMPUTE_PGM_RSRC3_GFX90A:ACCUM_OFFSET: 15
; COMPUTE_PGM_RSRC3_GFX90A:TG_SPLIT: 0
	.section	.text._ZL29rocblas_internal_gemmt_kernelIiLi16ELi32ELi8ELc67ELc84ELc85ELb1ELb0E19rocblas_complex_numIdEPKS1_S3_PS1_EviT_T9_T10_S5_lS7_S5_lS6_T11_S5_li,"axG",@progbits,_ZL29rocblas_internal_gemmt_kernelIiLi16ELi32ELi8ELc67ELc84ELc85ELb1ELb0E19rocblas_complex_numIdEPKS1_S3_PS1_EviT_T9_T10_S5_lS7_S5_lS6_T11_S5_li,comdat
	.globl	_ZL29rocblas_internal_gemmt_kernelIiLi16ELi32ELi8ELc67ELc84ELc85ELb1ELb0E19rocblas_complex_numIdEPKS1_S3_PS1_EviT_T9_T10_S5_lS7_S5_lS6_T11_S5_li ; -- Begin function _ZL29rocblas_internal_gemmt_kernelIiLi16ELi32ELi8ELc67ELc84ELc85ELb1ELb0E19rocblas_complex_numIdEPKS1_S3_PS1_EviT_T9_T10_S5_lS7_S5_lS6_T11_S5_li
	.p2align	8
	.type	_ZL29rocblas_internal_gemmt_kernelIiLi16ELi32ELi8ELc67ELc84ELc85ELb1ELb0E19rocblas_complex_numIdEPKS1_S3_PS1_EviT_T9_T10_S5_lS7_S5_lS6_T11_S5_li,@function
_ZL29rocblas_internal_gemmt_kernelIiLi16ELi32ELi8ELc67ELc84ELc85ELb1ELb0E19rocblas_complex_numIdEPKS1_S3_PS1_EviT_T9_T10_S5_lS7_S5_lS6_T11_S5_li: ; @_ZL29rocblas_internal_gemmt_kernelIiLi16ELi32ELi8ELc67ELc84ELc85ELb1ELb0E19rocblas_complex_numIdEPKS1_S3_PS1_EviT_T9_T10_S5_lS7_S5_lS6_T11_S5_li
; %bb.0:
	s_load_dwordx4 s[16:19], s[0:1], 0x38
	s_load_dwordx4 s[20:23], s[0:1], 0x8
	s_mov_b64 s[24:25], 0
	s_waitcnt lgkmcnt(0)
	s_load_dwordx4 s[8:11], s[18:19], 0x0
	s_load_dwordx2 s[6:7], s[0:1], 0x0
	s_load_dwordx4 s[12:15], s[20:21], 0x0
	s_waitcnt lgkmcnt(0)
	v_cmp_eq_f64_e64 s[20:21], s[8:9], 1.0
	v_cmp_eq_f64_e64 s[18:19], s[10:11], 0
	s_and_b64 s[20:21], s[20:21], s[18:19]
	s_andn2_b64 vcc, exec, s[20:21]
	s_mov_b64 s[20:21], -1
	s_cbranch_vccnz .LBB115_4
; %bb.1:
	s_cmp_lg_u32 s7, 0
	s_cbranch_scc0 .LBB115_3
; %bb.2:
	v_cmp_neq_f64_e64 s[20:21], s[12:13], 0
	v_cmp_neq_f64_e64 s[24:25], s[14:15], 0
	s_or_b64 s[24:25], s[20:21], s[24:25]
.LBB115_3:
	s_mov_b64 s[20:21], s[24:25]
.LBB115_4:
	s_and_b64 vcc, exec, s[20:21]
	s_cbranch_vccz .LBB115_30
; %bb.5:
	s_lshl_b32 s5, s2, 5
	s_lshl_b32 s28, s3, 5
	v_cmp_eq_f64_e64 s[2:3], s[12:13], 0
	v_cmp_eq_f64_e64 s[24:25], s[14:15], 0
	s_load_dwordx2 s[20:21], s[0:1], 0x48
	s_and_b64 s[2:3], s[2:3], s[24:25]
	s_cmp_lt_i32 s7, 1
	s_cselect_b64 s[24:25], -1, 0
	s_or_b64 s[2:3], s[2:3], s[24:25]
	v_and_b32_e32 v29, 0x3ff, v0
	v_bfe_u32 v28, v0, 10, 10
	s_mov_b32 s29, 0
	v_mov_b64_e32 v[24:25], 0
	s_and_b64 vcc, exec, s[2:3]
	v_mov_b64_e32 v[26:27], 0
	v_mov_b64_e32 v[20:21], 0
	;; [unrolled: 1-line block ×7, first 2 shown]
	s_cbranch_vccnz .LBB115_14
; %bb.6:
	v_lshl_add_u32 v0, v28, 4, v29
	v_lshrrev_b32_e32 v31, 5, v0
	v_lshrrev_b32_e32 v1, 3, v0
	v_and_b32_e32 v0, 31, v0
	s_load_dword s33, s[0:1], 0x18
	s_load_dword s30, s[0:1], 0x30
	s_load_dwordx4 s[24:27], s[0:1], 0x20
	v_or_b32_e32 v3, s5, v0
	v_and_b32_e32 v30, 7, v29
	v_cmp_gt_i32_e32 vcc, s6, v3
	v_lshlrev_b32_e32 v3, 4, v0
	v_lshl_or_b32 v32, v31, 9, v3
	v_lshlrev_b32_e32 v3, 4, v30
	v_add_u32_e32 v2, s28, v1
	v_lshl_or_b32 v1, v1, 7, v3
	v_add_u32_e32 v33, 0x1000, v1
	v_mov_b32_e32 v1, 0x1000
	v_add_u32_e32 v0, s5, v0
	v_lshl_add_u32 v35, v28, 7, v1
	s_waitcnt lgkmcnt(0)
	v_mad_i64_i32 v[0:1], s[34:35], s33, v0, 0
	s_mul_i32 s25, s25, s4
	s_mul_hi_u32 s33, s24, s4
	s_add_i32 s25, s33, s25
	s_mul_i32 s24, s24, s4
	s_lshl_b64 s[24:25], s[24:25], 4
	v_lshl_add_u64 v[4:5], v[0:1], 4, s[24:25]
	v_lshlrev_b32_e32 v0, 4, v31
	v_mov_b32_e32 v1, 0
	v_lshl_add_u64 v[4:5], v[4:5], 0, v[0:1]
	v_lshl_add_u64 v[4:5], s[22:23], 0, v[4:5]
	s_mul_i32 s17, s17, s4
	s_mul_hi_u32 s22, s16, s4
	v_lshl_add_u64 v[8:9], v[4:5], 0, 8
	s_add_i32 s17, s22, s17
	v_mad_i64_i32 v[4:5], s[22:23], s30, v30, 0
	s_mul_i32 s16, s16, s4
	v_lshlrev_b64 v[4:5], 4, v[4:5]
	v_ashrrev_i32_e32 v3, 31, v2
	v_lshl_add_u64 v[4:5], s[16:17], 4, v[4:5]
	s_ashr_i32 s31, s30, 31
	v_cmp_gt_i32_e64 s[2:3], s6, v2
	v_lshl_add_u64 v[2:3], v[2:3], 4, v[4:5]
	v_lshlrev_b32_e32 v34, 4, v29
	v_lshl_add_u64 v[10:11], s[26:27], 0, v[2:3]
	s_lshl_b64 s[16:17], s[30:31], 7
	v_mov_b64_e32 v[12:13], 0
	s_xor_b64 s[22:23], s[2:3], -1
	s_mov_b64 s[24:25], 0x80
	v_mov_b32_e32 v0, v1
	v_mov_b32_e32 v2, v1
	;; [unrolled: 1-line block ×3, first 2 shown]
	v_mov_b64_e32 v[14:15], 0
	v_mov_b64_e32 v[18:19], 0
	;; [unrolled: 1-line block ×7, first 2 shown]
	s_branch .LBB115_8
.LBB115_7:                              ;   in Loop: Header=BB115_8 Depth=1
	s_or_b64 exec, exec, s[2:3]
	s_waitcnt lgkmcnt(0)
	s_barrier
	ds_read_b128 v[4:7], v34
	ds_read_b128 v[36:39], v35
	ds_read_b128 v[40:43], v35 offset:16
	ds_read_b128 v[44:47], v35 offset:32
	;; [unrolled: 1-line block ×4, first 2 shown]
	s_waitcnt lgkmcnt(4)
	v_mul_f64 v[56:57], v[38:39], v[6:7]
	v_fma_f64 v[56:57], v[36:37], v[4:5], -v[56:57]
	v_mul_f64 v[58:59], v[36:37], v[6:7]
	v_fmac_f64_e32 v[58:59], v[38:39], v[4:5]
	v_add_f64 v[56:57], v[24:25], v[56:57]
	s_waitcnt lgkmcnt(0)
	v_mul_f64 v[24:25], v[38:39], v[54:55]
	v_add_f64 v[58:59], v[58:59], v[26:27]
	v_fma_f64 v[60:61], v[36:37], v[52:53], -v[24:25]
	ds_read_b128 v[24:27], v35 offset:2048
	v_mul_f64 v[36:37], v[36:37], v[54:55]
	v_fmac_f64_e32 v[36:37], v[38:39], v[52:53]
	v_add_f64 v[38:39], v[20:21], v[60:61]
	v_add_f64 v[36:37], v[36:37], v[22:23]
	ds_read_b128 v[20:23], v35 offset:2064
	s_waitcnt lgkmcnt(1)
	v_mul_f64 v[60:61], v[26:27], v[6:7]
	v_mul_f64 v[6:7], v[24:25], v[6:7]
	v_fma_f64 v[60:61], v[24:25], v[4:5], -v[60:61]
	v_fmac_f64_e32 v[6:7], v[26:27], v[4:5]
	v_mul_f64 v[4:5], v[26:27], v[54:55]
	v_add_f64 v[16:17], v[16:17], v[60:61]
	v_add_f64 v[18:19], v[6:7], v[18:19]
	v_fma_f64 v[60:61], v[24:25], v[52:53], -v[4:5]
	v_mul_f64 v[24:25], v[24:25], v[54:55]
	ds_read_b128 v[4:7], v34 offset:512
	v_fmac_f64_e32 v[24:25], v[26:27], v[52:53]
	v_add_f64 v[26:27], v[14:15], v[60:61]
	v_add_f64 v[24:25], v[24:25], v[12:13]
	ds_read_b128 v[12:15], v34 offset:768
	s_waitcnt lgkmcnt(1)
	v_mul_f64 v[52:53], v[42:43], v[6:7]
	v_fma_f64 v[52:53], v[40:41], v[4:5], -v[52:53]
	v_add_f64 v[52:53], v[56:57], v[52:53]
	v_mul_f64 v[54:55], v[40:41], v[6:7]
	s_waitcnt lgkmcnt(0)
	v_mul_f64 v[56:57], v[42:43], v[14:15]
	v_fma_f64 v[56:57], v[40:41], v[12:13], -v[56:57]
	v_mul_f64 v[40:41], v[40:41], v[14:15]
	v_fmac_f64_e32 v[40:41], v[42:43], v[12:13]
	v_add_f64 v[36:37], v[40:41], v[36:37]
	v_mul_f64 v[40:41], v[22:23], v[6:7]
	v_mul_f64 v[6:7], v[20:21], v[6:7]
	v_fmac_f64_e32 v[54:55], v[42:43], v[4:5]
	v_fma_f64 v[40:41], v[20:21], v[4:5], -v[40:41]
	v_fmac_f64_e32 v[6:7], v[22:23], v[4:5]
	v_mul_f64 v[4:5], v[22:23], v[14:15]
	v_add_f64 v[40:41], v[16:17], v[40:41]
	v_add_f64 v[42:43], v[6:7], v[18:19]
	v_fma_f64 v[16:17], v[20:21], v[12:13], -v[4:5]
	v_mul_f64 v[14:15], v[20:21], v[14:15]
	ds_read_b128 v[4:7], v34 offset:1024
	v_fmac_f64_e32 v[14:15], v[22:23], v[12:13]
	v_add_f64 v[24:25], v[14:15], v[24:25]
	ds_read_b128 v[12:15], v34 offset:1280
	v_add_f64 v[26:27], v[26:27], v[16:17]
	s_waitcnt lgkmcnt(1)
	v_mul_f64 v[16:17], v[46:47], v[6:7]
	v_fma_f64 v[16:17], v[44:45], v[4:5], -v[16:17]
	v_mul_f64 v[18:19], v[44:45], v[6:7]
	v_add_f64 v[54:55], v[54:55], v[58:59]
	v_fmac_f64_e32 v[18:19], v[46:47], v[4:5]
	v_add_f64 v[52:53], v[52:53], v[16:17]
	s_waitcnt lgkmcnt(0)
	v_mul_f64 v[16:17], v[46:47], v[14:15]
	v_add_f64 v[54:55], v[18:19], v[54:55]
	v_fma_f64 v[20:21], v[44:45], v[12:13], -v[16:17]
	ds_read_b128 v[16:19], v35 offset:2080
	v_mul_f64 v[22:23], v[44:45], v[14:15]
	v_add_f64 v[38:39], v[38:39], v[56:57]
	v_fmac_f64_e32 v[22:23], v[46:47], v[12:13]
	v_add_f64 v[38:39], v[38:39], v[20:21]
	v_add_f64 v[36:37], v[22:23], v[36:37]
	ds_read_b128 v[20:23], v35 offset:2096
	s_waitcnt lgkmcnt(1)
	v_mul_f64 v[44:45], v[18:19], v[6:7]
	v_mul_f64 v[6:7], v[16:17], v[6:7]
	v_fma_f64 v[44:45], v[16:17], v[4:5], -v[44:45]
	v_fmac_f64_e32 v[6:7], v[18:19], v[4:5]
	v_mul_f64 v[4:5], v[18:19], v[14:15]
	v_mul_f64 v[14:15], v[16:17], v[14:15]
	v_fmac_f64_e32 v[14:15], v[18:19], v[12:13]
	v_add_f64 v[40:41], v[40:41], v[44:45]
	v_add_f64 v[42:43], v[6:7], v[42:43]
	v_fma_f64 v[44:45], v[16:17], v[12:13], -v[4:5]
	ds_read_b128 v[4:7], v34 offset:1536
	v_add_f64 v[18:19], v[14:15], v[24:25]
	ds_read_b128 v[12:15], v34 offset:1792
	v_add_f64 v[16:17], v[26:27], v[44:45]
	s_add_i32 s29, s29, 8
	s_waitcnt lgkmcnt(1)
	v_mul_f64 v[24:25], v[50:51], v[6:7]
	v_mul_f64 v[26:27], v[48:49], v[6:7]
	s_waitcnt lgkmcnt(0)
	v_mul_f64 v[44:45], v[50:51], v[14:15]
	v_fma_f64 v[44:45], v[48:49], v[12:13], -v[44:45]
	v_add_f64 v[38:39], v[38:39], v[44:45]
	v_mul_f64 v[44:45], v[22:23], v[6:7]
	v_mul_f64 v[6:7], v[20:21], v[6:7]
	v_fma_f64 v[24:25], v[48:49], v[4:5], -v[24:25]
	v_fmac_f64_e32 v[26:27], v[50:51], v[4:5]
	v_fma_f64 v[44:45], v[20:21], v[4:5], -v[44:45]
	v_fmac_f64_e32 v[6:7], v[22:23], v[4:5]
	v_mul_f64 v[4:5], v[22:23], v[14:15]
	v_mul_f64 v[46:47], v[48:49], v[14:15]
	v_add_f64 v[40:41], v[40:41], v[44:45]
	v_fma_f64 v[44:45], v[20:21], v[12:13], -v[4:5]
	v_mul_f64 v[20:21], v[20:21], v[14:15]
	v_fmac_f64_e32 v[46:47], v[50:51], v[12:13]
	v_add_f64 v[42:43], v[6:7], v[42:43]
	v_fmac_f64_e32 v[20:21], v[22:23], v[12:13]
	ds_read_b128 v[4:7], v35 offset:64
	ds_read_b128 v[12:15], v34 offset:2048
	v_add_f64 v[36:37], v[46:47], v[36:37]
	v_add_f64 v[44:45], v[16:17], v[44:45]
	;; [unrolled: 1-line block ×3, first 2 shown]
	ds_read_b128 v[16:19], v34 offset:2304
	ds_read_b128 v[20:23], v35 offset:80
	s_waitcnt lgkmcnt(2)
	v_mul_f64 v[48:49], v[6:7], v[14:15]
	v_add_f64 v[24:25], v[52:53], v[24:25]
	v_fma_f64 v[48:49], v[4:5], v[12:13], -v[48:49]
	v_mul_f64 v[50:51], v[4:5], v[14:15]
	v_add_f64 v[26:27], v[26:27], v[54:55]
	v_fmac_f64_e32 v[50:51], v[6:7], v[12:13]
	v_add_f64 v[48:49], v[24:25], v[48:49]
	s_waitcnt lgkmcnt(1)
	v_mul_f64 v[24:25], v[6:7], v[18:19]
	v_add_f64 v[50:51], v[50:51], v[26:27]
	v_fma_f64 v[52:53], v[4:5], v[16:17], -v[24:25]
	ds_read_b128 v[24:27], v35 offset:2112
	v_mul_f64 v[4:5], v[4:5], v[18:19]
	v_fmac_f64_e32 v[4:5], v[6:7], v[16:17]
	v_add_f64 v[38:39], v[38:39], v[52:53]
	v_add_f64 v[36:37], v[4:5], v[36:37]
	ds_read_b128 v[4:7], v35 offset:2128
	s_waitcnt lgkmcnt(1)
	v_mul_f64 v[52:53], v[26:27], v[14:15]
	v_mul_f64 v[14:15], v[24:25], v[14:15]
	v_fma_f64 v[52:53], v[24:25], v[12:13], -v[52:53]
	v_fmac_f64_e32 v[14:15], v[26:27], v[12:13]
	v_mul_f64 v[12:13], v[26:27], v[18:19]
	v_add_f64 v[40:41], v[40:41], v[52:53]
	v_add_f64 v[42:43], v[14:15], v[42:43]
	v_fma_f64 v[52:53], v[24:25], v[16:17], -v[12:13]
	v_mul_f64 v[18:19], v[24:25], v[18:19]
	ds_read_b128 v[12:15], v34 offset:2560
	v_fmac_f64_e32 v[18:19], v[26:27], v[16:17]
	v_add_f64 v[26:27], v[18:19], v[46:47]
	ds_read_b128 v[16:19], v34 offset:2816
	v_add_f64 v[24:25], v[44:45], v[52:53]
	s_waitcnt lgkmcnt(1)
	v_mul_f64 v[44:45], v[22:23], v[14:15]
	v_fma_f64 v[44:45], v[20:21], v[12:13], -v[44:45]
	v_add_f64 v[44:45], v[48:49], v[44:45]
	s_waitcnt lgkmcnt(0)
	v_mul_f64 v[48:49], v[22:23], v[18:19]
	v_mul_f64 v[46:47], v[20:21], v[14:15]
	v_fma_f64 v[48:49], v[20:21], v[16:17], -v[48:49]
	v_mul_f64 v[20:21], v[20:21], v[18:19]
	v_fmac_f64_e32 v[20:21], v[22:23], v[16:17]
	v_add_f64 v[36:37], v[20:21], v[36:37]
	v_mul_f64 v[20:21], v[6:7], v[14:15]
	v_mul_f64 v[14:15], v[4:5], v[14:15]
	v_fmac_f64_e32 v[46:47], v[22:23], v[12:13]
	v_fma_f64 v[20:21], v[4:5], v[12:13], -v[20:21]
	v_fmac_f64_e32 v[14:15], v[6:7], v[12:13]
	v_mul_f64 v[12:13], v[6:7], v[18:19]
	v_mul_f64 v[18:19], v[4:5], v[18:19]
	v_add_f64 v[40:41], v[40:41], v[20:21]
	v_add_f64 v[42:43], v[14:15], v[42:43]
	v_fma_f64 v[20:21], v[4:5], v[16:17], -v[12:13]
	v_fmac_f64_e32 v[18:19], v[6:7], v[16:17]
	ds_read_b128 v[4:7], v35 offset:96
	ds_read_b128 v[12:15], v34 offset:3072
	v_add_f64 v[46:47], v[46:47], v[50:51]
	v_add_f64 v[38:39], v[38:39], v[48:49]
	;; [unrolled: 1-line block ×4, first 2 shown]
	ds_read_b128 v[16:19], v34 offset:3328
	ds_read_b128 v[20:23], v35 offset:112
	s_waitcnt lgkmcnt(2)
	v_mul_f64 v[24:25], v[6:7], v[14:15]
	v_fma_f64 v[24:25], v[4:5], v[12:13], -v[24:25]
	v_mul_f64 v[26:27], v[4:5], v[14:15]
	v_fmac_f64_e32 v[26:27], v[6:7], v[12:13]
	v_add_f64 v[44:45], v[44:45], v[24:25]
	s_waitcnt lgkmcnt(1)
	v_mul_f64 v[24:25], v[6:7], v[18:19]
	v_add_f64 v[46:47], v[26:27], v[46:47]
	v_fma_f64 v[52:53], v[4:5], v[16:17], -v[24:25]
	ds_read_b128 v[24:27], v35 offset:2144
	v_mul_f64 v[4:5], v[4:5], v[18:19]
	v_fmac_f64_e32 v[4:5], v[6:7], v[16:17]
	v_add_f64 v[54:55], v[4:5], v[36:37]
	ds_read_b128 v[4:7], v35 offset:2160
	s_waitcnt lgkmcnt(1)
	v_mul_f64 v[36:37], v[26:27], v[14:15]
	v_mul_f64 v[14:15], v[24:25], v[14:15]
	v_fma_f64 v[36:37], v[24:25], v[12:13], -v[36:37]
	v_fmac_f64_e32 v[14:15], v[26:27], v[12:13]
	v_mul_f64 v[12:13], v[26:27], v[18:19]
	v_add_f64 v[40:41], v[40:41], v[36:37]
	v_add_f64 v[42:43], v[14:15], v[42:43]
	v_fma_f64 v[36:37], v[24:25], v[16:17], -v[12:13]
	ds_read_b128 v[12:15], v34 offset:3584
	v_add_f64 v[52:53], v[38:39], v[52:53]
	v_add_f64 v[48:49], v[48:49], v[36:37]
	ds_read_b128 v[36:39], v34 offset:3840
	v_mul_f64 v[18:19], v[24:25], v[18:19]
	v_fmac_f64_e32 v[18:19], v[26:27], v[16:17]
	s_waitcnt lgkmcnt(1)
	v_mul_f64 v[16:17], v[22:23], v[14:15]
	v_fma_f64 v[16:17], v[20:21], v[12:13], -v[16:17]
	v_add_f64 v[50:51], v[18:19], v[50:51]
	v_mul_f64 v[18:19], v[20:21], v[14:15]
	v_add_f64 v[24:25], v[44:45], v[16:17]
	s_waitcnt lgkmcnt(0)
	v_mul_f64 v[16:17], v[22:23], v[38:39]
	v_fmac_f64_e32 v[18:19], v[22:23], v[12:13]
	v_fma_f64 v[16:17], v[20:21], v[36:37], -v[16:17]
	v_add_f64 v[26:27], v[18:19], v[46:47]
	v_mul_f64 v[18:19], v[20:21], v[38:39]
	v_add_f64 v[20:21], v[52:53], v[16:17]
	v_mul_f64 v[16:17], v[6:7], v[14:15]
	v_mul_f64 v[14:15], v[4:5], v[14:15]
	v_fma_f64 v[16:17], v[4:5], v[12:13], -v[16:17]
	v_fmac_f64_e32 v[14:15], v[6:7], v[12:13]
	v_mul_f64 v[12:13], v[6:7], v[38:39]
	v_fma_f64 v[12:13], v[4:5], v[36:37], -v[12:13]
	v_mul_f64 v[4:5], v[4:5], v[38:39]
	v_fmac_f64_e32 v[18:19], v[22:23], v[36:37]
	v_fmac_f64_e32 v[4:5], v[6:7], v[36:37]
	v_add_f64 v[22:23], v[18:19], v[54:55]
	v_add_f64 v[16:17], v[40:41], v[16:17]
	;; [unrolled: 1-line block ×5, first 2 shown]
	v_lshl_add_u64 v[8:9], v[8:9], 0, s[24:25]
	s_cmp_lt_i32 s29, s7
	v_lshl_add_u64 v[10:11], v[10:11], 0, s[16:17]
	s_barrier
	s_cbranch_scc0 .LBB115_14
.LBB115_8:                              ; =>This Inner Loop Header: Depth=1
	v_add_u32_e32 v4, s29, v31
	v_cmp_gt_i32_e64 s[2:3], s7, v4
	s_and_b64 s[26:27], vcc, s[2:3]
	v_mov_b64_e32 v[4:5], 0
	v_mov_b64_e32 v[6:7], 0
	s_and_saveexec_b64 s[2:3], s[26:27]
	s_cbranch_execz .LBB115_10
; %bb.9:                                ;   in Loop: Header=BB115_8 Depth=1
	global_load_dwordx4 v[4:7], v[8:9], off offset:-8
	s_waitcnt vmcnt(0)
	v_xor_b32_e32 v7, 0x80000000, v7
.LBB115_10:                             ;   in Loop: Header=BB115_8 Depth=1
	s_or_b64 exec, exec, s[2:3]
	ds_write_b128 v32, v[4:7]
	v_add_u32_e32 v4, s29, v30
	v_cmp_le_i32_e64 s[2:3], s7, v4
	s_or_b64 s[2:3], s[2:3], s[22:23]
	s_and_saveexec_b64 s[26:27], s[2:3]
	s_xor_b64 s[2:3], exec, s[26:27]
; %bb.11:                               ;   in Loop: Header=BB115_8 Depth=1
	ds_write_b128 v33, v[0:3]
; %bb.12:                               ;   in Loop: Header=BB115_8 Depth=1
	s_andn2_saveexec_b64 s[2:3], s[2:3]
	s_cbranch_execz .LBB115_7
; %bb.13:                               ;   in Loop: Header=BB115_8 Depth=1
	global_load_dwordx4 v[4:7], v[10:11], off
	s_waitcnt vmcnt(0)
	ds_write2_b64 v33, v[4:5], v[6:7] offset1:1
	s_branch .LBB115_7
.LBB115_14:
	s_load_dwordx2 s[2:3], s[0:1], 0x58
	s_load_dword s7, s[0:1], 0x50
	v_add_u32_e32 v4, s5, v29
	v_add_u32_e32 v10, s28, v28
	v_cmp_le_i32_e32 vcc, v4, v10
	s_waitcnt lgkmcnt(0)
	s_mul_i32 s1, s3, s4
	s_mul_hi_u32 s3, s2, s4
	s_mul_i32 s0, s2, s4
	s_add_i32 s1, s3, s1
	s_lshl_b64 s[0:1], s[0:1], 4
	s_add_u32 s4, s20, s0
	s_addc_u32 s5, s21, s1
	v_cmp_neq_f64_e64 s[0:1], s[8:9], 0
	s_xor_b64 s[16:17], s[18:19], -1
	v_mad_i64_i32 v[0:1], s[18:19], v10, s7, 0
	s_or_b64 s[0:1], s[0:1], s[16:17]
	v_cmp_gt_i32_e64 s[2:3], s6, v10
	v_lshl_add_u64 v[8:9], v[0:1], 4, s[4:5]
	v_cndmask_b32_e64 v0, 0, 1, s[0:1]
	s_and_b64 s[18:19], s[2:3], vcc
	v_ashrrev_i32_e32 v5, 31, v4
	v_cmp_ne_u32_e64 s[0:1], 1, v0
	s_and_saveexec_b64 s[16:17], s[18:19]
	s_cbranch_execz .LBB115_18
; %bb.15:
	v_mul_f64 v[0:1], s[14:15], v[26:27]
	v_mul_f64 v[2:3], s[12:13], v[26:27]
	v_fma_f64 v[0:1], s[12:13], v[24:25], -v[0:1]
	v_fmac_f64_e32 v[2:3], s[14:15], v[24:25]
	s_and_b64 vcc, exec, s[0:1]
	v_lshl_add_u64 v[6:7], v[4:5], 4, v[8:9]
	s_cbranch_vccnz .LBB115_17
; %bb.16:
	global_load_dwordx4 v[24:27], v[6:7], off
	s_waitcnt vmcnt(0)
	v_mul_f64 v[28:29], s[10:11], v[26:27]
	v_mul_f64 v[26:27], s[8:9], v[26:27]
	v_fma_f64 v[28:29], s[8:9], v[24:25], -v[28:29]
	v_fmac_f64_e32 v[26:27], s[10:11], v[24:25]
	v_add_f64 v[0:1], v[0:1], v[28:29]
	v_add_f64 v[2:3], v[2:3], v[26:27]
.LBB115_17:
	global_store_dwordx4 v[6:7], v[0:3], off
.LBB115_18:
	s_or_b64 exec, exec, s[16:17]
	v_add_u32_e32 v6, 16, v4
	v_cmp_le_i32_e32 vcc, v6, v10
	s_and_b64 s[16:17], s[2:3], vcc
	v_ashrrev_i32_e32 v7, 31, v6
	s_and_saveexec_b64 s[2:3], s[16:17]
	s_cbranch_execz .LBB115_22
; %bb.19:
	v_mul_f64 v[0:1], s[14:15], v[22:23]
	v_mul_f64 v[2:3], s[12:13], v[22:23]
	v_fma_f64 v[0:1], s[12:13], v[20:21], -v[0:1]
	v_fmac_f64_e32 v[2:3], s[14:15], v[20:21]
	s_and_b64 vcc, exec, s[0:1]
	v_lshl_add_u64 v[8:9], v[6:7], 4, v[8:9]
	s_cbranch_vccnz .LBB115_21
; %bb.20:
	global_load_dwordx4 v[20:23], v[8:9], off
	s_waitcnt vmcnt(0)
	v_mul_f64 v[24:25], s[10:11], v[22:23]
	v_mul_f64 v[22:23], s[8:9], v[22:23]
	v_fma_f64 v[24:25], s[8:9], v[20:21], -v[24:25]
	v_fmac_f64_e32 v[22:23], s[10:11], v[20:21]
	v_add_f64 v[0:1], v[0:1], v[24:25]
	v_add_f64 v[2:3], v[2:3], v[22:23]
.LBB115_21:
	global_store_dwordx4 v[8:9], v[0:3], off
.LBB115_22:
	s_or_b64 exec, exec, s[2:3]
	v_add_u32_e32 v10, 16, v10
	v_cmp_gt_i32_e64 s[2:3], s6, v10
	v_mad_i64_i32 v[0:1], s[6:7], v10, s7, 0
	v_cmp_le_i32_e32 vcc, v4, v10
	v_lshl_add_u64 v[8:9], v[0:1], 4, s[4:5]
	s_and_b64 s[6:7], s[2:3], vcc
	s_and_saveexec_b64 s[4:5], s[6:7]
	s_cbranch_execz .LBB115_26
; %bb.23:
	v_mul_f64 v[0:1], s[14:15], v[18:19]
	v_mul_f64 v[2:3], s[12:13], v[18:19]
	v_fma_f64 v[0:1], s[12:13], v[16:17], -v[0:1]
	v_fmac_f64_e32 v[2:3], s[14:15], v[16:17]
	s_and_b64 vcc, exec, s[0:1]
	v_lshl_add_u64 v[4:5], v[4:5], 4, v[8:9]
	s_cbranch_vccnz .LBB115_25
; %bb.24:
	global_load_dwordx4 v[16:19], v[4:5], off
	s_waitcnt vmcnt(0)
	v_mul_f64 v[20:21], s[10:11], v[18:19]
	v_mul_f64 v[18:19], s[8:9], v[18:19]
	v_fma_f64 v[20:21], s[8:9], v[16:17], -v[20:21]
	v_fmac_f64_e32 v[18:19], s[10:11], v[16:17]
	v_add_f64 v[0:1], v[0:1], v[20:21]
	v_add_f64 v[2:3], v[2:3], v[18:19]
.LBB115_25:
	global_store_dwordx4 v[4:5], v[0:3], off
.LBB115_26:
	s_or_b64 exec, exec, s[4:5]
	v_cmp_le_i32_e32 vcc, v6, v10
	s_and_b64 s[2:3], s[2:3], vcc
	s_and_saveexec_b64 s[4:5], s[2:3]
	s_cbranch_execz .LBB115_30
; %bb.27:
	v_mul_f64 v[0:1], s[14:15], v[12:13]
	v_mul_f64 v[2:3], s[12:13], v[12:13]
	v_fma_f64 v[0:1], s[12:13], v[14:15], -v[0:1]
	v_fmac_f64_e32 v[2:3], s[14:15], v[14:15]
	s_and_b64 vcc, exec, s[0:1]
	v_lshl_add_u64 v[4:5], v[6:7], 4, v[8:9]
	s_cbranch_vccnz .LBB115_29
; %bb.28:
	global_load_dwordx4 v[6:9], v[4:5], off
	s_waitcnt vmcnt(0)
	v_mul_f64 v[10:11], s[10:11], v[8:9]
	v_mul_f64 v[8:9], s[8:9], v[8:9]
	v_fma_f64 v[10:11], s[8:9], v[6:7], -v[10:11]
	v_fmac_f64_e32 v[8:9], s[10:11], v[6:7]
	v_add_f64 v[0:1], v[0:1], v[10:11]
	v_add_f64 v[2:3], v[2:3], v[8:9]
.LBB115_29:
	global_store_dwordx4 v[4:5], v[0:3], off
.LBB115_30:
	s_endpgm
	.section	.rodata,"a",@progbits
	.p2align	6, 0x0
	.amdhsa_kernel _ZL29rocblas_internal_gemmt_kernelIiLi16ELi32ELi8ELc67ELc84ELc85ELb1ELb0E19rocblas_complex_numIdEPKS1_S3_PS1_EviT_T9_T10_S5_lS7_S5_lS6_T11_S5_li
		.amdhsa_group_segment_fixed_size 8192
		.amdhsa_private_segment_fixed_size 0
		.amdhsa_kernarg_size 100
		.amdhsa_user_sgpr_count 2
		.amdhsa_user_sgpr_dispatch_ptr 0
		.amdhsa_user_sgpr_queue_ptr 0
		.amdhsa_user_sgpr_kernarg_segment_ptr 1
		.amdhsa_user_sgpr_dispatch_id 0
		.amdhsa_user_sgpr_kernarg_preload_length 0
		.amdhsa_user_sgpr_kernarg_preload_offset 0
		.amdhsa_user_sgpr_private_segment_size 0
		.amdhsa_uses_dynamic_stack 0
		.amdhsa_enable_private_segment 0
		.amdhsa_system_sgpr_workgroup_id_x 1
		.amdhsa_system_sgpr_workgroup_id_y 1
		.amdhsa_system_sgpr_workgroup_id_z 1
		.amdhsa_system_sgpr_workgroup_info 0
		.amdhsa_system_vgpr_workitem_id 1
		.amdhsa_next_free_vgpr 62
		.amdhsa_next_free_sgpr 36
		.amdhsa_accum_offset 64
		.amdhsa_reserve_vcc 1
		.amdhsa_float_round_mode_32 0
		.amdhsa_float_round_mode_16_64 0
		.amdhsa_float_denorm_mode_32 3
		.amdhsa_float_denorm_mode_16_64 3
		.amdhsa_dx10_clamp 1
		.amdhsa_ieee_mode 1
		.amdhsa_fp16_overflow 0
		.amdhsa_tg_split 0
		.amdhsa_exception_fp_ieee_invalid_op 0
		.amdhsa_exception_fp_denorm_src 0
		.amdhsa_exception_fp_ieee_div_zero 0
		.amdhsa_exception_fp_ieee_overflow 0
		.amdhsa_exception_fp_ieee_underflow 0
		.amdhsa_exception_fp_ieee_inexact 0
		.amdhsa_exception_int_div_zero 0
	.end_amdhsa_kernel
	.section	.text._ZL29rocblas_internal_gemmt_kernelIiLi16ELi32ELi8ELc67ELc84ELc85ELb1ELb0E19rocblas_complex_numIdEPKS1_S3_PS1_EviT_T9_T10_S5_lS7_S5_lS6_T11_S5_li,"axG",@progbits,_ZL29rocblas_internal_gemmt_kernelIiLi16ELi32ELi8ELc67ELc84ELc85ELb1ELb0E19rocblas_complex_numIdEPKS1_S3_PS1_EviT_T9_T10_S5_lS7_S5_lS6_T11_S5_li,comdat
.Lfunc_end115:
	.size	_ZL29rocblas_internal_gemmt_kernelIiLi16ELi32ELi8ELc67ELc84ELc85ELb1ELb0E19rocblas_complex_numIdEPKS1_S3_PS1_EviT_T9_T10_S5_lS7_S5_lS6_T11_S5_li, .Lfunc_end115-_ZL29rocblas_internal_gemmt_kernelIiLi16ELi32ELi8ELc67ELc84ELc85ELb1ELb0E19rocblas_complex_numIdEPKS1_S3_PS1_EviT_T9_T10_S5_lS7_S5_lS6_T11_S5_li
                                        ; -- End function
	.set _ZL29rocblas_internal_gemmt_kernelIiLi16ELi32ELi8ELc67ELc84ELc85ELb1ELb0E19rocblas_complex_numIdEPKS1_S3_PS1_EviT_T9_T10_S5_lS7_S5_lS6_T11_S5_li.num_vgpr, 62
	.set _ZL29rocblas_internal_gemmt_kernelIiLi16ELi32ELi8ELc67ELc84ELc85ELb1ELb0E19rocblas_complex_numIdEPKS1_S3_PS1_EviT_T9_T10_S5_lS7_S5_lS6_T11_S5_li.num_agpr, 0
	.set _ZL29rocblas_internal_gemmt_kernelIiLi16ELi32ELi8ELc67ELc84ELc85ELb1ELb0E19rocblas_complex_numIdEPKS1_S3_PS1_EviT_T9_T10_S5_lS7_S5_lS6_T11_S5_li.numbered_sgpr, 36
	.set _ZL29rocblas_internal_gemmt_kernelIiLi16ELi32ELi8ELc67ELc84ELc85ELb1ELb0E19rocblas_complex_numIdEPKS1_S3_PS1_EviT_T9_T10_S5_lS7_S5_lS6_T11_S5_li.num_named_barrier, 0
	.set _ZL29rocblas_internal_gemmt_kernelIiLi16ELi32ELi8ELc67ELc84ELc85ELb1ELb0E19rocblas_complex_numIdEPKS1_S3_PS1_EviT_T9_T10_S5_lS7_S5_lS6_T11_S5_li.private_seg_size, 0
	.set _ZL29rocblas_internal_gemmt_kernelIiLi16ELi32ELi8ELc67ELc84ELc85ELb1ELb0E19rocblas_complex_numIdEPKS1_S3_PS1_EviT_T9_T10_S5_lS7_S5_lS6_T11_S5_li.uses_vcc, 1
	.set _ZL29rocblas_internal_gemmt_kernelIiLi16ELi32ELi8ELc67ELc84ELc85ELb1ELb0E19rocblas_complex_numIdEPKS1_S3_PS1_EviT_T9_T10_S5_lS7_S5_lS6_T11_S5_li.uses_flat_scratch, 0
	.set _ZL29rocblas_internal_gemmt_kernelIiLi16ELi32ELi8ELc67ELc84ELc85ELb1ELb0E19rocblas_complex_numIdEPKS1_S3_PS1_EviT_T9_T10_S5_lS7_S5_lS6_T11_S5_li.has_dyn_sized_stack, 0
	.set _ZL29rocblas_internal_gemmt_kernelIiLi16ELi32ELi8ELc67ELc84ELc85ELb1ELb0E19rocblas_complex_numIdEPKS1_S3_PS1_EviT_T9_T10_S5_lS7_S5_lS6_T11_S5_li.has_recursion, 0
	.set _ZL29rocblas_internal_gemmt_kernelIiLi16ELi32ELi8ELc67ELc84ELc85ELb1ELb0E19rocblas_complex_numIdEPKS1_S3_PS1_EviT_T9_T10_S5_lS7_S5_lS6_T11_S5_li.has_indirect_call, 0
	.section	.AMDGPU.csdata,"",@progbits
; Kernel info:
; codeLenInByte = 3136
; TotalNumSgprs: 42
; NumVgprs: 62
; NumAgprs: 0
; TotalNumVgprs: 62
; ScratchSize: 0
; MemoryBound: 1
; FloatMode: 240
; IeeeMode: 1
; LDSByteSize: 8192 bytes/workgroup (compile time only)
; SGPRBlocks: 5
; VGPRBlocks: 7
; NumSGPRsForWavesPerEU: 42
; NumVGPRsForWavesPerEU: 62
; AccumOffset: 64
; Occupancy: 8
; WaveLimiterHint : 0
; COMPUTE_PGM_RSRC2:SCRATCH_EN: 0
; COMPUTE_PGM_RSRC2:USER_SGPR: 2
; COMPUTE_PGM_RSRC2:TRAP_HANDLER: 0
; COMPUTE_PGM_RSRC2:TGID_X_EN: 1
; COMPUTE_PGM_RSRC2:TGID_Y_EN: 1
; COMPUTE_PGM_RSRC2:TGID_Z_EN: 1
; COMPUTE_PGM_RSRC2:TIDIG_COMP_CNT: 1
; COMPUTE_PGM_RSRC3_GFX90A:ACCUM_OFFSET: 15
; COMPUTE_PGM_RSRC3_GFX90A:TG_SPLIT: 0
	.section	.text._ZL29rocblas_internal_gemmt_kernelIiLi16ELi32ELi8ELc67ELc67ELc85ELb1ELb1E19rocblas_complex_numIdEPKS1_S3_PS1_EviT_T9_T10_S5_lS7_S5_lS6_T11_S5_li,"axG",@progbits,_ZL29rocblas_internal_gemmt_kernelIiLi16ELi32ELi8ELc67ELc67ELc85ELb1ELb1E19rocblas_complex_numIdEPKS1_S3_PS1_EviT_T9_T10_S5_lS7_S5_lS6_T11_S5_li,comdat
	.globl	_ZL29rocblas_internal_gemmt_kernelIiLi16ELi32ELi8ELc67ELc67ELc85ELb1ELb1E19rocblas_complex_numIdEPKS1_S3_PS1_EviT_T9_T10_S5_lS7_S5_lS6_T11_S5_li ; -- Begin function _ZL29rocblas_internal_gemmt_kernelIiLi16ELi32ELi8ELc67ELc67ELc85ELb1ELb1E19rocblas_complex_numIdEPKS1_S3_PS1_EviT_T9_T10_S5_lS7_S5_lS6_T11_S5_li
	.p2align	8
	.type	_ZL29rocblas_internal_gemmt_kernelIiLi16ELi32ELi8ELc67ELc67ELc85ELb1ELb1E19rocblas_complex_numIdEPKS1_S3_PS1_EviT_T9_T10_S5_lS7_S5_lS6_T11_S5_li,@function
_ZL29rocblas_internal_gemmt_kernelIiLi16ELi32ELi8ELc67ELc67ELc85ELb1ELb1E19rocblas_complex_numIdEPKS1_S3_PS1_EviT_T9_T10_S5_lS7_S5_lS6_T11_S5_li: ; @_ZL29rocblas_internal_gemmt_kernelIiLi16ELi32ELi8ELc67ELc67ELc85ELb1ELb1E19rocblas_complex_numIdEPKS1_S3_PS1_EviT_T9_T10_S5_lS7_S5_lS6_T11_S5_li
; %bb.0:
	s_load_dwordx4 s[16:19], s[0:1], 0x38
	s_load_dwordx4 s[20:23], s[0:1], 0x8
	s_mov_b64 s[6:7], 0
	s_waitcnt lgkmcnt(0)
	s_load_dwordx4 s[8:11], s[18:19], 0x0
	s_load_dwordx2 s[28:29], s[0:1], 0x0
	s_load_dwordx4 s[12:15], s[20:21], 0x0
	s_waitcnt lgkmcnt(0)
	v_cmp_eq_f64_e64 s[20:21], s[8:9], 1.0
	v_cmp_eq_f64_e64 s[18:19], s[10:11], 0
	s_and_b64 s[20:21], s[20:21], s[18:19]
	s_andn2_b64 vcc, exec, s[20:21]
	s_mov_b64 s[20:21], -1
	s_cbranch_vccnz .LBB116_4
; %bb.1:
	s_cmp_lg_u32 s29, 0
	s_cbranch_scc0 .LBB116_3
; %bb.2:
	v_cmp_neq_f64_e64 s[6:7], s[12:13], 0
	v_cmp_neq_f64_e64 s[20:21], s[14:15], 0
	s_or_b64 s[6:7], s[6:7], s[20:21]
.LBB116_3:
	s_mov_b64 s[20:21], s[6:7]
.LBB116_4:
	s_and_b64 vcc, exec, s[20:21]
	s_cbranch_vccz .LBB116_28
; %bb.5:
	s_lshl_b32 s5, s2, 5
	s_lshl_b32 s30, s3, 5
	v_cmp_eq_f64_e64 s[2:3], s[12:13], 0
	v_cmp_eq_f64_e64 s[6:7], s[14:15], 0
	s_load_dwordx2 s[20:21], s[0:1], 0x48
	s_and_b64 s[2:3], s[2:3], s[6:7]
	s_cmp_lt_i32 s29, 1
	s_cselect_b64 s[6:7], -1, 0
	s_or_b64 s[2:3], s[2:3], s[6:7]
	v_and_b32_e32 v25, 0x3ff, v0
	v_bfe_u32 v24, v0, 10, 10
	s_mov_b32 s31, 0
	v_mov_b64_e32 v[20:21], 0
	s_and_b64 vcc, exec, s[2:3]
	v_mov_b64_e32 v[22:23], 0
	v_mov_b64_e32 v[16:17], 0
	;; [unrolled: 1-line block ×7, first 2 shown]
	s_cbranch_vccnz .LBB116_12
; %bb.6:
	v_lshl_add_u32 v1, v24, 4, v25
	v_and_b32_e32 v3, 31, v1
	s_load_dword s33, s[0:1], 0x18
	s_load_dword s6, s[0:1], 0x30
	s_load_dwordx4 s[24:27], s[0:1], 0x20
	v_lshrrev_b32_e32 v27, 5, v1
	v_lshrrev_b32_e32 v2, 3, v1
	v_or_b32_e32 v1, s5, v3
	v_and_b32_e32 v26, 7, v25
	v_cmp_gt_i32_e32 vcc, s28, v1
	v_lshlrev_b32_e32 v1, 4, v3
	v_lshl_or_b32 v28, v27, 9, v1
	v_lshlrev_b32_e32 v1, 4, v26
	v_add_u32_e32 v0, s30, v2
	v_lshl_or_b32 v1, v2, 7, v1
	v_mov_b32_e32 v2, 0x1000
	v_lshl_add_u32 v31, v24, 7, v2
	v_add_u32_e32 v2, s5, v3
	s_waitcnt lgkmcnt(0)
	v_mad_i64_i32 v[2:3], s[34:35], s33, v2, 0
	s_mul_i32 s25, s25, s4
	s_mul_hi_u32 s33, s24, s4
	s_add_i32 s25, s33, s25
	s_mul_i32 s24, s24, s4
	s_lshl_b64 s[24:25], s[24:25], 4
	v_lshl_add_u64 v[2:3], v[2:3], 4, s[24:25]
	v_lshlrev_b32_e32 v4, 4, v27
	v_mov_b32_e32 v5, 0
	v_lshl_add_u64 v[2:3], v[2:3], 0, v[4:5]
	v_lshl_add_u64 v[2:3], s[22:23], 0, v[2:3]
	s_mul_i32 s17, s17, s4
	s_mul_hi_u32 s22, s16, s4
	v_lshl_add_u64 v[4:5], v[2:3], 0, 8
	s_add_i32 s17, s22, s17
	v_mad_i64_i32 v[2:3], s[22:23], s6, v26, 0
	s_mul_i32 s16, s16, s4
	v_lshlrev_b64 v[2:3], 4, v[2:3]
	v_add_u32_e32 v29, 0x1000, v1
	v_ashrrev_i32_e32 v1, 31, v0
	v_lshl_add_u64 v[2:3], s[16:17], 4, v[2:3]
	v_cmp_gt_i32_e64 s[2:3], s28, v0
	v_lshl_add_u64 v[0:1], v[0:1], 4, v[2:3]
	s_ashr_i32 s7, s6, 31
	v_lshl_add_u64 v[0:1], s[26:27], 0, v[0:1]
	v_lshlrev_b32_e32 v30, 4, v25
	v_lshl_add_u64 v[6:7], v[0:1], 0, 8
	s_lshl_b64 s[16:17], s[6:7], 7
	v_mov_b64_e32 v[8:9], 0
	s_mov_b64 s[22:23], 0x80
	v_mov_b64_e32 v[10:11], 0
	v_mov_b64_e32 v[14:15], 0
	;; [unrolled: 1-line block ×7, first 2 shown]
	s_branch .LBB116_8
.LBB116_7:                              ;   in Loop: Header=BB116_8 Depth=1
	s_or_b64 exec, exec, s[6:7]
	ds_write_b128 v29, v[0:3]
	s_waitcnt lgkmcnt(0)
	s_barrier
	ds_read_b128 v[0:3], v30
	ds_read_b128 v[32:35], v31
	ds_read_b128 v[36:39], v31 offset:16
	ds_read_b128 v[40:43], v31 offset:32
	;; [unrolled: 1-line block ×4, first 2 shown]
	s_waitcnt lgkmcnt(4)
	v_mul_f64 v[52:53], v[34:35], v[2:3]
	v_fma_f64 v[52:53], v[32:33], v[0:1], -v[52:53]
	v_mul_f64 v[54:55], v[32:33], v[2:3]
	v_fmac_f64_e32 v[54:55], v[34:35], v[0:1]
	v_add_f64 v[52:53], v[20:21], v[52:53]
	s_waitcnt lgkmcnt(0)
	v_mul_f64 v[20:21], v[34:35], v[50:51]
	v_add_f64 v[54:55], v[54:55], v[22:23]
	v_fma_f64 v[56:57], v[32:33], v[48:49], -v[20:21]
	ds_read_b128 v[20:23], v31 offset:2048
	v_mul_f64 v[32:33], v[32:33], v[50:51]
	v_fmac_f64_e32 v[32:33], v[34:35], v[48:49]
	v_add_f64 v[34:35], v[16:17], v[56:57]
	v_add_f64 v[32:33], v[32:33], v[18:19]
	ds_read_b128 v[16:19], v31 offset:2064
	s_waitcnt lgkmcnt(1)
	v_mul_f64 v[56:57], v[22:23], v[2:3]
	v_mul_f64 v[2:3], v[20:21], v[2:3]
	v_fma_f64 v[56:57], v[20:21], v[0:1], -v[56:57]
	v_fmac_f64_e32 v[2:3], v[22:23], v[0:1]
	v_mul_f64 v[0:1], v[22:23], v[50:51]
	v_add_f64 v[12:13], v[12:13], v[56:57]
	v_add_f64 v[14:15], v[2:3], v[14:15]
	v_fma_f64 v[56:57], v[20:21], v[48:49], -v[0:1]
	v_mul_f64 v[20:21], v[20:21], v[50:51]
	ds_read_b128 v[0:3], v30 offset:512
	v_fmac_f64_e32 v[20:21], v[22:23], v[48:49]
	v_add_f64 v[22:23], v[10:11], v[56:57]
	v_add_f64 v[20:21], v[20:21], v[8:9]
	ds_read_b128 v[8:11], v30 offset:768
	s_waitcnt lgkmcnt(1)
	v_mul_f64 v[48:49], v[38:39], v[2:3]
	v_fma_f64 v[48:49], v[36:37], v[0:1], -v[48:49]
	v_add_f64 v[48:49], v[52:53], v[48:49]
	v_mul_f64 v[50:51], v[36:37], v[2:3]
	s_waitcnt lgkmcnt(0)
	v_mul_f64 v[52:53], v[38:39], v[10:11]
	v_fma_f64 v[52:53], v[36:37], v[8:9], -v[52:53]
	v_mul_f64 v[36:37], v[36:37], v[10:11]
	v_fmac_f64_e32 v[36:37], v[38:39], v[8:9]
	v_add_f64 v[32:33], v[36:37], v[32:33]
	v_mul_f64 v[36:37], v[18:19], v[2:3]
	v_mul_f64 v[2:3], v[16:17], v[2:3]
	v_fmac_f64_e32 v[50:51], v[38:39], v[0:1]
	v_fma_f64 v[36:37], v[16:17], v[0:1], -v[36:37]
	v_fmac_f64_e32 v[2:3], v[18:19], v[0:1]
	v_mul_f64 v[0:1], v[18:19], v[10:11]
	v_add_f64 v[36:37], v[12:13], v[36:37]
	v_add_f64 v[38:39], v[2:3], v[14:15]
	v_fma_f64 v[12:13], v[16:17], v[8:9], -v[0:1]
	v_mul_f64 v[10:11], v[16:17], v[10:11]
	ds_read_b128 v[0:3], v30 offset:1024
	v_fmac_f64_e32 v[10:11], v[18:19], v[8:9]
	v_add_f64 v[20:21], v[10:11], v[20:21]
	ds_read_b128 v[8:11], v30 offset:1280
	v_add_f64 v[22:23], v[22:23], v[12:13]
	s_waitcnt lgkmcnt(1)
	v_mul_f64 v[12:13], v[42:43], v[2:3]
	v_fma_f64 v[12:13], v[40:41], v[0:1], -v[12:13]
	v_mul_f64 v[14:15], v[40:41], v[2:3]
	v_add_f64 v[50:51], v[50:51], v[54:55]
	v_fmac_f64_e32 v[14:15], v[42:43], v[0:1]
	v_add_f64 v[48:49], v[48:49], v[12:13]
	s_waitcnt lgkmcnt(0)
	v_mul_f64 v[12:13], v[42:43], v[10:11]
	v_add_f64 v[50:51], v[14:15], v[50:51]
	v_fma_f64 v[16:17], v[40:41], v[8:9], -v[12:13]
	ds_read_b128 v[12:15], v31 offset:2080
	v_mul_f64 v[18:19], v[40:41], v[10:11]
	v_add_f64 v[34:35], v[34:35], v[52:53]
	v_fmac_f64_e32 v[18:19], v[42:43], v[8:9]
	v_add_f64 v[34:35], v[34:35], v[16:17]
	v_add_f64 v[32:33], v[18:19], v[32:33]
	ds_read_b128 v[16:19], v31 offset:2096
	s_waitcnt lgkmcnt(1)
	v_mul_f64 v[40:41], v[14:15], v[2:3]
	v_mul_f64 v[2:3], v[12:13], v[2:3]
	v_fma_f64 v[40:41], v[12:13], v[0:1], -v[40:41]
	v_fmac_f64_e32 v[2:3], v[14:15], v[0:1]
	v_mul_f64 v[0:1], v[14:15], v[10:11]
	v_mul_f64 v[10:11], v[12:13], v[10:11]
	v_fmac_f64_e32 v[10:11], v[14:15], v[8:9]
	v_add_f64 v[36:37], v[36:37], v[40:41]
	v_add_f64 v[38:39], v[2:3], v[38:39]
	v_fma_f64 v[40:41], v[12:13], v[8:9], -v[0:1]
	ds_read_b128 v[0:3], v30 offset:1536
	v_add_f64 v[14:15], v[10:11], v[20:21]
	ds_read_b128 v[8:11], v30 offset:1792
	v_add_f64 v[12:13], v[22:23], v[40:41]
	s_add_i32 s31, s31, 8
	s_waitcnt lgkmcnt(1)
	v_mul_f64 v[20:21], v[46:47], v[2:3]
	v_mul_f64 v[22:23], v[44:45], v[2:3]
	s_waitcnt lgkmcnt(0)
	v_mul_f64 v[40:41], v[46:47], v[10:11]
	v_fma_f64 v[40:41], v[44:45], v[8:9], -v[40:41]
	v_add_f64 v[34:35], v[34:35], v[40:41]
	v_mul_f64 v[40:41], v[18:19], v[2:3]
	v_mul_f64 v[2:3], v[16:17], v[2:3]
	v_fma_f64 v[20:21], v[44:45], v[0:1], -v[20:21]
	v_fmac_f64_e32 v[22:23], v[46:47], v[0:1]
	v_fma_f64 v[40:41], v[16:17], v[0:1], -v[40:41]
	v_fmac_f64_e32 v[2:3], v[18:19], v[0:1]
	v_mul_f64 v[0:1], v[18:19], v[10:11]
	v_mul_f64 v[42:43], v[44:45], v[10:11]
	v_add_f64 v[36:37], v[36:37], v[40:41]
	v_fma_f64 v[40:41], v[16:17], v[8:9], -v[0:1]
	v_mul_f64 v[16:17], v[16:17], v[10:11]
	v_fmac_f64_e32 v[42:43], v[46:47], v[8:9]
	v_add_f64 v[38:39], v[2:3], v[38:39]
	v_fmac_f64_e32 v[16:17], v[18:19], v[8:9]
	ds_read_b128 v[0:3], v31 offset:64
	ds_read_b128 v[8:11], v30 offset:2048
	v_add_f64 v[32:33], v[42:43], v[32:33]
	v_add_f64 v[40:41], v[12:13], v[40:41]
	v_add_f64 v[42:43], v[16:17], v[14:15]
	ds_read_b128 v[12:15], v30 offset:2304
	ds_read_b128 v[16:19], v31 offset:80
	s_waitcnt lgkmcnt(2)
	v_mul_f64 v[44:45], v[2:3], v[10:11]
	v_add_f64 v[20:21], v[48:49], v[20:21]
	v_fma_f64 v[44:45], v[0:1], v[8:9], -v[44:45]
	v_mul_f64 v[46:47], v[0:1], v[10:11]
	v_add_f64 v[22:23], v[22:23], v[50:51]
	v_fmac_f64_e32 v[46:47], v[2:3], v[8:9]
	v_add_f64 v[44:45], v[20:21], v[44:45]
	s_waitcnt lgkmcnt(1)
	v_mul_f64 v[20:21], v[2:3], v[14:15]
	v_add_f64 v[46:47], v[46:47], v[22:23]
	v_fma_f64 v[48:49], v[0:1], v[12:13], -v[20:21]
	ds_read_b128 v[20:23], v31 offset:2112
	v_mul_f64 v[0:1], v[0:1], v[14:15]
	v_fmac_f64_e32 v[0:1], v[2:3], v[12:13]
	v_add_f64 v[34:35], v[34:35], v[48:49]
	v_add_f64 v[32:33], v[0:1], v[32:33]
	ds_read_b128 v[0:3], v31 offset:2128
	s_waitcnt lgkmcnt(1)
	v_mul_f64 v[48:49], v[22:23], v[10:11]
	v_mul_f64 v[10:11], v[20:21], v[10:11]
	v_fma_f64 v[48:49], v[20:21], v[8:9], -v[48:49]
	v_fmac_f64_e32 v[10:11], v[22:23], v[8:9]
	v_mul_f64 v[8:9], v[22:23], v[14:15]
	v_add_f64 v[36:37], v[36:37], v[48:49]
	v_add_f64 v[38:39], v[10:11], v[38:39]
	v_fma_f64 v[48:49], v[20:21], v[12:13], -v[8:9]
	v_mul_f64 v[14:15], v[20:21], v[14:15]
	ds_read_b128 v[8:11], v30 offset:2560
	v_fmac_f64_e32 v[14:15], v[22:23], v[12:13]
	v_add_f64 v[22:23], v[14:15], v[42:43]
	ds_read_b128 v[12:15], v30 offset:2816
	v_add_f64 v[20:21], v[40:41], v[48:49]
	s_waitcnt lgkmcnt(1)
	v_mul_f64 v[40:41], v[18:19], v[10:11]
	v_fma_f64 v[40:41], v[16:17], v[8:9], -v[40:41]
	v_add_f64 v[40:41], v[44:45], v[40:41]
	s_waitcnt lgkmcnt(0)
	v_mul_f64 v[44:45], v[18:19], v[14:15]
	v_mul_f64 v[42:43], v[16:17], v[10:11]
	v_fma_f64 v[44:45], v[16:17], v[12:13], -v[44:45]
	v_mul_f64 v[16:17], v[16:17], v[14:15]
	v_fmac_f64_e32 v[16:17], v[18:19], v[12:13]
	v_add_f64 v[32:33], v[16:17], v[32:33]
	v_mul_f64 v[16:17], v[2:3], v[10:11]
	v_mul_f64 v[10:11], v[0:1], v[10:11]
	v_fmac_f64_e32 v[42:43], v[18:19], v[8:9]
	v_fma_f64 v[16:17], v[0:1], v[8:9], -v[16:17]
	v_fmac_f64_e32 v[10:11], v[2:3], v[8:9]
	v_mul_f64 v[8:9], v[2:3], v[14:15]
	v_mul_f64 v[14:15], v[0:1], v[14:15]
	v_add_f64 v[36:37], v[36:37], v[16:17]
	v_add_f64 v[38:39], v[10:11], v[38:39]
	v_fma_f64 v[16:17], v[0:1], v[12:13], -v[8:9]
	v_fmac_f64_e32 v[14:15], v[2:3], v[12:13]
	ds_read_b128 v[0:3], v31 offset:96
	ds_read_b128 v[8:11], v30 offset:3072
	v_add_f64 v[42:43], v[42:43], v[46:47]
	v_add_f64 v[34:35], v[34:35], v[44:45]
	v_add_f64 v[44:45], v[20:21], v[16:17]
	v_add_f64 v[46:47], v[14:15], v[22:23]
	ds_read_b128 v[12:15], v30 offset:3328
	ds_read_b128 v[16:19], v31 offset:112
	s_waitcnt lgkmcnt(2)
	v_mul_f64 v[20:21], v[2:3], v[10:11]
	v_fma_f64 v[20:21], v[0:1], v[8:9], -v[20:21]
	v_mul_f64 v[22:23], v[0:1], v[10:11]
	v_fmac_f64_e32 v[22:23], v[2:3], v[8:9]
	v_add_f64 v[40:41], v[40:41], v[20:21]
	s_waitcnt lgkmcnt(1)
	v_mul_f64 v[20:21], v[2:3], v[14:15]
	v_add_f64 v[42:43], v[22:23], v[42:43]
	v_fma_f64 v[48:49], v[0:1], v[12:13], -v[20:21]
	ds_read_b128 v[20:23], v31 offset:2144
	v_mul_f64 v[0:1], v[0:1], v[14:15]
	v_fmac_f64_e32 v[0:1], v[2:3], v[12:13]
	v_add_f64 v[50:51], v[0:1], v[32:33]
	ds_read_b128 v[0:3], v31 offset:2160
	s_waitcnt lgkmcnt(1)
	v_mul_f64 v[32:33], v[22:23], v[10:11]
	v_mul_f64 v[10:11], v[20:21], v[10:11]
	v_fma_f64 v[32:33], v[20:21], v[8:9], -v[32:33]
	v_fmac_f64_e32 v[10:11], v[22:23], v[8:9]
	v_mul_f64 v[8:9], v[22:23], v[14:15]
	v_add_f64 v[36:37], v[36:37], v[32:33]
	v_add_f64 v[38:39], v[10:11], v[38:39]
	v_fma_f64 v[32:33], v[20:21], v[12:13], -v[8:9]
	ds_read_b128 v[8:11], v30 offset:3584
	v_add_f64 v[48:49], v[34:35], v[48:49]
	v_add_f64 v[44:45], v[44:45], v[32:33]
	ds_read_b128 v[32:35], v30 offset:3840
	v_mul_f64 v[14:15], v[20:21], v[14:15]
	v_fmac_f64_e32 v[14:15], v[22:23], v[12:13]
	s_waitcnt lgkmcnt(1)
	v_mul_f64 v[12:13], v[18:19], v[10:11]
	v_fma_f64 v[12:13], v[16:17], v[8:9], -v[12:13]
	v_add_f64 v[46:47], v[14:15], v[46:47]
	v_mul_f64 v[14:15], v[16:17], v[10:11]
	v_add_f64 v[20:21], v[40:41], v[12:13]
	s_waitcnt lgkmcnt(0)
	v_mul_f64 v[12:13], v[18:19], v[34:35]
	v_fmac_f64_e32 v[14:15], v[18:19], v[8:9]
	v_fma_f64 v[12:13], v[16:17], v[32:33], -v[12:13]
	v_add_f64 v[22:23], v[14:15], v[42:43]
	v_mul_f64 v[14:15], v[16:17], v[34:35]
	v_add_f64 v[16:17], v[48:49], v[12:13]
	v_mul_f64 v[12:13], v[2:3], v[10:11]
	v_mul_f64 v[10:11], v[0:1], v[10:11]
	v_fma_f64 v[12:13], v[0:1], v[8:9], -v[12:13]
	v_fmac_f64_e32 v[10:11], v[2:3], v[8:9]
	v_mul_f64 v[8:9], v[2:3], v[34:35]
	v_fma_f64 v[8:9], v[0:1], v[32:33], -v[8:9]
	v_mul_f64 v[0:1], v[0:1], v[34:35]
	v_fmac_f64_e32 v[14:15], v[18:19], v[32:33]
	v_fmac_f64_e32 v[0:1], v[2:3], v[32:33]
	v_add_f64 v[18:19], v[14:15], v[50:51]
	v_add_f64 v[12:13], v[36:37], v[12:13]
	;; [unrolled: 1-line block ×5, first 2 shown]
	v_lshl_add_u64 v[4:5], v[4:5], 0, s[22:23]
	s_cmp_lt_i32 s31, s29
	v_lshl_add_u64 v[6:7], v[6:7], 0, s[16:17]
	s_barrier
	s_cbranch_scc0 .LBB116_12
.LBB116_8:                              ; =>This Inner Loop Header: Depth=1
	v_add_u32_e32 v0, s31, v27
	v_cmp_gt_i32_e64 s[6:7], s29, v0
	s_and_b64 s[24:25], vcc, s[6:7]
	v_mov_b64_e32 v[0:1], 0
	v_mov_b64_e32 v[2:3], 0
	s_and_saveexec_b64 s[6:7], s[24:25]
	s_cbranch_execz .LBB116_10
; %bb.9:                                ;   in Loop: Header=BB116_8 Depth=1
	global_load_dwordx4 v[0:3], v[4:5], off offset:-8
	s_waitcnt vmcnt(0)
	v_xor_b32_e32 v3, 0x80000000, v3
.LBB116_10:                             ;   in Loop: Header=BB116_8 Depth=1
	s_or_b64 exec, exec, s[6:7]
	ds_write_b128 v28, v[0:3]
	v_add_u32_e32 v0, s31, v26
	v_cmp_gt_i32_e64 s[6:7], s29, v0
	s_and_b64 s[24:25], s[6:7], s[2:3]
	v_mov_b64_e32 v[0:1], 0
	v_mov_b64_e32 v[2:3], 0
	s_and_saveexec_b64 s[6:7], s[24:25]
	s_cbranch_execz .LBB116_7
; %bb.11:                               ;   in Loop: Header=BB116_8 Depth=1
	global_load_dwordx4 v[0:3], v[6:7], off offset:-8
	s_waitcnt vmcnt(0)
	v_xor_b32_e32 v3, 0x80000000, v3
	s_branch .LBB116_7
.LBB116_12:
	s_load_dwordx2 s[2:3], s[0:1], 0x58
	s_load_dword s16, s[0:1], 0x50
	v_add_u32_e32 v4, s5, v25
	v_add_u32_e32 v26, s30, v24
	v_cmp_le_i32_e32 vcc, v4, v26
	s_waitcnt lgkmcnt(0)
	s_mul_i32 s1, s3, s4
	s_mul_hi_u32 s3, s2, s4
	s_mul_i32 s0, s2, s4
	s_add_i32 s1, s3, s1
	s_lshl_b64 s[0:1], s[0:1], 4
	s_add_u32 s4, s20, s0
	s_addc_u32 s5, s21, s1
	v_cmp_neq_f64_e64 s[0:1], s[8:9], 0
	s_xor_b64 s[6:7], s[18:19], -1
	v_mad_i64_i32 v[0:1], s[18:19], v26, s16, 0
	s_or_b64 s[0:1], s[0:1], s[6:7]
	v_cmp_gt_i32_e64 s[2:3], s28, v26
	v_lshl_add_u64 v[24:25], v[0:1], 4, s[4:5]
	v_cndmask_b32_e64 v0, 0, 1, s[0:1]
	s_and_b64 s[18:19], s[2:3], vcc
	v_ashrrev_i32_e32 v5, 31, v4
	v_cmp_ne_u32_e64 s[0:1], 1, v0
	s_and_saveexec_b64 s[6:7], s[18:19]
	s_cbranch_execz .LBB116_16
; %bb.13:
	v_mul_f64 v[0:1], s[14:15], v[22:23]
	v_mul_f64 v[2:3], s[12:13], v[22:23]
	v_fma_f64 v[0:1], s[12:13], v[20:21], -v[0:1]
	v_fmac_f64_e32 v[2:3], s[14:15], v[20:21]
	s_and_b64 vcc, exec, s[0:1]
	v_lshl_add_u64 v[6:7], v[4:5], 4, v[24:25]
	s_cbranch_vccnz .LBB116_15
; %bb.14:
	global_load_dwordx4 v[20:23], v[6:7], off
	s_waitcnt vmcnt(0)
	v_mul_f64 v[28:29], s[10:11], v[22:23]
	v_mul_f64 v[22:23], s[8:9], v[22:23]
	v_fma_f64 v[28:29], s[8:9], v[20:21], -v[28:29]
	v_fmac_f64_e32 v[22:23], s[10:11], v[20:21]
	v_add_f64 v[0:1], v[0:1], v[28:29]
	v_add_f64 v[2:3], v[2:3], v[22:23]
.LBB116_15:
	global_store_dwordx4 v[6:7], v[0:3], off
.LBB116_16:
	s_or_b64 exec, exec, s[6:7]
	v_add_u32_e32 v6, 16, v4
	v_cmp_le_i32_e32 vcc, v6, v26
	s_and_b64 s[6:7], s[2:3], vcc
	v_ashrrev_i32_e32 v7, 31, v6
	s_and_saveexec_b64 s[2:3], s[6:7]
	s_cbranch_execz .LBB116_20
; %bb.17:
	v_mul_f64 v[0:1], s[14:15], v[18:19]
	v_mul_f64 v[2:3], s[12:13], v[18:19]
	v_fma_f64 v[0:1], s[12:13], v[16:17], -v[0:1]
	v_fmac_f64_e32 v[2:3], s[14:15], v[16:17]
	s_and_b64 vcc, exec, s[0:1]
	v_lshl_add_u64 v[16:17], v[6:7], 4, v[24:25]
	s_cbranch_vccnz .LBB116_19
; %bb.18:
	global_load_dwordx4 v[18:21], v[16:17], off
	s_waitcnt vmcnt(0)
	v_mul_f64 v[22:23], s[10:11], v[20:21]
	v_mul_f64 v[20:21], s[8:9], v[20:21]
	v_fma_f64 v[22:23], s[8:9], v[18:19], -v[22:23]
	v_fmac_f64_e32 v[20:21], s[10:11], v[18:19]
	v_add_f64 v[0:1], v[0:1], v[22:23]
	v_add_f64 v[2:3], v[2:3], v[20:21]
.LBB116_19:
	global_store_dwordx4 v[16:17], v[0:3], off
.LBB116_20:
	s_or_b64 exec, exec, s[2:3]
	v_add_u32_e32 v18, 16, v26
	v_cmp_gt_i32_e64 s[2:3], s28, v18
	v_mad_i64_i32 v[0:1], s[6:7], v18, s16, 0
	v_cmp_le_i32_e32 vcc, v4, v18
	v_lshl_add_u64 v[16:17], v[0:1], 4, s[4:5]
	s_and_b64 s[6:7], s[2:3], vcc
	s_and_saveexec_b64 s[4:5], s[6:7]
	s_cbranch_execz .LBB116_24
; %bb.21:
	v_mul_f64 v[0:1], s[14:15], v[14:15]
	v_mul_f64 v[2:3], s[12:13], v[14:15]
	v_fma_f64 v[0:1], s[12:13], v[12:13], -v[0:1]
	v_fmac_f64_e32 v[2:3], s[14:15], v[12:13]
	s_and_b64 vcc, exec, s[0:1]
	v_lshl_add_u64 v[4:5], v[4:5], 4, v[16:17]
	s_cbranch_vccnz .LBB116_23
; %bb.22:
	global_load_dwordx4 v[12:15], v[4:5], off
	s_waitcnt vmcnt(0)
	v_mul_f64 v[20:21], s[10:11], v[14:15]
	v_mul_f64 v[14:15], s[8:9], v[14:15]
	v_fma_f64 v[20:21], s[8:9], v[12:13], -v[20:21]
	v_fmac_f64_e32 v[14:15], s[10:11], v[12:13]
	v_add_f64 v[0:1], v[0:1], v[20:21]
	v_add_f64 v[2:3], v[2:3], v[14:15]
.LBB116_23:
	global_store_dwordx4 v[4:5], v[0:3], off
.LBB116_24:
	s_or_b64 exec, exec, s[4:5]
	v_cmp_le_i32_e32 vcc, v6, v18
	s_and_b64 s[2:3], s[2:3], vcc
	s_and_saveexec_b64 s[4:5], s[2:3]
	s_cbranch_execz .LBB116_28
; %bb.25:
	v_mul_f64 v[0:1], s[14:15], v[8:9]
	v_mul_f64 v[2:3], s[12:13], v[8:9]
	v_fma_f64 v[0:1], s[12:13], v[10:11], -v[0:1]
	v_fmac_f64_e32 v[2:3], s[14:15], v[10:11]
	s_and_b64 vcc, exec, s[0:1]
	v_lshl_add_u64 v[4:5], v[6:7], 4, v[16:17]
	s_cbranch_vccnz .LBB116_27
; %bb.26:
	global_load_dwordx4 v[6:9], v[4:5], off
	s_waitcnt vmcnt(0)
	v_mul_f64 v[10:11], s[10:11], v[8:9]
	v_mul_f64 v[8:9], s[8:9], v[8:9]
	v_fma_f64 v[10:11], s[8:9], v[6:7], -v[10:11]
	v_fmac_f64_e32 v[8:9], s[10:11], v[6:7]
	v_add_f64 v[0:1], v[0:1], v[10:11]
	v_add_f64 v[2:3], v[2:3], v[8:9]
.LBB116_27:
	global_store_dwordx4 v[4:5], v[0:3], off
.LBB116_28:
	s_endpgm
	.section	.rodata,"a",@progbits
	.p2align	6, 0x0
	.amdhsa_kernel _ZL29rocblas_internal_gemmt_kernelIiLi16ELi32ELi8ELc67ELc67ELc85ELb1ELb1E19rocblas_complex_numIdEPKS1_S3_PS1_EviT_T9_T10_S5_lS7_S5_lS6_T11_S5_li
		.amdhsa_group_segment_fixed_size 8192
		.amdhsa_private_segment_fixed_size 0
		.amdhsa_kernarg_size 100
		.amdhsa_user_sgpr_count 2
		.amdhsa_user_sgpr_dispatch_ptr 0
		.amdhsa_user_sgpr_queue_ptr 0
		.amdhsa_user_sgpr_kernarg_segment_ptr 1
		.amdhsa_user_sgpr_dispatch_id 0
		.amdhsa_user_sgpr_kernarg_preload_length 0
		.amdhsa_user_sgpr_kernarg_preload_offset 0
		.amdhsa_user_sgpr_private_segment_size 0
		.amdhsa_uses_dynamic_stack 0
		.amdhsa_enable_private_segment 0
		.amdhsa_system_sgpr_workgroup_id_x 1
		.amdhsa_system_sgpr_workgroup_id_y 1
		.amdhsa_system_sgpr_workgroup_id_z 1
		.amdhsa_system_sgpr_workgroup_info 0
		.amdhsa_system_vgpr_workitem_id 1
		.amdhsa_next_free_vgpr 58
		.amdhsa_next_free_sgpr 36
		.amdhsa_accum_offset 60
		.amdhsa_reserve_vcc 1
		.amdhsa_float_round_mode_32 0
		.amdhsa_float_round_mode_16_64 0
		.amdhsa_float_denorm_mode_32 3
		.amdhsa_float_denorm_mode_16_64 3
		.amdhsa_dx10_clamp 1
		.amdhsa_ieee_mode 1
		.amdhsa_fp16_overflow 0
		.amdhsa_tg_split 0
		.amdhsa_exception_fp_ieee_invalid_op 0
		.amdhsa_exception_fp_denorm_src 0
		.amdhsa_exception_fp_ieee_div_zero 0
		.amdhsa_exception_fp_ieee_overflow 0
		.amdhsa_exception_fp_ieee_underflow 0
		.amdhsa_exception_fp_ieee_inexact 0
		.amdhsa_exception_int_div_zero 0
	.end_amdhsa_kernel
	.section	.text._ZL29rocblas_internal_gemmt_kernelIiLi16ELi32ELi8ELc67ELc67ELc85ELb1ELb1E19rocblas_complex_numIdEPKS1_S3_PS1_EviT_T9_T10_S5_lS7_S5_lS6_T11_S5_li,"axG",@progbits,_ZL29rocblas_internal_gemmt_kernelIiLi16ELi32ELi8ELc67ELc67ELc85ELb1ELb1E19rocblas_complex_numIdEPKS1_S3_PS1_EviT_T9_T10_S5_lS7_S5_lS6_T11_S5_li,comdat
.Lfunc_end116:
	.size	_ZL29rocblas_internal_gemmt_kernelIiLi16ELi32ELi8ELc67ELc67ELc85ELb1ELb1E19rocblas_complex_numIdEPKS1_S3_PS1_EviT_T9_T10_S5_lS7_S5_lS6_T11_S5_li, .Lfunc_end116-_ZL29rocblas_internal_gemmt_kernelIiLi16ELi32ELi8ELc67ELc67ELc85ELb1ELb1E19rocblas_complex_numIdEPKS1_S3_PS1_EviT_T9_T10_S5_lS7_S5_lS6_T11_S5_li
                                        ; -- End function
	.set _ZL29rocblas_internal_gemmt_kernelIiLi16ELi32ELi8ELc67ELc67ELc85ELb1ELb1E19rocblas_complex_numIdEPKS1_S3_PS1_EviT_T9_T10_S5_lS7_S5_lS6_T11_S5_li.num_vgpr, 58
	.set _ZL29rocblas_internal_gemmt_kernelIiLi16ELi32ELi8ELc67ELc67ELc85ELb1ELb1E19rocblas_complex_numIdEPKS1_S3_PS1_EviT_T9_T10_S5_lS7_S5_lS6_T11_S5_li.num_agpr, 0
	.set _ZL29rocblas_internal_gemmt_kernelIiLi16ELi32ELi8ELc67ELc67ELc85ELb1ELb1E19rocblas_complex_numIdEPKS1_S3_PS1_EviT_T9_T10_S5_lS7_S5_lS6_T11_S5_li.numbered_sgpr, 36
	.set _ZL29rocblas_internal_gemmt_kernelIiLi16ELi32ELi8ELc67ELc67ELc85ELb1ELb1E19rocblas_complex_numIdEPKS1_S3_PS1_EviT_T9_T10_S5_lS7_S5_lS6_T11_S5_li.num_named_barrier, 0
	.set _ZL29rocblas_internal_gemmt_kernelIiLi16ELi32ELi8ELc67ELc67ELc85ELb1ELb1E19rocblas_complex_numIdEPKS1_S3_PS1_EviT_T9_T10_S5_lS7_S5_lS6_T11_S5_li.private_seg_size, 0
	.set _ZL29rocblas_internal_gemmt_kernelIiLi16ELi32ELi8ELc67ELc67ELc85ELb1ELb1E19rocblas_complex_numIdEPKS1_S3_PS1_EviT_T9_T10_S5_lS7_S5_lS6_T11_S5_li.uses_vcc, 1
	.set _ZL29rocblas_internal_gemmt_kernelIiLi16ELi32ELi8ELc67ELc67ELc85ELb1ELb1E19rocblas_complex_numIdEPKS1_S3_PS1_EviT_T9_T10_S5_lS7_S5_lS6_T11_S5_li.uses_flat_scratch, 0
	.set _ZL29rocblas_internal_gemmt_kernelIiLi16ELi32ELi8ELc67ELc67ELc85ELb1ELb1E19rocblas_complex_numIdEPKS1_S3_PS1_EviT_T9_T10_S5_lS7_S5_lS6_T11_S5_li.has_dyn_sized_stack, 0
	.set _ZL29rocblas_internal_gemmt_kernelIiLi16ELi32ELi8ELc67ELc67ELc85ELb1ELb1E19rocblas_complex_numIdEPKS1_S3_PS1_EviT_T9_T10_S5_lS7_S5_lS6_T11_S5_li.has_recursion, 0
	.set _ZL29rocblas_internal_gemmt_kernelIiLi16ELi32ELi8ELc67ELc67ELc85ELb1ELb1E19rocblas_complex_numIdEPKS1_S3_PS1_EviT_T9_T10_S5_lS7_S5_lS6_T11_S5_li.has_indirect_call, 0
	.section	.AMDGPU.csdata,"",@progbits
; Kernel info:
; codeLenInByte = 3128
; TotalNumSgprs: 42
; NumVgprs: 58
; NumAgprs: 0
; TotalNumVgprs: 58
; ScratchSize: 0
; MemoryBound: 1
; FloatMode: 240
; IeeeMode: 1
; LDSByteSize: 8192 bytes/workgroup (compile time only)
; SGPRBlocks: 5
; VGPRBlocks: 7
; NumSGPRsForWavesPerEU: 42
; NumVGPRsForWavesPerEU: 58
; AccumOffset: 60
; Occupancy: 8
; WaveLimiterHint : 0
; COMPUTE_PGM_RSRC2:SCRATCH_EN: 0
; COMPUTE_PGM_RSRC2:USER_SGPR: 2
; COMPUTE_PGM_RSRC2:TRAP_HANDLER: 0
; COMPUTE_PGM_RSRC2:TGID_X_EN: 1
; COMPUTE_PGM_RSRC2:TGID_Y_EN: 1
; COMPUTE_PGM_RSRC2:TGID_Z_EN: 1
; COMPUTE_PGM_RSRC2:TIDIG_COMP_CNT: 1
; COMPUTE_PGM_RSRC3_GFX90A:ACCUM_OFFSET: 14
; COMPUTE_PGM_RSRC3_GFX90A:TG_SPLIT: 0
	.section	.text._ZL29rocblas_internal_gemmt_kernelIiLi16ELi32ELi8ELc78ELc78ELc76ELb0ELb0E19rocblas_complex_numIdEPKS1_S3_PS1_EviT_T9_T10_S5_lS7_S5_lS6_T11_S5_li,"axG",@progbits,_ZL29rocblas_internal_gemmt_kernelIiLi16ELi32ELi8ELc78ELc78ELc76ELb0ELb0E19rocblas_complex_numIdEPKS1_S3_PS1_EviT_T9_T10_S5_lS7_S5_lS6_T11_S5_li,comdat
	.globl	_ZL29rocblas_internal_gemmt_kernelIiLi16ELi32ELi8ELc78ELc78ELc76ELb0ELb0E19rocblas_complex_numIdEPKS1_S3_PS1_EviT_T9_T10_S5_lS7_S5_lS6_T11_S5_li ; -- Begin function _ZL29rocblas_internal_gemmt_kernelIiLi16ELi32ELi8ELc78ELc78ELc76ELb0ELb0E19rocblas_complex_numIdEPKS1_S3_PS1_EviT_T9_T10_S5_lS7_S5_lS6_T11_S5_li
	.p2align	8
	.type	_ZL29rocblas_internal_gemmt_kernelIiLi16ELi32ELi8ELc78ELc78ELc76ELb0ELb0E19rocblas_complex_numIdEPKS1_S3_PS1_EviT_T9_T10_S5_lS7_S5_lS6_T11_S5_li,@function
_ZL29rocblas_internal_gemmt_kernelIiLi16ELi32ELi8ELc78ELc78ELc76ELb0ELb0E19rocblas_complex_numIdEPKS1_S3_PS1_EviT_T9_T10_S5_lS7_S5_lS6_T11_S5_li: ; @_ZL29rocblas_internal_gemmt_kernelIiLi16ELi32ELi8ELc78ELc78ELc76ELb0ELb0E19rocblas_complex_numIdEPKS1_S3_PS1_EviT_T9_T10_S5_lS7_S5_lS6_T11_S5_li
; %bb.0:
	s_load_dwordx4 s[16:19], s[0:1], 0x38
	s_load_dwordx4 s[20:23], s[0:1], 0x8
	s_mov_b64 s[24:25], 0
	s_waitcnt lgkmcnt(0)
	s_load_dwordx4 s[8:11], s[18:19], 0x0
	s_load_dwordx2 s[6:7], s[0:1], 0x0
	s_load_dwordx4 s[12:15], s[20:21], 0x0
	s_waitcnt lgkmcnt(0)
	v_cmp_eq_f64_e64 s[20:21], s[8:9], 1.0
	v_cmp_eq_f64_e64 s[18:19], s[10:11], 0
	s_and_b64 s[20:21], s[20:21], s[18:19]
	s_andn2_b64 vcc, exec, s[20:21]
	s_mov_b64 s[20:21], -1
	s_cbranch_vccnz .LBB117_4
; %bb.1:
	s_cmp_lg_u32 s7, 0
	s_cbranch_scc0 .LBB117_3
; %bb.2:
	v_cmp_neq_f64_e64 s[20:21], s[12:13], 0
	v_cmp_neq_f64_e64 s[24:25], s[14:15], 0
	s_or_b64 s[24:25], s[20:21], s[24:25]
.LBB117_3:
	s_mov_b64 s[20:21], s[24:25]
.LBB117_4:
	s_and_b64 vcc, exec, s[20:21]
	s_cbranch_vccz .LBB117_32
; %bb.5:
	s_lshl_b32 s28, s2, 5
	s_lshl_b32 s5, s3, 5
	v_cmp_eq_f64_e64 s[2:3], s[12:13], 0
	v_cmp_eq_f64_e64 s[24:25], s[14:15], 0
	s_load_dwordx2 s[20:21], s[0:1], 0x48
	s_and_b64 s[2:3], s[2:3], s[24:25]
	s_cmp_lt_i32 s7, 1
	s_cselect_b64 s[24:25], -1, 0
	s_or_b64 s[2:3], s[2:3], s[24:25]
	v_and_b32_e32 v25, 0x3ff, v0
	v_bfe_u32 v24, v0, 10, 10
	s_mov_b32 s29, 0
	v_mov_b64_e32 v[20:21], 0
	s_and_b64 vcc, exec, s[2:3]
	v_mov_b64_e32 v[22:23], 0
	v_mov_b64_e32 v[16:17], 0
	;; [unrolled: 1-line block ×7, first 2 shown]
	s_cbranch_vccnz .LBB117_16
; %bb.6:
	s_load_dword s30, s[0:1], 0x18
	s_load_dwordx4 s[24:27], s[0:1], 0x20
	s_load_dword s33, s[0:1], 0x30
	v_lshl_add_u32 v0, v24, 4, v25
	v_lshrrev_b32_e32 v27, 5, v0
	v_and_b32_e32 v4, 31, v0
	s_waitcnt lgkmcnt(0)
	v_mad_i64_i32 v[2:3], s[34:35], v27, s30, 0
	s_mul_i32 s25, s25, s4
	s_mul_hi_u32 s34, s24, s4
	v_lshrrev_b32_e32 v1, 3, v0
	v_or_b32_e32 v0, s28, v4
	s_add_i32 s25, s34, s25
	s_mul_i32 s24, s24, s4
	v_cmp_gt_i32_e32 vcc, s6, v0
	v_lshlrev_b32_e32 v0, 4, v4
	s_lshl_b64 s[24:25], s[24:25], 4
	v_add_u32_e32 v4, s28, v4
	v_lshl_add_u64 v[2:3], v[2:3], 4, s[24:25]
	v_ashrrev_i32_e32 v5, 31, v4
	v_add_u32_e32 v6, s5, v1
	v_lshl_add_u64 v[2:3], v[4:5], 4, v[2:3]
	v_and_b32_e32 v26, 7, v25
	v_lshl_add_u64 v[4:5], s[22:23], 0, v[2:3]
	v_mad_i64_i32 v[2:3], s[24:25], s33, v6, 0
	v_lshl_or_b32 v28, v27, 9, v0
	v_lshlrev_b32_e32 v0, 4, v26
	s_mul_i32 s17, s17, s4
	s_mul_hi_u32 s24, s16, s4
	v_lshl_or_b32 v1, v1, 7, v0
	s_add_i32 s17, s24, s17
	s_mul_i32 s16, s16, s4
	v_add_u32_e32 v29, 0x1000, v1
	v_mov_b32_e32 v1, 0x1000
	s_lshl_b64 s[16:17], s[16:17], 4
	v_lshl_add_u32 v31, v24, 7, v1
	v_lshl_add_u64 v[2:3], v[2:3], 4, s[16:17]
	v_mov_b32_e32 v1, 0
	s_ashr_i32 s31, s30, 31
	v_cmp_gt_i32_e64 s[2:3], s6, v6
	v_lshl_add_u64 v[2:3], v[2:3], 0, v[0:1]
	v_lshlrev_b32_e32 v30, 4, v25
	s_lshl_b64 s[22:23], s[30:31], 7
	v_lshl_add_u64 v[6:7], s[26:27], 0, v[2:3]
	v_mov_b64_e32 v[8:9], 0
	s_xor_b64 s[16:17], vcc, -1
	s_xor_b64 s[2:3], s[2:3], -1
	s_mov_b64 s[24:25], 0x80
	v_mov_b32_e32 v0, v1
	v_mov_b32_e32 v2, v1
	;; [unrolled: 1-line block ×3, first 2 shown]
	v_mov_b64_e32 v[10:11], 0
	v_mov_b64_e32 v[14:15], 0
	;; [unrolled: 1-line block ×7, first 2 shown]
	s_branch .LBB117_8
.LBB117_7:                              ;   in Loop: Header=BB117_8 Depth=1
	s_or_b64 exec, exec, s[26:27]
	s_waitcnt lgkmcnt(0)
	s_barrier
	ds_read_b128 v[32:35], v30
	ds_read_b128 v[36:39], v31
	ds_read_b128 v[40:43], v31 offset:16
	ds_read_b128 v[44:47], v31 offset:32
	ds_read_b128 v[48:51], v31 offset:48
	ds_read_b128 v[52:55], v30 offset:256
	s_waitcnt lgkmcnt(4)
	v_mul_f64 v[56:57], v[38:39], v[34:35]
	v_fma_f64 v[56:57], v[36:37], v[32:33], -v[56:57]
	v_mul_f64 v[58:59], v[36:37], v[34:35]
	v_fmac_f64_e32 v[58:59], v[38:39], v[32:33]
	v_add_f64 v[56:57], v[20:21], v[56:57]
	s_waitcnt lgkmcnt(0)
	v_mul_f64 v[20:21], v[38:39], v[54:55]
	v_add_f64 v[58:59], v[58:59], v[22:23]
	v_fma_f64 v[60:61], v[36:37], v[52:53], -v[20:21]
	ds_read_b128 v[20:23], v31 offset:2048
	v_mul_f64 v[36:37], v[36:37], v[54:55]
	v_fmac_f64_e32 v[36:37], v[38:39], v[52:53]
	v_add_f64 v[38:39], v[16:17], v[60:61]
	v_add_f64 v[36:37], v[36:37], v[18:19]
	ds_read_b128 v[16:19], v31 offset:2064
	s_waitcnt lgkmcnt(1)
	v_mul_f64 v[60:61], v[22:23], v[34:35]
	v_fma_f64 v[60:61], v[20:21], v[32:33], -v[60:61]
	v_mul_f64 v[34:35], v[20:21], v[34:35]
	v_fmac_f64_e32 v[34:35], v[22:23], v[32:33]
	v_add_f64 v[32:33], v[12:13], v[60:61]
	v_mul_f64 v[12:13], v[22:23], v[54:55]
	v_add_f64 v[34:35], v[34:35], v[14:15]
	v_fma_f64 v[60:61], v[20:21], v[52:53], -v[12:13]
	v_mul_f64 v[20:21], v[20:21], v[54:55]
	ds_read_b128 v[12:15], v30 offset:512
	v_fmac_f64_e32 v[20:21], v[22:23], v[52:53]
	v_add_f64 v[22:23], v[10:11], v[60:61]
	v_add_f64 v[20:21], v[20:21], v[8:9]
	ds_read_b128 v[8:11], v30 offset:768
	s_waitcnt lgkmcnt(1)
	v_mul_f64 v[52:53], v[42:43], v[14:15]
	v_fma_f64 v[52:53], v[40:41], v[12:13], -v[52:53]
	v_add_f64 v[52:53], v[56:57], v[52:53]
	v_mul_f64 v[54:55], v[40:41], v[14:15]
	s_waitcnt lgkmcnt(0)
	v_mul_f64 v[56:57], v[42:43], v[10:11]
	v_fma_f64 v[56:57], v[40:41], v[8:9], -v[56:57]
	v_mul_f64 v[40:41], v[40:41], v[10:11]
	v_fmac_f64_e32 v[40:41], v[42:43], v[8:9]
	v_add_f64 v[36:37], v[40:41], v[36:37]
	v_mul_f64 v[40:41], v[18:19], v[14:15]
	v_mul_f64 v[14:15], v[16:17], v[14:15]
	v_fmac_f64_e32 v[54:55], v[42:43], v[12:13]
	v_fma_f64 v[40:41], v[16:17], v[12:13], -v[40:41]
	v_fmac_f64_e32 v[14:15], v[18:19], v[12:13]
	v_mul_f64 v[12:13], v[18:19], v[10:11]
	v_add_f64 v[42:43], v[14:15], v[34:35]
	v_fma_f64 v[14:15], v[16:17], v[8:9], -v[12:13]
	v_mul_f64 v[16:17], v[16:17], v[10:11]
	ds_read_b128 v[10:13], v30 offset:1024
	v_fmac_f64_e32 v[16:17], v[18:19], v[8:9]
	v_add_f64 v[38:39], v[38:39], v[56:57]
	v_add_f64 v[22:23], v[22:23], v[14:15]
	;; [unrolled: 1-line block ×3, first 2 shown]
	ds_read_b128 v[14:17], v30 offset:1280
	s_waitcnt lgkmcnt(1)
	v_mul_f64 v[18:19], v[44:45], v[12:13]
	v_add_f64 v[54:55], v[54:55], v[58:59]
	v_fmac_f64_e32 v[18:19], v[46:47], v[10:11]
	v_add_f64 v[54:55], v[18:19], v[54:55]
	ds_read_b128 v[18:21], v31 offset:2080
	v_mul_f64 v[8:9], v[46:47], v[12:13]
	v_fma_f64 v[8:9], v[44:45], v[10:11], -v[8:9]
	v_add_f64 v[40:41], v[32:33], v[40:41]
	v_add_f64 v[52:53], v[52:53], v[8:9]
	s_waitcnt lgkmcnt(1)
	v_mul_f64 v[8:9], v[46:47], v[16:17]
	v_mul_f64 v[32:33], v[44:45], v[16:17]
	v_fma_f64 v[8:9], v[44:45], v[14:15], -v[8:9]
	v_fmac_f64_e32 v[32:33], v[46:47], v[14:15]
	v_add_f64 v[38:39], v[38:39], v[8:9]
	v_add_f64 v[36:37], v[32:33], v[36:37]
	ds_read_b128 v[32:35], v31 offset:2096
	s_waitcnt lgkmcnt(1)
	v_mul_f64 v[8:9], v[20:21], v[12:13]
	v_fma_f64 v[8:9], v[18:19], v[10:11], -v[8:9]
	v_mul_f64 v[12:13], v[18:19], v[12:13]
	v_fmac_f64_e32 v[12:13], v[20:21], v[10:11]
	v_add_f64 v[40:41], v[40:41], v[8:9]
	v_mul_f64 v[8:9], v[20:21], v[16:17]
	v_add_f64 v[42:43], v[12:13], v[42:43]
	v_fma_f64 v[12:13], v[18:19], v[14:15], -v[8:9]
	ds_read_b128 v[8:11], v30 offset:1536
	v_mul_f64 v[16:17], v[18:19], v[16:17]
	v_fmac_f64_e32 v[16:17], v[20:21], v[14:15]
	v_add_f64 v[18:19], v[22:23], v[12:13]
	ds_read_b128 v[12:15], v30 offset:1792
	s_waitcnt lgkmcnt(1)
	v_mul_f64 v[20:21], v[50:51], v[10:11]
	v_fma_f64 v[20:21], v[48:49], v[8:9], -v[20:21]
	v_mul_f64 v[22:23], v[48:49], v[10:11]
	v_fmac_f64_e32 v[22:23], v[50:51], v[8:9]
	v_add_f64 v[44:45], v[52:53], v[20:21]
	s_waitcnt lgkmcnt(0)
	v_mul_f64 v[20:21], v[50:51], v[14:15]
	v_add_f64 v[46:47], v[22:23], v[54:55]
	v_fma_f64 v[20:21], v[48:49], v[12:13], -v[20:21]
	v_mul_f64 v[22:23], v[48:49], v[14:15]
	v_fmac_f64_e32 v[22:23], v[50:51], v[12:13]
	v_add_f64 v[38:39], v[38:39], v[20:21]
	v_mul_f64 v[20:21], v[34:35], v[10:11]
	v_mul_f64 v[10:11], v[32:33], v[10:11]
	v_add_f64 v[36:37], v[22:23], v[36:37]
	v_fma_f64 v[20:21], v[32:33], v[8:9], -v[20:21]
	v_fmac_f64_e32 v[10:11], v[34:35], v[8:9]
	v_mul_f64 v[8:9], v[34:35], v[14:15]
	v_mul_f64 v[22:23], v[32:33], v[14:15]
	v_add_f64 v[40:41], v[40:41], v[20:21]
	v_add_f64 v[42:43], v[10:11], v[42:43]
	v_fma_f64 v[20:21], v[32:33], v[12:13], -v[8:9]
	v_fmac_f64_e32 v[22:23], v[34:35], v[12:13]
	ds_read_b128 v[8:11], v31 offset:64
	ds_read_b128 v[12:15], v30 offset:2048
	v_add_f64 v[16:17], v[16:17], v[56:57]
	v_add_f64 v[48:49], v[18:19], v[20:21]
	v_add_f64 v[50:51], v[22:23], v[16:17]
	ds_read_b128 v[16:19], v30 offset:2304
	ds_read_b128 v[20:23], v31 offset:80
	s_waitcnt lgkmcnt(2)
	v_mul_f64 v[32:33], v[10:11], v[14:15]
	v_fma_f64 v[32:33], v[8:9], v[12:13], -v[32:33]
	v_mul_f64 v[34:35], v[8:9], v[14:15]
	v_fmac_f64_e32 v[34:35], v[10:11], v[12:13]
	v_add_f64 v[44:45], v[44:45], v[32:33]
	s_waitcnt lgkmcnt(1)
	v_mul_f64 v[32:33], v[10:11], v[18:19]
	v_add_f64 v[46:47], v[34:35], v[46:47]
	v_fma_f64 v[52:53], v[8:9], v[16:17], -v[32:33]
	ds_read_b128 v[32:35], v31 offset:2112
	v_mul_f64 v[8:9], v[8:9], v[18:19]
	v_fmac_f64_e32 v[8:9], v[10:11], v[16:17]
	v_add_f64 v[38:39], v[38:39], v[52:53]
	v_add_f64 v[36:37], v[8:9], v[36:37]
	ds_read_b128 v[8:11], v31 offset:2128
	s_waitcnt lgkmcnt(1)
	v_mul_f64 v[52:53], v[34:35], v[14:15]
	v_mul_f64 v[14:15], v[32:33], v[14:15]
	v_fma_f64 v[52:53], v[32:33], v[12:13], -v[52:53]
	v_fmac_f64_e32 v[14:15], v[34:35], v[12:13]
	v_mul_f64 v[12:13], v[34:35], v[18:19]
	v_add_f64 v[40:41], v[40:41], v[52:53]
	v_add_f64 v[42:43], v[14:15], v[42:43]
	v_fma_f64 v[52:53], v[32:33], v[16:17], -v[12:13]
	v_mul_f64 v[18:19], v[32:33], v[18:19]
	ds_read_b128 v[12:15], v30 offset:2560
	v_fmac_f64_e32 v[18:19], v[34:35], v[16:17]
	v_add_f64 v[34:35], v[18:19], v[50:51]
	ds_read_b128 v[16:19], v30 offset:2816
	v_add_f64 v[32:33], v[48:49], v[52:53]
	s_waitcnt lgkmcnt(1)
	v_mul_f64 v[48:49], v[22:23], v[14:15]
	v_fma_f64 v[48:49], v[20:21], v[12:13], -v[48:49]
	v_add_f64 v[44:45], v[44:45], v[48:49]
	s_waitcnt lgkmcnt(0)
	v_mul_f64 v[48:49], v[22:23], v[18:19]
	v_mul_f64 v[50:51], v[20:21], v[14:15]
	v_fma_f64 v[48:49], v[20:21], v[16:17], -v[48:49]
	v_mul_f64 v[20:21], v[20:21], v[18:19]
	v_fmac_f64_e32 v[20:21], v[22:23], v[16:17]
	v_add_f64 v[36:37], v[20:21], v[36:37]
	v_mul_f64 v[20:21], v[10:11], v[14:15]
	v_mul_f64 v[14:15], v[8:9], v[14:15]
	v_fmac_f64_e32 v[50:51], v[22:23], v[12:13]
	v_fma_f64 v[20:21], v[8:9], v[12:13], -v[20:21]
	v_fmac_f64_e32 v[14:15], v[10:11], v[12:13]
	v_mul_f64 v[12:13], v[10:11], v[18:19]
	v_mul_f64 v[18:19], v[8:9], v[18:19]
	v_add_f64 v[40:41], v[40:41], v[20:21]
	v_add_f64 v[42:43], v[14:15], v[42:43]
	v_fma_f64 v[20:21], v[8:9], v[16:17], -v[12:13]
	v_fmac_f64_e32 v[18:19], v[10:11], v[16:17]
	ds_read_b128 v[8:11], v31 offset:96
	ds_read_b128 v[12:15], v30 offset:3072
	v_add_f64 v[46:47], v[50:51], v[46:47]
	v_add_f64 v[38:39], v[38:39], v[48:49]
	;; [unrolled: 1-line block ×4, first 2 shown]
	ds_read_b128 v[16:19], v30 offset:3328
	ds_read_b128 v[32:35], v31 offset:112
	s_waitcnt lgkmcnt(2)
	v_mul_f64 v[20:21], v[10:11], v[14:15]
	v_fma_f64 v[20:21], v[8:9], v[12:13], -v[20:21]
	v_mul_f64 v[22:23], v[8:9], v[14:15]
	v_fmac_f64_e32 v[22:23], v[10:11], v[12:13]
	v_add_f64 v[44:45], v[44:45], v[20:21]
	s_waitcnt lgkmcnt(1)
	v_mul_f64 v[20:21], v[10:11], v[18:19]
	v_add_f64 v[46:47], v[22:23], v[46:47]
	v_fma_f64 v[52:53], v[8:9], v[16:17], -v[20:21]
	ds_read_b128 v[20:23], v31 offset:2144
	v_mul_f64 v[8:9], v[8:9], v[18:19]
	v_fmac_f64_e32 v[8:9], v[10:11], v[16:17]
	v_add_f64 v[54:55], v[8:9], v[36:37]
	ds_read_b128 v[8:11], v31 offset:2160
	s_waitcnt lgkmcnt(1)
	v_mul_f64 v[36:37], v[22:23], v[14:15]
	v_mul_f64 v[14:15], v[20:21], v[14:15]
	v_fma_f64 v[36:37], v[20:21], v[12:13], -v[36:37]
	v_fmac_f64_e32 v[14:15], v[22:23], v[12:13]
	v_mul_f64 v[12:13], v[22:23], v[18:19]
	v_add_f64 v[40:41], v[40:41], v[36:37]
	v_add_f64 v[42:43], v[14:15], v[42:43]
	v_fma_f64 v[36:37], v[20:21], v[16:17], -v[12:13]
	ds_read_b128 v[12:15], v30 offset:3584
	v_add_f64 v[52:53], v[38:39], v[52:53]
	v_add_f64 v[48:49], v[48:49], v[36:37]
	ds_read_b128 v[36:39], v30 offset:3840
	v_mul_f64 v[18:19], v[20:21], v[18:19]
	v_fmac_f64_e32 v[18:19], v[22:23], v[16:17]
	s_waitcnt lgkmcnt(1)
	v_mul_f64 v[16:17], v[34:35], v[14:15]
	v_add_f64 v[50:51], v[18:19], v[50:51]
	v_fma_f64 v[16:17], v[32:33], v[12:13], -v[16:17]
	v_mul_f64 v[18:19], v[32:33], v[14:15]
	v_fmac_f64_e32 v[18:19], v[34:35], v[12:13]
	v_add_f64 v[20:21], v[44:45], v[16:17]
	s_waitcnt lgkmcnt(0)
	v_mul_f64 v[16:17], v[34:35], v[38:39]
	v_add_f64 v[22:23], v[18:19], v[46:47]
	v_fma_f64 v[16:17], v[32:33], v[36:37], -v[16:17]
	v_mul_f64 v[18:19], v[32:33], v[38:39]
	v_mul_f64 v[32:33], v[10:11], v[14:15]
	v_fma_f64 v[32:33], v[8:9], v[12:13], -v[32:33]
	v_mul_f64 v[14:15], v[8:9], v[14:15]
	v_fmac_f64_e32 v[14:15], v[10:11], v[12:13]
	v_add_f64 v[12:13], v[40:41], v[32:33]
	v_mul_f64 v[32:33], v[10:11], v[38:39]
	v_fma_f64 v[32:33], v[8:9], v[36:37], -v[32:33]
	v_mul_f64 v[8:9], v[8:9], v[38:39]
	v_fmac_f64_e32 v[18:19], v[34:35], v[36:37]
	v_fmac_f64_e32 v[8:9], v[10:11], v[36:37]
	s_add_i32 s29, s29, 8
	v_add_f64 v[16:17], v[52:53], v[16:17]
	v_add_f64 v[18:19], v[18:19], v[54:55]
	;; [unrolled: 1-line block ×5, first 2 shown]
	v_lshl_add_u64 v[4:5], v[4:5], 0, s[22:23]
	s_cmp_lt_i32 s29, s7
	v_lshl_add_u64 v[6:7], v[6:7], 0, s[24:25]
	s_barrier
	s_cbranch_scc0 .LBB117_16
.LBB117_8:                              ; =>This Inner Loop Header: Depth=1
	v_add_u32_e32 v32, s29, v27
	v_cmp_le_i32_e32 vcc, s7, v32
	s_or_b64 s[26:27], s[16:17], vcc
	s_and_saveexec_b64 s[30:31], s[26:27]
	s_xor_b64 s[26:27], exec, s[30:31]
; %bb.9:                                ;   in Loop: Header=BB117_8 Depth=1
	ds_write_b128 v28, v[0:3]
; %bb.10:                               ;   in Loop: Header=BB117_8 Depth=1
	s_andn2_saveexec_b64 s[26:27], s[26:27]
	s_cbranch_execz .LBB117_12
; %bb.11:                               ;   in Loop: Header=BB117_8 Depth=1
	global_load_dwordx4 v[32:35], v[4:5], off
	s_waitcnt vmcnt(0)
	ds_write2_b64 v28, v[32:33], v[34:35] offset1:1
.LBB117_12:                             ;   in Loop: Header=BB117_8 Depth=1
	s_or_b64 exec, exec, s[26:27]
	v_add_u32_e32 v32, s29, v26
	v_cmp_le_i32_e32 vcc, s7, v32
	s_or_b64 s[26:27], vcc, s[2:3]
	s_and_saveexec_b64 s[30:31], s[26:27]
	s_xor_b64 s[26:27], exec, s[30:31]
; %bb.13:                               ;   in Loop: Header=BB117_8 Depth=1
	ds_write_b128 v29, v[0:3]
; %bb.14:                               ;   in Loop: Header=BB117_8 Depth=1
	s_andn2_saveexec_b64 s[26:27], s[26:27]
	s_cbranch_execz .LBB117_7
; %bb.15:                               ;   in Loop: Header=BB117_8 Depth=1
	global_load_dwordx4 v[32:35], v[6:7], off
	s_waitcnt vmcnt(0)
	ds_write2_b64 v29, v[32:33], v[34:35] offset1:1
	s_branch .LBB117_7
.LBB117_16:
	s_load_dwordx2 s[2:3], s[0:1], 0x58
	s_load_dword s22, s[0:1], 0x50
	v_add_u32_e32 v26, s5, v24
	v_add_u32_e32 v4, s28, v25
	v_cmp_le_i32_e32 vcc, v26, v4
	s_waitcnt lgkmcnt(0)
	s_mul_i32 s1, s3, s4
	s_mul_hi_u32 s3, s2, s4
	s_mul_i32 s0, s2, s4
	s_add_i32 s1, s3, s1
	s_lshl_b64 s[0:1], s[0:1], 4
	s_add_u32 s16, s20, s0
	s_addc_u32 s17, s21, s1
	v_cmp_neq_f64_e64 s[0:1], s[8:9], 0
	s_xor_b64 s[4:5], s[18:19], -1
	v_mad_i64_i32 v[0:1], s[2:3], v26, s22, 0
	s_or_b64 s[0:1], s[0:1], s[4:5]
	v_lshl_add_u64 v[24:25], v[0:1], 4, s[16:17]
	v_cmp_gt_i32_e64 s[2:3], s6, v4
	v_cndmask_b32_e64 v0, 0, 1, s[0:1]
	s_and_b64 s[18:19], vcc, s[2:3]
	v_ashrrev_i32_e32 v5, 31, v4
	v_cmp_ne_u32_e64 s[0:1], 1, v0
	s_and_saveexec_b64 s[4:5], s[18:19]
	s_cbranch_execz .LBB117_20
; %bb.17:
	v_mul_f64 v[0:1], s[14:15], v[22:23]
	v_mul_f64 v[2:3], s[12:13], v[22:23]
	v_fma_f64 v[0:1], s[12:13], v[20:21], -v[0:1]
	v_fmac_f64_e32 v[2:3], s[14:15], v[20:21]
	s_and_b64 vcc, exec, s[0:1]
	v_lshl_add_u64 v[6:7], v[4:5], 4, v[24:25]
	s_cbranch_vccnz .LBB117_19
; %bb.18:
	global_load_dwordx4 v[20:23], v[6:7], off
	s_waitcnt vmcnt(0)
	v_mul_f64 v[28:29], s[10:11], v[22:23]
	v_mul_f64 v[22:23], s[8:9], v[22:23]
	v_fma_f64 v[28:29], s[8:9], v[20:21], -v[28:29]
	v_fmac_f64_e32 v[22:23], s[10:11], v[20:21]
	v_add_f64 v[0:1], v[0:1], v[28:29]
	v_add_f64 v[2:3], v[2:3], v[22:23]
.LBB117_19:
	global_store_dwordx4 v[6:7], v[0:3], off
.LBB117_20:
	s_or_b64 exec, exec, s[4:5]
	v_add_u32_e32 v6, 16, v4
	v_cmp_le_i32_e32 vcc, v26, v6
	v_cmp_gt_i32_e64 s[4:5], s6, v6
	s_and_b64 s[18:19], vcc, s[4:5]
	v_ashrrev_i32_e32 v7, 31, v6
	s_and_saveexec_b64 s[6:7], s[18:19]
	s_cbranch_execz .LBB117_24
; %bb.21:
	v_mul_f64 v[0:1], s[14:15], v[18:19]
	v_mul_f64 v[2:3], s[12:13], v[18:19]
	v_fma_f64 v[0:1], s[12:13], v[16:17], -v[0:1]
	v_fmac_f64_e32 v[2:3], s[14:15], v[16:17]
	s_and_b64 vcc, exec, s[0:1]
	v_lshl_add_u64 v[16:17], v[6:7], 4, v[24:25]
	s_cbranch_vccnz .LBB117_23
; %bb.22:
	global_load_dwordx4 v[18:21], v[16:17], off
	s_waitcnt vmcnt(0)
	v_mul_f64 v[22:23], s[10:11], v[20:21]
	v_mul_f64 v[20:21], s[8:9], v[20:21]
	v_fma_f64 v[22:23], s[8:9], v[18:19], -v[22:23]
	v_fmac_f64_e32 v[20:21], s[10:11], v[18:19]
	v_add_f64 v[0:1], v[0:1], v[22:23]
	v_add_f64 v[2:3], v[2:3], v[20:21]
.LBB117_23:
	global_store_dwordx4 v[16:17], v[0:3], off
.LBB117_24:
	s_or_b64 exec, exec, s[6:7]
	v_add_u32_e32 v18, 16, v26
	v_mad_i64_i32 v[0:1], s[6:7], v18, s22, 0
	v_cmp_le_i32_e32 vcc, v18, v4
	v_lshl_add_u64 v[16:17], v[0:1], 4, s[16:17]
	s_and_b64 s[6:7], vcc, s[2:3]
	s_and_saveexec_b64 s[2:3], s[6:7]
	s_cbranch_execz .LBB117_28
; %bb.25:
	v_mul_f64 v[0:1], s[14:15], v[14:15]
	v_mul_f64 v[2:3], s[12:13], v[14:15]
	v_fma_f64 v[0:1], s[12:13], v[12:13], -v[0:1]
	v_fmac_f64_e32 v[2:3], s[14:15], v[12:13]
	s_and_b64 vcc, exec, s[0:1]
	v_lshl_add_u64 v[4:5], v[4:5], 4, v[16:17]
	s_cbranch_vccnz .LBB117_27
; %bb.26:
	global_load_dwordx4 v[12:15], v[4:5], off
	s_waitcnt vmcnt(0)
	v_mul_f64 v[20:21], s[10:11], v[14:15]
	v_mul_f64 v[14:15], s[8:9], v[14:15]
	v_fma_f64 v[20:21], s[8:9], v[12:13], -v[20:21]
	v_fmac_f64_e32 v[14:15], s[10:11], v[12:13]
	v_add_f64 v[0:1], v[0:1], v[20:21]
	v_add_f64 v[2:3], v[2:3], v[14:15]
.LBB117_27:
	global_store_dwordx4 v[4:5], v[0:3], off
.LBB117_28:
	s_or_b64 exec, exec, s[2:3]
	v_cmp_le_i32_e32 vcc, v18, v6
	s_and_b64 s[2:3], vcc, s[4:5]
	s_and_saveexec_b64 s[4:5], s[2:3]
	s_cbranch_execz .LBB117_32
; %bb.29:
	v_mul_f64 v[0:1], s[14:15], v[8:9]
	v_mul_f64 v[2:3], s[12:13], v[8:9]
	v_fma_f64 v[0:1], s[12:13], v[10:11], -v[0:1]
	v_fmac_f64_e32 v[2:3], s[14:15], v[10:11]
	s_and_b64 vcc, exec, s[0:1]
	v_lshl_add_u64 v[4:5], v[6:7], 4, v[16:17]
	s_cbranch_vccnz .LBB117_31
; %bb.30:
	global_load_dwordx4 v[6:9], v[4:5], off
	s_waitcnt vmcnt(0)
	v_mul_f64 v[10:11], s[10:11], v[8:9]
	v_mul_f64 v[8:9], s[8:9], v[8:9]
	v_fma_f64 v[10:11], s[8:9], v[6:7], -v[10:11]
	v_fmac_f64_e32 v[8:9], s[10:11], v[6:7]
	v_add_f64 v[0:1], v[0:1], v[10:11]
	v_add_f64 v[2:3], v[2:3], v[8:9]
.LBB117_31:
	global_store_dwordx4 v[4:5], v[0:3], off
.LBB117_32:
	s_endpgm
	.section	.rodata,"a",@progbits
	.p2align	6, 0x0
	.amdhsa_kernel _ZL29rocblas_internal_gemmt_kernelIiLi16ELi32ELi8ELc78ELc78ELc76ELb0ELb0E19rocblas_complex_numIdEPKS1_S3_PS1_EviT_T9_T10_S5_lS7_S5_lS6_T11_S5_li
		.amdhsa_group_segment_fixed_size 8192
		.amdhsa_private_segment_fixed_size 0
		.amdhsa_kernarg_size 100
		.amdhsa_user_sgpr_count 2
		.amdhsa_user_sgpr_dispatch_ptr 0
		.amdhsa_user_sgpr_queue_ptr 0
		.amdhsa_user_sgpr_kernarg_segment_ptr 1
		.amdhsa_user_sgpr_dispatch_id 0
		.amdhsa_user_sgpr_kernarg_preload_length 0
		.amdhsa_user_sgpr_kernarg_preload_offset 0
		.amdhsa_user_sgpr_private_segment_size 0
		.amdhsa_uses_dynamic_stack 0
		.amdhsa_enable_private_segment 0
		.amdhsa_system_sgpr_workgroup_id_x 1
		.amdhsa_system_sgpr_workgroup_id_y 1
		.amdhsa_system_sgpr_workgroup_id_z 1
		.amdhsa_system_sgpr_workgroup_info 0
		.amdhsa_system_vgpr_workitem_id 1
		.amdhsa_next_free_vgpr 62
		.amdhsa_next_free_sgpr 36
		.amdhsa_accum_offset 64
		.amdhsa_reserve_vcc 1
		.amdhsa_float_round_mode_32 0
		.amdhsa_float_round_mode_16_64 0
		.amdhsa_float_denorm_mode_32 3
		.amdhsa_float_denorm_mode_16_64 3
		.amdhsa_dx10_clamp 1
		.amdhsa_ieee_mode 1
		.amdhsa_fp16_overflow 0
		.amdhsa_tg_split 0
		.amdhsa_exception_fp_ieee_invalid_op 0
		.amdhsa_exception_fp_denorm_src 0
		.amdhsa_exception_fp_ieee_div_zero 0
		.amdhsa_exception_fp_ieee_overflow 0
		.amdhsa_exception_fp_ieee_underflow 0
		.amdhsa_exception_fp_ieee_inexact 0
		.amdhsa_exception_int_div_zero 0
	.end_amdhsa_kernel
	.section	.text._ZL29rocblas_internal_gemmt_kernelIiLi16ELi32ELi8ELc78ELc78ELc76ELb0ELb0E19rocblas_complex_numIdEPKS1_S3_PS1_EviT_T9_T10_S5_lS7_S5_lS6_T11_S5_li,"axG",@progbits,_ZL29rocblas_internal_gemmt_kernelIiLi16ELi32ELi8ELc78ELc78ELc76ELb0ELb0E19rocblas_complex_numIdEPKS1_S3_PS1_EviT_T9_T10_S5_lS7_S5_lS6_T11_S5_li,comdat
.Lfunc_end117:
	.size	_ZL29rocblas_internal_gemmt_kernelIiLi16ELi32ELi8ELc78ELc78ELc76ELb0ELb0E19rocblas_complex_numIdEPKS1_S3_PS1_EviT_T9_T10_S5_lS7_S5_lS6_T11_S5_li, .Lfunc_end117-_ZL29rocblas_internal_gemmt_kernelIiLi16ELi32ELi8ELc78ELc78ELc76ELb0ELb0E19rocblas_complex_numIdEPKS1_S3_PS1_EviT_T9_T10_S5_lS7_S5_lS6_T11_S5_li
                                        ; -- End function
	.set _ZL29rocblas_internal_gemmt_kernelIiLi16ELi32ELi8ELc78ELc78ELc76ELb0ELb0E19rocblas_complex_numIdEPKS1_S3_PS1_EviT_T9_T10_S5_lS7_S5_lS6_T11_S5_li.num_vgpr, 62
	.set _ZL29rocblas_internal_gemmt_kernelIiLi16ELi32ELi8ELc78ELc78ELc76ELb0ELb0E19rocblas_complex_numIdEPKS1_S3_PS1_EviT_T9_T10_S5_lS7_S5_lS6_T11_S5_li.num_agpr, 0
	.set _ZL29rocblas_internal_gemmt_kernelIiLi16ELi32ELi8ELc78ELc78ELc76ELb0ELb0E19rocblas_complex_numIdEPKS1_S3_PS1_EviT_T9_T10_S5_lS7_S5_lS6_T11_S5_li.numbered_sgpr, 36
	.set _ZL29rocblas_internal_gemmt_kernelIiLi16ELi32ELi8ELc78ELc78ELc76ELb0ELb0E19rocblas_complex_numIdEPKS1_S3_PS1_EviT_T9_T10_S5_lS7_S5_lS6_T11_S5_li.num_named_barrier, 0
	.set _ZL29rocblas_internal_gemmt_kernelIiLi16ELi32ELi8ELc78ELc78ELc76ELb0ELb0E19rocblas_complex_numIdEPKS1_S3_PS1_EviT_T9_T10_S5_lS7_S5_lS6_T11_S5_li.private_seg_size, 0
	.set _ZL29rocblas_internal_gemmt_kernelIiLi16ELi32ELi8ELc78ELc78ELc76ELb0ELb0E19rocblas_complex_numIdEPKS1_S3_PS1_EviT_T9_T10_S5_lS7_S5_lS6_T11_S5_li.uses_vcc, 1
	.set _ZL29rocblas_internal_gemmt_kernelIiLi16ELi32ELi8ELc78ELc78ELc76ELb0ELb0E19rocblas_complex_numIdEPKS1_S3_PS1_EviT_T9_T10_S5_lS7_S5_lS6_T11_S5_li.uses_flat_scratch, 0
	.set _ZL29rocblas_internal_gemmt_kernelIiLi16ELi32ELi8ELc78ELc78ELc76ELb0ELb0E19rocblas_complex_numIdEPKS1_S3_PS1_EviT_T9_T10_S5_lS7_S5_lS6_T11_S5_li.has_dyn_sized_stack, 0
	.set _ZL29rocblas_internal_gemmt_kernelIiLi16ELi32ELi8ELc78ELc78ELc76ELb0ELb0E19rocblas_complex_numIdEPKS1_S3_PS1_EviT_T9_T10_S5_lS7_S5_lS6_T11_S5_li.has_recursion, 0
	.set _ZL29rocblas_internal_gemmt_kernelIiLi16ELi32ELi8ELc78ELc78ELc76ELb0ELb0E19rocblas_complex_numIdEPKS1_S3_PS1_EviT_T9_T10_S5_lS7_S5_lS6_T11_S5_li.has_indirect_call, 0
	.section	.AMDGPU.csdata,"",@progbits
; Kernel info:
; codeLenInByte = 3116
; TotalNumSgprs: 42
; NumVgprs: 62
; NumAgprs: 0
; TotalNumVgprs: 62
; ScratchSize: 0
; MemoryBound: 0
; FloatMode: 240
; IeeeMode: 1
; LDSByteSize: 8192 bytes/workgroup (compile time only)
; SGPRBlocks: 5
; VGPRBlocks: 7
; NumSGPRsForWavesPerEU: 42
; NumVGPRsForWavesPerEU: 62
; AccumOffset: 64
; Occupancy: 8
; WaveLimiterHint : 0
; COMPUTE_PGM_RSRC2:SCRATCH_EN: 0
; COMPUTE_PGM_RSRC2:USER_SGPR: 2
; COMPUTE_PGM_RSRC2:TRAP_HANDLER: 0
; COMPUTE_PGM_RSRC2:TGID_X_EN: 1
; COMPUTE_PGM_RSRC2:TGID_Y_EN: 1
; COMPUTE_PGM_RSRC2:TGID_Z_EN: 1
; COMPUTE_PGM_RSRC2:TIDIG_COMP_CNT: 1
; COMPUTE_PGM_RSRC3_GFX90A:ACCUM_OFFSET: 15
; COMPUTE_PGM_RSRC3_GFX90A:TG_SPLIT: 0
	.section	.text._ZL29rocblas_internal_gemmt_kernelIiLi16ELi32ELi8ELc78ELc84ELc76ELb0ELb0E19rocblas_complex_numIdEPKS1_S3_PS1_EviT_T9_T10_S5_lS7_S5_lS6_T11_S5_li,"axG",@progbits,_ZL29rocblas_internal_gemmt_kernelIiLi16ELi32ELi8ELc78ELc84ELc76ELb0ELb0E19rocblas_complex_numIdEPKS1_S3_PS1_EviT_T9_T10_S5_lS7_S5_lS6_T11_S5_li,comdat
	.globl	_ZL29rocblas_internal_gemmt_kernelIiLi16ELi32ELi8ELc78ELc84ELc76ELb0ELb0E19rocblas_complex_numIdEPKS1_S3_PS1_EviT_T9_T10_S5_lS7_S5_lS6_T11_S5_li ; -- Begin function _ZL29rocblas_internal_gemmt_kernelIiLi16ELi32ELi8ELc78ELc84ELc76ELb0ELb0E19rocblas_complex_numIdEPKS1_S3_PS1_EviT_T9_T10_S5_lS7_S5_lS6_T11_S5_li
	.p2align	8
	.type	_ZL29rocblas_internal_gemmt_kernelIiLi16ELi32ELi8ELc78ELc84ELc76ELb0ELb0E19rocblas_complex_numIdEPKS1_S3_PS1_EviT_T9_T10_S5_lS7_S5_lS6_T11_S5_li,@function
_ZL29rocblas_internal_gemmt_kernelIiLi16ELi32ELi8ELc78ELc84ELc76ELb0ELb0E19rocblas_complex_numIdEPKS1_S3_PS1_EviT_T9_T10_S5_lS7_S5_lS6_T11_S5_li: ; @_ZL29rocblas_internal_gemmt_kernelIiLi16ELi32ELi8ELc78ELc84ELc76ELb0ELb0E19rocblas_complex_numIdEPKS1_S3_PS1_EviT_T9_T10_S5_lS7_S5_lS6_T11_S5_li
; %bb.0:
	s_load_dwordx4 s[16:19], s[0:1], 0x38
	s_load_dwordx4 s[20:23], s[0:1], 0x8
	s_mov_b64 s[24:25], 0
	s_waitcnt lgkmcnt(0)
	s_load_dwordx4 s[8:11], s[18:19], 0x0
	s_load_dwordx2 s[6:7], s[0:1], 0x0
	s_load_dwordx4 s[12:15], s[20:21], 0x0
	s_waitcnt lgkmcnt(0)
	v_cmp_eq_f64_e64 s[20:21], s[8:9], 1.0
	v_cmp_eq_f64_e64 s[18:19], s[10:11], 0
	s_and_b64 s[20:21], s[20:21], s[18:19]
	s_andn2_b64 vcc, exec, s[20:21]
	s_mov_b64 s[20:21], -1
	s_cbranch_vccnz .LBB118_4
; %bb.1:
	s_cmp_lg_u32 s7, 0
	s_cbranch_scc0 .LBB118_3
; %bb.2:
	v_cmp_neq_f64_e64 s[20:21], s[12:13], 0
	v_cmp_neq_f64_e64 s[24:25], s[14:15], 0
	s_or_b64 s[24:25], s[20:21], s[24:25]
.LBB118_3:
	s_mov_b64 s[20:21], s[24:25]
.LBB118_4:
	s_and_b64 vcc, exec, s[20:21]
	s_cbranch_vccz .LBB118_32
; %bb.5:
	s_lshl_b32 s28, s2, 5
	s_lshl_b32 s5, s3, 5
	v_cmp_eq_f64_e64 s[2:3], s[12:13], 0
	v_cmp_eq_f64_e64 s[24:25], s[14:15], 0
	s_load_dwordx2 s[20:21], s[0:1], 0x48
	s_and_b64 s[2:3], s[2:3], s[24:25]
	s_cmp_lt_i32 s7, 1
	s_cselect_b64 s[24:25], -1, 0
	s_or_b64 s[2:3], s[2:3], s[24:25]
	v_and_b32_e32 v20, 0x3ff, v0
	v_bfe_u32 v21, v0, 10, 10
	s_mov_b32 s29, 0
	v_mov_b64_e32 v[16:17], 0
	s_and_b64 vcc, exec, s[2:3]
	v_mov_b64_e32 v[18:19], 0
	v_mov_b64_e32 v[12:13], 0
	;; [unrolled: 1-line block ×7, first 2 shown]
	s_cbranch_vccnz .LBB118_16
; %bb.6:
	v_lshl_add_u32 v0, v21, 4, v20
	s_load_dword s30, s[0:1], 0x18
	s_load_dwordx4 s[24:27], s[0:1], 0x20
	s_load_dword s34, s[0:1], 0x30
	v_and_b32_e32 v4, 31, v0
	v_lshrrev_b32_e32 v23, 5, v0
	v_lshrrev_b32_e32 v1, 3, v0
	v_or_b32_e32 v0, s28, v4
	v_and_b32_e32 v22, 7, v20
	v_cmp_gt_i32_e32 vcc, s6, v0
	v_lshlrev_b32_e32 v0, 4, v4
	v_lshl_or_b32 v24, v23, 9, v0
	v_lshlrev_b32_e32 v0, 4, v22
	v_lshl_or_b32 v0, v1, 7, v0
	s_waitcnt lgkmcnt(0)
	s_mul_i32 s25, s25, s4
	s_mul_hi_u32 s33, s24, s4
	v_add_u32_e32 v25, 0x1000, v0
	v_mov_b32_e32 v0, 0x1000
	s_add_i32 s25, s33, s25
	s_mul_i32 s24, s24, s4
	v_add_u32_e32 v2, s5, v1
	v_lshl_add_u32 v27, v21, 7, v0
	v_mad_i64_i32 v[0:1], s[36:37], v23, s30, 0
	s_lshl_b64 s[24:25], s[24:25], 4
	v_add_u32_e32 v4, s28, v4
	v_lshl_add_u64 v[0:1], v[0:1], 4, s[24:25]
	v_ashrrev_i32_e32 v5, 31, v4
	s_mul_i32 s17, s17, s4
	s_mul_hi_u32 s24, s16, s4
	v_lshl_add_u64 v[0:1], v[4:5], 4, v[0:1]
	s_add_i32 s17, s24, s17
	v_mad_i64_i32 v[4:5], s[24:25], s34, v22, 0
	s_mul_i32 s16, s16, s4
	v_lshlrev_b64 v[4:5], 4, v[4:5]
	v_ashrrev_i32_e32 v3, 31, v2
	v_lshl_add_u64 v[4:5], s[16:17], 4, v[4:5]
	s_ashr_i32 s31, s30, 31
	s_ashr_i32 s35, s34, 31
	v_cmp_gt_i32_e64 s[2:3], s6, v2
	v_lshl_add_u64 v[2:3], v[2:3], 4, v[4:5]
	v_mov_b32_e32 v28, 0
	v_lshlrev_b32_e32 v26, 4, v20
	v_lshl_add_u64 v[0:1], s[22:23], 0, v[0:1]
	s_lshl_b64 s[22:23], s[30:31], 7
	v_lshl_add_u64 v[2:3], s[26:27], 0, v[2:3]
	s_lshl_b64 s[16:17], s[34:35], 7
	v_mov_b64_e32 v[4:5], 0
	s_xor_b64 s[24:25], vcc, -1
	s_xor_b64 s[2:3], s[2:3], -1
	v_mov_b32_e32 v29, v28
	v_mov_b32_e32 v30, v28
	;; [unrolled: 1-line block ×3, first 2 shown]
	v_mov_b64_e32 v[6:7], 0
	v_mov_b64_e32 v[10:11], 0
	;; [unrolled: 1-line block ×7, first 2 shown]
	s_branch .LBB118_8
.LBB118_7:                              ;   in Loop: Header=BB118_8 Depth=1
	s_or_b64 exec, exec, s[26:27]
	s_waitcnt lgkmcnt(0)
	s_barrier
	ds_read_b128 v[32:35], v26
	ds_read_b128 v[36:39], v27
	ds_read_b128 v[40:43], v27 offset:16
	ds_read_b128 v[44:47], v27 offset:32
	;; [unrolled: 1-line block ×4, first 2 shown]
	s_waitcnt lgkmcnt(4)
	v_mul_f64 v[56:57], v[38:39], v[34:35]
	v_fma_f64 v[56:57], v[36:37], v[32:33], -v[56:57]
	v_mul_f64 v[58:59], v[36:37], v[34:35]
	v_fmac_f64_e32 v[58:59], v[38:39], v[32:33]
	v_add_f64 v[56:57], v[16:17], v[56:57]
	s_waitcnt lgkmcnt(0)
	v_mul_f64 v[16:17], v[38:39], v[54:55]
	v_add_f64 v[58:59], v[58:59], v[18:19]
	v_fma_f64 v[60:61], v[36:37], v[52:53], -v[16:17]
	ds_read_b128 v[16:19], v27 offset:2048
	v_mul_f64 v[36:37], v[36:37], v[54:55]
	v_fmac_f64_e32 v[36:37], v[38:39], v[52:53]
	v_add_f64 v[38:39], v[12:13], v[60:61]
	v_add_f64 v[36:37], v[36:37], v[14:15]
	ds_read_b128 v[12:15], v27 offset:2064
	s_waitcnt lgkmcnt(1)
	v_mul_f64 v[60:61], v[18:19], v[34:35]
	v_fma_f64 v[60:61], v[16:17], v[32:33], -v[60:61]
	v_mul_f64 v[34:35], v[16:17], v[34:35]
	v_fmac_f64_e32 v[34:35], v[18:19], v[32:33]
	v_add_f64 v[32:33], v[8:9], v[60:61]
	v_mul_f64 v[8:9], v[18:19], v[54:55]
	v_add_f64 v[34:35], v[34:35], v[10:11]
	v_fma_f64 v[60:61], v[16:17], v[52:53], -v[8:9]
	v_mul_f64 v[16:17], v[16:17], v[54:55]
	ds_read_b128 v[8:11], v26 offset:512
	v_fmac_f64_e32 v[16:17], v[18:19], v[52:53]
	v_add_f64 v[18:19], v[6:7], v[60:61]
	v_add_f64 v[16:17], v[16:17], v[4:5]
	ds_read_b128 v[4:7], v26 offset:768
	s_waitcnt lgkmcnt(1)
	v_mul_f64 v[52:53], v[42:43], v[10:11]
	v_fma_f64 v[52:53], v[40:41], v[8:9], -v[52:53]
	v_add_f64 v[52:53], v[56:57], v[52:53]
	v_mul_f64 v[54:55], v[40:41], v[10:11]
	s_waitcnt lgkmcnt(0)
	v_mul_f64 v[56:57], v[42:43], v[6:7]
	v_fma_f64 v[56:57], v[40:41], v[4:5], -v[56:57]
	v_mul_f64 v[40:41], v[40:41], v[6:7]
	v_fmac_f64_e32 v[40:41], v[42:43], v[4:5]
	v_add_f64 v[36:37], v[40:41], v[36:37]
	v_mul_f64 v[40:41], v[14:15], v[10:11]
	v_mul_f64 v[10:11], v[12:13], v[10:11]
	v_fmac_f64_e32 v[54:55], v[42:43], v[8:9]
	v_fma_f64 v[40:41], v[12:13], v[8:9], -v[40:41]
	v_fmac_f64_e32 v[10:11], v[14:15], v[8:9]
	v_mul_f64 v[8:9], v[14:15], v[6:7]
	v_add_f64 v[42:43], v[10:11], v[34:35]
	v_fma_f64 v[10:11], v[12:13], v[4:5], -v[8:9]
	v_mul_f64 v[12:13], v[12:13], v[6:7]
	ds_read_b128 v[6:9], v26 offset:1024
	v_fmac_f64_e32 v[12:13], v[14:15], v[4:5]
	v_add_f64 v[38:39], v[38:39], v[56:57]
	v_add_f64 v[18:19], v[18:19], v[10:11]
	;; [unrolled: 1-line block ×3, first 2 shown]
	ds_read_b128 v[10:13], v26 offset:1280
	s_waitcnt lgkmcnt(1)
	v_mul_f64 v[14:15], v[44:45], v[8:9]
	v_add_f64 v[54:55], v[54:55], v[58:59]
	v_fmac_f64_e32 v[14:15], v[46:47], v[6:7]
	v_add_f64 v[54:55], v[14:15], v[54:55]
	ds_read_b128 v[14:17], v27 offset:2080
	v_mul_f64 v[4:5], v[46:47], v[8:9]
	v_fma_f64 v[4:5], v[44:45], v[6:7], -v[4:5]
	v_add_f64 v[40:41], v[32:33], v[40:41]
	v_add_f64 v[52:53], v[52:53], v[4:5]
	s_waitcnt lgkmcnt(1)
	v_mul_f64 v[4:5], v[46:47], v[12:13]
	v_mul_f64 v[32:33], v[44:45], v[12:13]
	v_fma_f64 v[4:5], v[44:45], v[10:11], -v[4:5]
	v_fmac_f64_e32 v[32:33], v[46:47], v[10:11]
	v_add_f64 v[38:39], v[38:39], v[4:5]
	v_add_f64 v[36:37], v[32:33], v[36:37]
	ds_read_b128 v[32:35], v27 offset:2096
	s_waitcnt lgkmcnt(1)
	v_mul_f64 v[4:5], v[16:17], v[8:9]
	v_fma_f64 v[4:5], v[14:15], v[6:7], -v[4:5]
	v_mul_f64 v[8:9], v[14:15], v[8:9]
	v_fmac_f64_e32 v[8:9], v[16:17], v[6:7]
	v_add_f64 v[40:41], v[40:41], v[4:5]
	v_mul_f64 v[4:5], v[16:17], v[12:13]
	v_add_f64 v[42:43], v[8:9], v[42:43]
	v_fma_f64 v[8:9], v[14:15], v[10:11], -v[4:5]
	ds_read_b128 v[4:7], v26 offset:1536
	v_mul_f64 v[12:13], v[14:15], v[12:13]
	v_fmac_f64_e32 v[12:13], v[16:17], v[10:11]
	v_add_f64 v[14:15], v[18:19], v[8:9]
	ds_read_b128 v[8:11], v26 offset:1792
	s_waitcnt lgkmcnt(1)
	v_mul_f64 v[16:17], v[50:51], v[6:7]
	v_fma_f64 v[16:17], v[48:49], v[4:5], -v[16:17]
	v_mul_f64 v[18:19], v[48:49], v[6:7]
	v_fmac_f64_e32 v[18:19], v[50:51], v[4:5]
	v_add_f64 v[44:45], v[52:53], v[16:17]
	s_waitcnt lgkmcnt(0)
	v_mul_f64 v[16:17], v[50:51], v[10:11]
	v_add_f64 v[46:47], v[18:19], v[54:55]
	v_fma_f64 v[16:17], v[48:49], v[8:9], -v[16:17]
	v_mul_f64 v[18:19], v[48:49], v[10:11]
	v_fmac_f64_e32 v[18:19], v[50:51], v[8:9]
	v_add_f64 v[38:39], v[38:39], v[16:17]
	v_mul_f64 v[16:17], v[34:35], v[6:7]
	v_mul_f64 v[6:7], v[32:33], v[6:7]
	v_add_f64 v[36:37], v[18:19], v[36:37]
	v_fma_f64 v[16:17], v[32:33], v[4:5], -v[16:17]
	v_fmac_f64_e32 v[6:7], v[34:35], v[4:5]
	v_mul_f64 v[4:5], v[34:35], v[10:11]
	v_mul_f64 v[18:19], v[32:33], v[10:11]
	v_add_f64 v[40:41], v[40:41], v[16:17]
	v_add_f64 v[42:43], v[6:7], v[42:43]
	v_fma_f64 v[16:17], v[32:33], v[8:9], -v[4:5]
	v_fmac_f64_e32 v[18:19], v[34:35], v[8:9]
	ds_read_b128 v[4:7], v27 offset:64
	ds_read_b128 v[8:11], v26 offset:2048
	v_add_f64 v[12:13], v[12:13], v[56:57]
	v_add_f64 v[48:49], v[14:15], v[16:17]
	;; [unrolled: 1-line block ×3, first 2 shown]
	ds_read_b128 v[12:15], v26 offset:2304
	ds_read_b128 v[16:19], v27 offset:80
	s_waitcnt lgkmcnt(2)
	v_mul_f64 v[32:33], v[6:7], v[10:11]
	v_fma_f64 v[32:33], v[4:5], v[8:9], -v[32:33]
	v_mul_f64 v[34:35], v[4:5], v[10:11]
	v_fmac_f64_e32 v[34:35], v[6:7], v[8:9]
	v_add_f64 v[44:45], v[44:45], v[32:33]
	s_waitcnt lgkmcnt(1)
	v_mul_f64 v[32:33], v[6:7], v[14:15]
	v_add_f64 v[46:47], v[34:35], v[46:47]
	v_fma_f64 v[52:53], v[4:5], v[12:13], -v[32:33]
	ds_read_b128 v[32:35], v27 offset:2112
	v_mul_f64 v[4:5], v[4:5], v[14:15]
	v_fmac_f64_e32 v[4:5], v[6:7], v[12:13]
	v_add_f64 v[38:39], v[38:39], v[52:53]
	v_add_f64 v[36:37], v[4:5], v[36:37]
	ds_read_b128 v[4:7], v27 offset:2128
	s_waitcnt lgkmcnt(1)
	v_mul_f64 v[52:53], v[34:35], v[10:11]
	v_mul_f64 v[10:11], v[32:33], v[10:11]
	v_fma_f64 v[52:53], v[32:33], v[8:9], -v[52:53]
	v_fmac_f64_e32 v[10:11], v[34:35], v[8:9]
	v_mul_f64 v[8:9], v[34:35], v[14:15]
	v_add_f64 v[40:41], v[40:41], v[52:53]
	v_add_f64 v[42:43], v[10:11], v[42:43]
	v_fma_f64 v[52:53], v[32:33], v[12:13], -v[8:9]
	v_mul_f64 v[14:15], v[32:33], v[14:15]
	ds_read_b128 v[8:11], v26 offset:2560
	v_fmac_f64_e32 v[14:15], v[34:35], v[12:13]
	v_add_f64 v[34:35], v[14:15], v[50:51]
	ds_read_b128 v[12:15], v26 offset:2816
	v_add_f64 v[32:33], v[48:49], v[52:53]
	s_waitcnt lgkmcnt(1)
	v_mul_f64 v[48:49], v[18:19], v[10:11]
	v_fma_f64 v[48:49], v[16:17], v[8:9], -v[48:49]
	v_add_f64 v[44:45], v[44:45], v[48:49]
	s_waitcnt lgkmcnt(0)
	v_mul_f64 v[48:49], v[18:19], v[14:15]
	v_mul_f64 v[50:51], v[16:17], v[10:11]
	v_fma_f64 v[48:49], v[16:17], v[12:13], -v[48:49]
	v_mul_f64 v[16:17], v[16:17], v[14:15]
	v_fmac_f64_e32 v[16:17], v[18:19], v[12:13]
	v_add_f64 v[36:37], v[16:17], v[36:37]
	v_mul_f64 v[16:17], v[6:7], v[10:11]
	v_mul_f64 v[10:11], v[4:5], v[10:11]
	v_fmac_f64_e32 v[50:51], v[18:19], v[8:9]
	v_fma_f64 v[16:17], v[4:5], v[8:9], -v[16:17]
	v_fmac_f64_e32 v[10:11], v[6:7], v[8:9]
	v_mul_f64 v[8:9], v[6:7], v[14:15]
	v_mul_f64 v[14:15], v[4:5], v[14:15]
	v_add_f64 v[40:41], v[40:41], v[16:17]
	v_add_f64 v[42:43], v[10:11], v[42:43]
	v_fma_f64 v[16:17], v[4:5], v[12:13], -v[8:9]
	v_fmac_f64_e32 v[14:15], v[6:7], v[12:13]
	ds_read_b128 v[4:7], v27 offset:96
	ds_read_b128 v[8:11], v26 offset:3072
	v_add_f64 v[46:47], v[50:51], v[46:47]
	v_add_f64 v[38:39], v[38:39], v[48:49]
	;; [unrolled: 1-line block ×4, first 2 shown]
	ds_read_b128 v[12:15], v26 offset:3328
	ds_read_b128 v[32:35], v27 offset:112
	s_waitcnt lgkmcnt(2)
	v_mul_f64 v[16:17], v[6:7], v[10:11]
	v_fma_f64 v[16:17], v[4:5], v[8:9], -v[16:17]
	v_mul_f64 v[18:19], v[4:5], v[10:11]
	v_fmac_f64_e32 v[18:19], v[6:7], v[8:9]
	v_add_f64 v[44:45], v[44:45], v[16:17]
	s_waitcnt lgkmcnt(1)
	v_mul_f64 v[16:17], v[6:7], v[14:15]
	v_add_f64 v[46:47], v[18:19], v[46:47]
	v_fma_f64 v[52:53], v[4:5], v[12:13], -v[16:17]
	ds_read_b128 v[16:19], v27 offset:2144
	v_mul_f64 v[4:5], v[4:5], v[14:15]
	v_fmac_f64_e32 v[4:5], v[6:7], v[12:13]
	v_add_f64 v[54:55], v[4:5], v[36:37]
	ds_read_b128 v[4:7], v27 offset:2160
	s_waitcnt lgkmcnt(1)
	v_mul_f64 v[36:37], v[18:19], v[10:11]
	v_mul_f64 v[10:11], v[16:17], v[10:11]
	v_fma_f64 v[36:37], v[16:17], v[8:9], -v[36:37]
	v_fmac_f64_e32 v[10:11], v[18:19], v[8:9]
	v_mul_f64 v[8:9], v[18:19], v[14:15]
	v_add_f64 v[40:41], v[40:41], v[36:37]
	v_add_f64 v[42:43], v[10:11], v[42:43]
	v_fma_f64 v[36:37], v[16:17], v[12:13], -v[8:9]
	ds_read_b128 v[8:11], v26 offset:3584
	v_add_f64 v[52:53], v[38:39], v[52:53]
	v_add_f64 v[48:49], v[48:49], v[36:37]
	ds_read_b128 v[36:39], v26 offset:3840
	v_mul_f64 v[14:15], v[16:17], v[14:15]
	v_fmac_f64_e32 v[14:15], v[18:19], v[12:13]
	s_waitcnt lgkmcnt(1)
	v_mul_f64 v[12:13], v[34:35], v[10:11]
	v_add_f64 v[50:51], v[14:15], v[50:51]
	v_fma_f64 v[12:13], v[32:33], v[8:9], -v[12:13]
	v_mul_f64 v[14:15], v[32:33], v[10:11]
	v_fmac_f64_e32 v[14:15], v[34:35], v[8:9]
	v_add_f64 v[16:17], v[44:45], v[12:13]
	s_waitcnt lgkmcnt(0)
	v_mul_f64 v[12:13], v[34:35], v[38:39]
	v_add_f64 v[18:19], v[14:15], v[46:47]
	v_fma_f64 v[12:13], v[32:33], v[36:37], -v[12:13]
	v_mul_f64 v[14:15], v[32:33], v[38:39]
	v_mul_f64 v[32:33], v[6:7], v[10:11]
	v_fma_f64 v[32:33], v[4:5], v[8:9], -v[32:33]
	v_mul_f64 v[10:11], v[4:5], v[10:11]
	v_fmac_f64_e32 v[10:11], v[6:7], v[8:9]
	v_add_f64 v[8:9], v[40:41], v[32:33]
	v_mul_f64 v[32:33], v[6:7], v[38:39]
	v_fma_f64 v[32:33], v[4:5], v[36:37], -v[32:33]
	v_mul_f64 v[4:5], v[4:5], v[38:39]
	v_fmac_f64_e32 v[14:15], v[34:35], v[36:37]
	v_fmac_f64_e32 v[4:5], v[6:7], v[36:37]
	s_add_i32 s29, s29, 8
	v_add_f64 v[12:13], v[52:53], v[12:13]
	v_add_f64 v[14:15], v[14:15], v[54:55]
	;; [unrolled: 1-line block ×5, first 2 shown]
	v_lshl_add_u64 v[0:1], v[0:1], 0, s[22:23]
	s_cmp_lt_i32 s29, s7
	v_lshl_add_u64 v[2:3], v[2:3], 0, s[16:17]
	s_barrier
	s_cbranch_scc0 .LBB118_16
.LBB118_8:                              ; =>This Inner Loop Header: Depth=1
	v_add_u32_e32 v32, s29, v23
	v_cmp_le_i32_e32 vcc, s7, v32
	s_or_b64 s[26:27], s[24:25], vcc
	s_and_saveexec_b64 s[30:31], s[26:27]
	s_xor_b64 s[26:27], exec, s[30:31]
; %bb.9:                                ;   in Loop: Header=BB118_8 Depth=1
	ds_write_b128 v24, v[28:31]
; %bb.10:                               ;   in Loop: Header=BB118_8 Depth=1
	s_andn2_saveexec_b64 s[26:27], s[26:27]
	s_cbranch_execz .LBB118_12
; %bb.11:                               ;   in Loop: Header=BB118_8 Depth=1
	global_load_dwordx4 v[32:35], v[0:1], off
	s_waitcnt vmcnt(0)
	ds_write2_b64 v24, v[32:33], v[34:35] offset1:1
.LBB118_12:                             ;   in Loop: Header=BB118_8 Depth=1
	s_or_b64 exec, exec, s[26:27]
	v_add_u32_e32 v32, s29, v22
	v_cmp_le_i32_e32 vcc, s7, v32
	s_or_b64 s[26:27], vcc, s[2:3]
	s_and_saveexec_b64 s[30:31], s[26:27]
	s_xor_b64 s[26:27], exec, s[30:31]
; %bb.13:                               ;   in Loop: Header=BB118_8 Depth=1
	ds_write_b128 v25, v[28:31]
; %bb.14:                               ;   in Loop: Header=BB118_8 Depth=1
	s_andn2_saveexec_b64 s[26:27], s[26:27]
	s_cbranch_execz .LBB118_7
; %bb.15:                               ;   in Loop: Header=BB118_8 Depth=1
	global_load_dwordx4 v[32:35], v[2:3], off
	s_waitcnt vmcnt(0)
	ds_write2_b64 v25, v[32:33], v[34:35] offset1:1
	s_branch .LBB118_7
.LBB118_16:
	s_load_dwordx2 s[2:3], s[0:1], 0x58
	s_load_dword s22, s[0:1], 0x50
	v_add_u32_e32 v24, s5, v21
	v_add_u32_e32 v20, s28, v20
	v_cmp_le_i32_e32 vcc, v24, v20
	s_waitcnt lgkmcnt(0)
	s_mul_i32 s1, s3, s4
	s_mul_hi_u32 s3, s2, s4
	s_mul_i32 s0, s2, s4
	s_add_i32 s1, s3, s1
	s_lshl_b64 s[0:1], s[0:1], 4
	s_add_u32 s16, s20, s0
	s_addc_u32 s17, s21, s1
	v_cmp_neq_f64_e64 s[0:1], s[8:9], 0
	s_xor_b64 s[4:5], s[18:19], -1
	v_mad_i64_i32 v[0:1], s[2:3], v24, s22, 0
	s_or_b64 s[0:1], s[0:1], s[4:5]
	v_lshl_add_u64 v[22:23], v[0:1], 4, s[16:17]
	v_cmp_gt_i32_e64 s[2:3], s6, v20
	v_cndmask_b32_e64 v0, 0, 1, s[0:1]
	s_and_b64 s[18:19], vcc, s[2:3]
	v_ashrrev_i32_e32 v21, 31, v20
	v_cmp_ne_u32_e64 s[0:1], 1, v0
	s_and_saveexec_b64 s[4:5], s[18:19]
	s_cbranch_execz .LBB118_20
; %bb.17:
	v_mul_f64 v[0:1], s[14:15], v[18:19]
	v_mul_f64 v[2:3], s[12:13], v[18:19]
	v_fma_f64 v[0:1], s[12:13], v[16:17], -v[0:1]
	v_fmac_f64_e32 v[2:3], s[14:15], v[16:17]
	s_and_b64 vcc, exec, s[0:1]
	v_lshl_add_u64 v[16:17], v[20:21], 4, v[22:23]
	s_cbranch_vccnz .LBB118_19
; %bb.18:
	global_load_dwordx4 v[26:29], v[16:17], off
	s_waitcnt vmcnt(0)
	v_mul_f64 v[18:19], s[10:11], v[28:29]
	v_mul_f64 v[28:29], s[8:9], v[28:29]
	v_fma_f64 v[18:19], s[8:9], v[26:27], -v[18:19]
	v_fmac_f64_e32 v[28:29], s[10:11], v[26:27]
	v_add_f64 v[0:1], v[0:1], v[18:19]
	v_add_f64 v[2:3], v[2:3], v[28:29]
.LBB118_19:
	global_store_dwordx4 v[16:17], v[0:3], off
.LBB118_20:
	s_or_b64 exec, exec, s[4:5]
	v_add_u32_e32 v16, 16, v20
	v_cmp_le_i32_e32 vcc, v24, v16
	v_cmp_gt_i32_e64 s[4:5], s6, v16
	s_and_b64 s[18:19], vcc, s[4:5]
	v_ashrrev_i32_e32 v17, 31, v16
	s_and_saveexec_b64 s[6:7], s[18:19]
	s_cbranch_execz .LBB118_24
; %bb.21:
	v_mul_f64 v[0:1], s[14:15], v[14:15]
	v_mul_f64 v[2:3], s[12:13], v[14:15]
	v_fma_f64 v[0:1], s[12:13], v[12:13], -v[0:1]
	v_fmac_f64_e32 v[2:3], s[14:15], v[12:13]
	s_and_b64 vcc, exec, s[0:1]
	v_lshl_add_u64 v[12:13], v[16:17], 4, v[22:23]
	s_cbranch_vccnz .LBB118_23
; %bb.22:
	global_load_dwordx4 v[26:29], v[12:13], off
	s_waitcnt vmcnt(0)
	v_mul_f64 v[14:15], s[10:11], v[28:29]
	v_mul_f64 v[18:19], s[8:9], v[28:29]
	v_fma_f64 v[14:15], s[8:9], v[26:27], -v[14:15]
	v_fmac_f64_e32 v[18:19], s[10:11], v[26:27]
	v_add_f64 v[0:1], v[0:1], v[14:15]
	v_add_f64 v[2:3], v[2:3], v[18:19]
.LBB118_23:
	global_store_dwordx4 v[12:13], v[0:3], off
.LBB118_24:
	s_or_b64 exec, exec, s[6:7]
	v_add_u32_e32 v14, 16, v24
	v_mad_i64_i32 v[0:1], s[6:7], v14, s22, 0
	v_cmp_le_i32_e32 vcc, v14, v20
	v_lshl_add_u64 v[12:13], v[0:1], 4, s[16:17]
	s_and_b64 s[6:7], vcc, s[2:3]
	s_and_saveexec_b64 s[2:3], s[6:7]
	s_cbranch_execz .LBB118_28
; %bb.25:
	v_mul_f64 v[0:1], s[14:15], v[10:11]
	v_mul_f64 v[2:3], s[12:13], v[10:11]
	v_fma_f64 v[0:1], s[12:13], v[8:9], -v[0:1]
	v_fmac_f64_e32 v[2:3], s[14:15], v[8:9]
	s_and_b64 vcc, exec, s[0:1]
	v_lshl_add_u64 v[8:9], v[20:21], 4, v[12:13]
	s_cbranch_vccnz .LBB118_27
; %bb.26:
	global_load_dwordx4 v[18:21], v[8:9], off
	s_waitcnt vmcnt(0)
	v_mul_f64 v[10:11], s[10:11], v[20:21]
	v_mul_f64 v[20:21], s[8:9], v[20:21]
	v_fma_f64 v[10:11], s[8:9], v[18:19], -v[10:11]
	v_fmac_f64_e32 v[20:21], s[10:11], v[18:19]
	v_add_f64 v[0:1], v[0:1], v[10:11]
	v_add_f64 v[2:3], v[2:3], v[20:21]
.LBB118_27:
	global_store_dwordx4 v[8:9], v[0:3], off
.LBB118_28:
	s_or_b64 exec, exec, s[2:3]
	v_cmp_le_i32_e32 vcc, v14, v16
	s_and_b64 s[2:3], vcc, s[4:5]
	s_and_saveexec_b64 s[4:5], s[2:3]
	s_cbranch_execz .LBB118_32
; %bb.29:
	v_mul_f64 v[0:1], s[14:15], v[4:5]
	v_mul_f64 v[2:3], s[12:13], v[4:5]
	v_fma_f64 v[0:1], s[12:13], v[6:7], -v[0:1]
	v_fmac_f64_e32 v[2:3], s[14:15], v[6:7]
	s_and_b64 vcc, exec, s[0:1]
	v_lshl_add_u64 v[4:5], v[16:17], 4, v[12:13]
	s_cbranch_vccnz .LBB118_31
; %bb.30:
	global_load_dwordx4 v[6:9], v[4:5], off
	s_waitcnt vmcnt(0)
	v_mul_f64 v[10:11], s[10:11], v[8:9]
	v_mul_f64 v[8:9], s[8:9], v[8:9]
	v_fma_f64 v[10:11], s[8:9], v[6:7], -v[10:11]
	v_fmac_f64_e32 v[8:9], s[10:11], v[6:7]
	v_add_f64 v[0:1], v[0:1], v[10:11]
	v_add_f64 v[2:3], v[2:3], v[8:9]
.LBB118_31:
	global_store_dwordx4 v[4:5], v[0:3], off
.LBB118_32:
	s_endpgm
	.section	.rodata,"a",@progbits
	.p2align	6, 0x0
	.amdhsa_kernel _ZL29rocblas_internal_gemmt_kernelIiLi16ELi32ELi8ELc78ELc84ELc76ELb0ELb0E19rocblas_complex_numIdEPKS1_S3_PS1_EviT_T9_T10_S5_lS7_S5_lS6_T11_S5_li
		.amdhsa_group_segment_fixed_size 8192
		.amdhsa_private_segment_fixed_size 0
		.amdhsa_kernarg_size 100
		.amdhsa_user_sgpr_count 2
		.amdhsa_user_sgpr_dispatch_ptr 0
		.amdhsa_user_sgpr_queue_ptr 0
		.amdhsa_user_sgpr_kernarg_segment_ptr 1
		.amdhsa_user_sgpr_dispatch_id 0
		.amdhsa_user_sgpr_kernarg_preload_length 0
		.amdhsa_user_sgpr_kernarg_preload_offset 0
		.amdhsa_user_sgpr_private_segment_size 0
		.amdhsa_uses_dynamic_stack 0
		.amdhsa_enable_private_segment 0
		.amdhsa_system_sgpr_workgroup_id_x 1
		.amdhsa_system_sgpr_workgroup_id_y 1
		.amdhsa_system_sgpr_workgroup_id_z 1
		.amdhsa_system_sgpr_workgroup_info 0
		.amdhsa_system_vgpr_workitem_id 1
		.amdhsa_next_free_vgpr 62
		.amdhsa_next_free_sgpr 38
		.amdhsa_accum_offset 64
		.amdhsa_reserve_vcc 1
		.amdhsa_float_round_mode_32 0
		.amdhsa_float_round_mode_16_64 0
		.amdhsa_float_denorm_mode_32 3
		.amdhsa_float_denorm_mode_16_64 3
		.amdhsa_dx10_clamp 1
		.amdhsa_ieee_mode 1
		.amdhsa_fp16_overflow 0
		.amdhsa_tg_split 0
		.amdhsa_exception_fp_ieee_invalid_op 0
		.amdhsa_exception_fp_denorm_src 0
		.amdhsa_exception_fp_ieee_div_zero 0
		.amdhsa_exception_fp_ieee_overflow 0
		.amdhsa_exception_fp_ieee_underflow 0
		.amdhsa_exception_fp_ieee_inexact 0
		.amdhsa_exception_int_div_zero 0
	.end_amdhsa_kernel
	.section	.text._ZL29rocblas_internal_gemmt_kernelIiLi16ELi32ELi8ELc78ELc84ELc76ELb0ELb0E19rocblas_complex_numIdEPKS1_S3_PS1_EviT_T9_T10_S5_lS7_S5_lS6_T11_S5_li,"axG",@progbits,_ZL29rocblas_internal_gemmt_kernelIiLi16ELi32ELi8ELc78ELc84ELc76ELb0ELb0E19rocblas_complex_numIdEPKS1_S3_PS1_EviT_T9_T10_S5_lS7_S5_lS6_T11_S5_li,comdat
.Lfunc_end118:
	.size	_ZL29rocblas_internal_gemmt_kernelIiLi16ELi32ELi8ELc78ELc84ELc76ELb0ELb0E19rocblas_complex_numIdEPKS1_S3_PS1_EviT_T9_T10_S5_lS7_S5_lS6_T11_S5_li, .Lfunc_end118-_ZL29rocblas_internal_gemmt_kernelIiLi16ELi32ELi8ELc78ELc84ELc76ELb0ELb0E19rocblas_complex_numIdEPKS1_S3_PS1_EviT_T9_T10_S5_lS7_S5_lS6_T11_S5_li
                                        ; -- End function
	.set _ZL29rocblas_internal_gemmt_kernelIiLi16ELi32ELi8ELc78ELc84ELc76ELb0ELb0E19rocblas_complex_numIdEPKS1_S3_PS1_EviT_T9_T10_S5_lS7_S5_lS6_T11_S5_li.num_vgpr, 62
	.set _ZL29rocblas_internal_gemmt_kernelIiLi16ELi32ELi8ELc78ELc84ELc76ELb0ELb0E19rocblas_complex_numIdEPKS1_S3_PS1_EviT_T9_T10_S5_lS7_S5_lS6_T11_S5_li.num_agpr, 0
	.set _ZL29rocblas_internal_gemmt_kernelIiLi16ELi32ELi8ELc78ELc84ELc76ELb0ELb0E19rocblas_complex_numIdEPKS1_S3_PS1_EviT_T9_T10_S5_lS7_S5_lS6_T11_S5_li.numbered_sgpr, 38
	.set _ZL29rocblas_internal_gemmt_kernelIiLi16ELi32ELi8ELc78ELc84ELc76ELb0ELb0E19rocblas_complex_numIdEPKS1_S3_PS1_EviT_T9_T10_S5_lS7_S5_lS6_T11_S5_li.num_named_barrier, 0
	.set _ZL29rocblas_internal_gemmt_kernelIiLi16ELi32ELi8ELc78ELc84ELc76ELb0ELb0E19rocblas_complex_numIdEPKS1_S3_PS1_EviT_T9_T10_S5_lS7_S5_lS6_T11_S5_li.private_seg_size, 0
	.set _ZL29rocblas_internal_gemmt_kernelIiLi16ELi32ELi8ELc78ELc84ELc76ELb0ELb0E19rocblas_complex_numIdEPKS1_S3_PS1_EviT_T9_T10_S5_lS7_S5_lS6_T11_S5_li.uses_vcc, 1
	.set _ZL29rocblas_internal_gemmt_kernelIiLi16ELi32ELi8ELc78ELc84ELc76ELb0ELb0E19rocblas_complex_numIdEPKS1_S3_PS1_EviT_T9_T10_S5_lS7_S5_lS6_T11_S5_li.uses_flat_scratch, 0
	.set _ZL29rocblas_internal_gemmt_kernelIiLi16ELi32ELi8ELc78ELc84ELc76ELb0ELb0E19rocblas_complex_numIdEPKS1_S3_PS1_EviT_T9_T10_S5_lS7_S5_lS6_T11_S5_li.has_dyn_sized_stack, 0
	.set _ZL29rocblas_internal_gemmt_kernelIiLi16ELi32ELi8ELc78ELc84ELc76ELb0ELb0E19rocblas_complex_numIdEPKS1_S3_PS1_EviT_T9_T10_S5_lS7_S5_lS6_T11_S5_li.has_recursion, 0
	.set _ZL29rocblas_internal_gemmt_kernelIiLi16ELi32ELi8ELc78ELc84ELc76ELb0ELb0E19rocblas_complex_numIdEPKS1_S3_PS1_EviT_T9_T10_S5_lS7_S5_lS6_T11_S5_li.has_indirect_call, 0
	.section	.AMDGPU.csdata,"",@progbits
; Kernel info:
; codeLenInByte = 3124
; TotalNumSgprs: 44
; NumVgprs: 62
; NumAgprs: 0
; TotalNumVgprs: 62
; ScratchSize: 0
; MemoryBound: 0
; FloatMode: 240
; IeeeMode: 1
; LDSByteSize: 8192 bytes/workgroup (compile time only)
; SGPRBlocks: 5
; VGPRBlocks: 7
; NumSGPRsForWavesPerEU: 44
; NumVGPRsForWavesPerEU: 62
; AccumOffset: 64
; Occupancy: 8
; WaveLimiterHint : 0
; COMPUTE_PGM_RSRC2:SCRATCH_EN: 0
; COMPUTE_PGM_RSRC2:USER_SGPR: 2
; COMPUTE_PGM_RSRC2:TRAP_HANDLER: 0
; COMPUTE_PGM_RSRC2:TGID_X_EN: 1
; COMPUTE_PGM_RSRC2:TGID_Y_EN: 1
; COMPUTE_PGM_RSRC2:TGID_Z_EN: 1
; COMPUTE_PGM_RSRC2:TIDIG_COMP_CNT: 1
; COMPUTE_PGM_RSRC3_GFX90A:ACCUM_OFFSET: 15
; COMPUTE_PGM_RSRC3_GFX90A:TG_SPLIT: 0
	.section	.text._ZL29rocblas_internal_gemmt_kernelIiLi16ELi32ELi8ELc78ELc67ELc76ELb0ELb1E19rocblas_complex_numIdEPKS1_S3_PS1_EviT_T9_T10_S5_lS7_S5_lS6_T11_S5_li,"axG",@progbits,_ZL29rocblas_internal_gemmt_kernelIiLi16ELi32ELi8ELc78ELc67ELc76ELb0ELb1E19rocblas_complex_numIdEPKS1_S3_PS1_EviT_T9_T10_S5_lS7_S5_lS6_T11_S5_li,comdat
	.globl	_ZL29rocblas_internal_gemmt_kernelIiLi16ELi32ELi8ELc78ELc67ELc76ELb0ELb1E19rocblas_complex_numIdEPKS1_S3_PS1_EviT_T9_T10_S5_lS7_S5_lS6_T11_S5_li ; -- Begin function _ZL29rocblas_internal_gemmt_kernelIiLi16ELi32ELi8ELc78ELc67ELc76ELb0ELb1E19rocblas_complex_numIdEPKS1_S3_PS1_EviT_T9_T10_S5_lS7_S5_lS6_T11_S5_li
	.p2align	8
	.type	_ZL29rocblas_internal_gemmt_kernelIiLi16ELi32ELi8ELc78ELc67ELc76ELb0ELb1E19rocblas_complex_numIdEPKS1_S3_PS1_EviT_T9_T10_S5_lS7_S5_lS6_T11_S5_li,@function
_ZL29rocblas_internal_gemmt_kernelIiLi16ELi32ELi8ELc78ELc67ELc76ELb0ELb1E19rocblas_complex_numIdEPKS1_S3_PS1_EviT_T9_T10_S5_lS7_S5_lS6_T11_S5_li: ; @_ZL29rocblas_internal_gemmt_kernelIiLi16ELi32ELi8ELc78ELc67ELc76ELb0ELb1E19rocblas_complex_numIdEPKS1_S3_PS1_EviT_T9_T10_S5_lS7_S5_lS6_T11_S5_li
; %bb.0:
	s_load_dwordx4 s[16:19], s[0:1], 0x38
	s_load_dwordx4 s[20:23], s[0:1], 0x8
	s_mov_b64 s[24:25], 0
	s_waitcnt lgkmcnt(0)
	s_load_dwordx4 s[8:11], s[18:19], 0x0
	s_load_dwordx2 s[6:7], s[0:1], 0x0
	s_load_dwordx4 s[12:15], s[20:21], 0x0
	s_waitcnt lgkmcnt(0)
	v_cmp_eq_f64_e64 s[20:21], s[8:9], 1.0
	v_cmp_eq_f64_e64 s[18:19], s[10:11], 0
	s_and_b64 s[20:21], s[20:21], s[18:19]
	s_andn2_b64 vcc, exec, s[20:21]
	s_mov_b64 s[20:21], -1
	s_cbranch_vccnz .LBB119_4
; %bb.1:
	s_cmp_lg_u32 s7, 0
	s_cbranch_scc0 .LBB119_3
; %bb.2:
	v_cmp_neq_f64_e64 s[20:21], s[12:13], 0
	v_cmp_neq_f64_e64 s[24:25], s[14:15], 0
	s_or_b64 s[24:25], s[20:21], s[24:25]
.LBB119_3:
	s_mov_b64 s[20:21], s[24:25]
.LBB119_4:
	s_and_b64 vcc, exec, s[20:21]
	s_cbranch_vccz .LBB119_30
; %bb.5:
	s_lshl_b32 s28, s2, 5
	s_lshl_b32 s5, s3, 5
	v_cmp_eq_f64_e64 s[2:3], s[12:13], 0
	v_cmp_eq_f64_e64 s[24:25], s[14:15], 0
	s_load_dwordx2 s[20:21], s[0:1], 0x48
	s_and_b64 s[2:3], s[2:3], s[24:25]
	s_cmp_lt_i32 s7, 1
	s_cselect_b64 s[24:25], -1, 0
	s_or_b64 s[2:3], s[2:3], s[24:25]
	v_and_b32_e32 v25, 0x3ff, v0
	v_bfe_u32 v24, v0, 10, 10
	s_mov_b32 s29, 0
	v_mov_b64_e32 v[20:21], 0
	s_and_b64 vcc, exec, s[2:3]
	v_mov_b64_e32 v[22:23], 0
	v_mov_b64_e32 v[16:17], 0
	;; [unrolled: 1-line block ×7, first 2 shown]
	s_cbranch_vccnz .LBB119_14
; %bb.6:
	s_load_dword s30, s[0:1], 0x18
	s_load_dwordx4 s[24:27], s[0:1], 0x20
	s_load_dword s34, s[0:1], 0x30
	v_lshl_add_u32 v1, v24, 4, v25
	v_and_b32_e32 v4, 31, v1
	v_lshrrev_b32_e32 v27, 5, v1
	v_lshrrev_b32_e32 v2, 3, v1
	v_or_b32_e32 v1, s28, v4
	v_and_b32_e32 v26, 7, v25
	v_cmp_gt_i32_e64 s[2:3], s6, v1
	v_lshlrev_b32_e32 v1, 4, v4
	v_lshl_or_b32 v28, v27, 9, v1
	v_lshlrev_b32_e32 v1, 4, v26
	s_waitcnt lgkmcnt(0)
	s_mul_i32 s25, s25, s4
	s_mul_hi_u32 s33, s24, s4
	v_add_u32_e32 v0, s5, v2
	v_lshl_or_b32 v1, v2, 7, v1
	v_mov_b32_e32 v2, 0x1000
	s_add_i32 s25, s33, s25
	s_mul_i32 s24, s24, s4
	v_lshl_add_u32 v31, v24, 7, v2
	v_mad_i64_i32 v[2:3], s[36:37], v27, s30, 0
	s_lshl_b64 s[24:25], s[24:25], 4
	v_add_u32_e32 v4, s28, v4
	v_lshl_add_u64 v[2:3], v[2:3], 4, s[24:25]
	v_ashrrev_i32_e32 v5, 31, v4
	v_lshl_add_u64 v[2:3], v[4:5], 4, v[2:3]
	s_mul_i32 s17, s17, s4
	s_mul_hi_u32 s24, s16, s4
	v_lshl_add_u64 v[4:5], s[22:23], 0, v[2:3]
	s_add_i32 s17, s24, s17
	v_mad_i64_i32 v[2:3], s[24:25], s34, v26, 0
	s_mul_i32 s16, s16, s4
	v_lshlrev_b64 v[2:3], 4, v[2:3]
	v_add_u32_e32 v29, 0x1000, v1
	v_ashrrev_i32_e32 v1, 31, v0
	v_lshl_add_u64 v[2:3], s[16:17], 4, v[2:3]
	v_cmp_gt_i32_e32 vcc, s6, v0
	v_lshl_add_u64 v[0:1], v[0:1], 4, v[2:3]
	s_ashr_i32 s31, s30, 31
	s_ashr_i32 s35, s34, 31
	v_lshl_add_u64 v[0:1], s[26:27], 0, v[0:1]
	v_mov_b32_e32 v32, 0
	v_lshlrev_b32_e32 v30, 4, v25
	s_lshl_b64 s[22:23], s[30:31], 7
	v_lshl_add_u64 v[6:7], v[0:1], 0, 8
	s_lshl_b64 s[16:17], s[34:35], 7
	v_mov_b64_e32 v[8:9], 0
	s_xor_b64 s[24:25], s[2:3], -1
	v_mov_b32_e32 v33, v32
	v_mov_b32_e32 v34, v32
	;; [unrolled: 1-line block ×3, first 2 shown]
	v_mov_b64_e32 v[10:11], 0
	v_mov_b64_e32 v[14:15], 0
	;; [unrolled: 1-line block ×7, first 2 shown]
	s_branch .LBB119_8
.LBB119_7:                              ;   in Loop: Header=BB119_8 Depth=1
	s_or_b64 exec, exec, s[2:3]
	ds_write_b128 v29, v[0:3]
	s_waitcnt lgkmcnt(0)
	s_barrier
	ds_read_b128 v[0:3], v30
	ds_read_b128 v[36:39], v31
	ds_read_b128 v[40:43], v31 offset:16
	ds_read_b128 v[44:47], v31 offset:32
	ds_read_b128 v[48:51], v31 offset:48
	ds_read_b128 v[52:55], v30 offset:256
	s_waitcnt lgkmcnt(4)
	v_mul_f64 v[56:57], v[38:39], v[2:3]
	v_fma_f64 v[56:57], v[36:37], v[0:1], -v[56:57]
	v_mul_f64 v[58:59], v[36:37], v[2:3]
	v_fmac_f64_e32 v[58:59], v[38:39], v[0:1]
	v_add_f64 v[56:57], v[20:21], v[56:57]
	s_waitcnt lgkmcnt(0)
	v_mul_f64 v[20:21], v[38:39], v[54:55]
	v_add_f64 v[58:59], v[58:59], v[22:23]
	v_fma_f64 v[60:61], v[36:37], v[52:53], -v[20:21]
	ds_read_b128 v[20:23], v31 offset:2048
	v_mul_f64 v[36:37], v[36:37], v[54:55]
	v_fmac_f64_e32 v[36:37], v[38:39], v[52:53]
	v_add_f64 v[38:39], v[16:17], v[60:61]
	v_add_f64 v[36:37], v[36:37], v[18:19]
	ds_read_b128 v[16:19], v31 offset:2064
	s_waitcnt lgkmcnt(1)
	v_mul_f64 v[60:61], v[22:23], v[2:3]
	v_mul_f64 v[2:3], v[20:21], v[2:3]
	v_fma_f64 v[60:61], v[20:21], v[0:1], -v[60:61]
	v_fmac_f64_e32 v[2:3], v[22:23], v[0:1]
	v_mul_f64 v[0:1], v[22:23], v[54:55]
	v_add_f64 v[12:13], v[12:13], v[60:61]
	v_add_f64 v[14:15], v[2:3], v[14:15]
	v_fma_f64 v[60:61], v[20:21], v[52:53], -v[0:1]
	v_mul_f64 v[20:21], v[20:21], v[54:55]
	ds_read_b128 v[0:3], v30 offset:512
	v_fmac_f64_e32 v[20:21], v[22:23], v[52:53]
	v_add_f64 v[22:23], v[10:11], v[60:61]
	v_add_f64 v[20:21], v[20:21], v[8:9]
	ds_read_b128 v[8:11], v30 offset:768
	s_waitcnt lgkmcnt(1)
	v_mul_f64 v[52:53], v[42:43], v[2:3]
	v_fma_f64 v[52:53], v[40:41], v[0:1], -v[52:53]
	v_add_f64 v[52:53], v[56:57], v[52:53]
	v_mul_f64 v[54:55], v[40:41], v[2:3]
	s_waitcnt lgkmcnt(0)
	v_mul_f64 v[56:57], v[42:43], v[10:11]
	v_fma_f64 v[56:57], v[40:41], v[8:9], -v[56:57]
	v_mul_f64 v[40:41], v[40:41], v[10:11]
	v_fmac_f64_e32 v[40:41], v[42:43], v[8:9]
	v_add_f64 v[36:37], v[40:41], v[36:37]
	v_mul_f64 v[40:41], v[18:19], v[2:3]
	v_mul_f64 v[2:3], v[16:17], v[2:3]
	v_fmac_f64_e32 v[54:55], v[42:43], v[0:1]
	v_fma_f64 v[40:41], v[16:17], v[0:1], -v[40:41]
	v_fmac_f64_e32 v[2:3], v[18:19], v[0:1]
	v_mul_f64 v[0:1], v[18:19], v[10:11]
	v_add_f64 v[40:41], v[12:13], v[40:41]
	v_add_f64 v[42:43], v[2:3], v[14:15]
	v_fma_f64 v[12:13], v[16:17], v[8:9], -v[0:1]
	v_mul_f64 v[10:11], v[16:17], v[10:11]
	ds_read_b128 v[0:3], v30 offset:1024
	v_fmac_f64_e32 v[10:11], v[18:19], v[8:9]
	v_add_f64 v[20:21], v[10:11], v[20:21]
	ds_read_b128 v[8:11], v30 offset:1280
	v_add_f64 v[22:23], v[22:23], v[12:13]
	s_waitcnt lgkmcnt(1)
	v_mul_f64 v[12:13], v[46:47], v[2:3]
	v_fma_f64 v[12:13], v[44:45], v[0:1], -v[12:13]
	v_mul_f64 v[14:15], v[44:45], v[2:3]
	v_add_f64 v[54:55], v[54:55], v[58:59]
	v_fmac_f64_e32 v[14:15], v[46:47], v[0:1]
	v_add_f64 v[52:53], v[52:53], v[12:13]
	s_waitcnt lgkmcnt(0)
	v_mul_f64 v[12:13], v[46:47], v[10:11]
	v_add_f64 v[54:55], v[14:15], v[54:55]
	v_fma_f64 v[16:17], v[44:45], v[8:9], -v[12:13]
	ds_read_b128 v[12:15], v31 offset:2080
	v_mul_f64 v[18:19], v[44:45], v[10:11]
	v_add_f64 v[38:39], v[38:39], v[56:57]
	v_fmac_f64_e32 v[18:19], v[46:47], v[8:9]
	v_add_f64 v[38:39], v[38:39], v[16:17]
	v_add_f64 v[36:37], v[18:19], v[36:37]
	ds_read_b128 v[16:19], v31 offset:2096
	s_waitcnt lgkmcnt(1)
	v_mul_f64 v[44:45], v[14:15], v[2:3]
	v_mul_f64 v[2:3], v[12:13], v[2:3]
	v_fma_f64 v[44:45], v[12:13], v[0:1], -v[44:45]
	v_fmac_f64_e32 v[2:3], v[14:15], v[0:1]
	v_mul_f64 v[0:1], v[14:15], v[10:11]
	v_mul_f64 v[10:11], v[12:13], v[10:11]
	v_fmac_f64_e32 v[10:11], v[14:15], v[8:9]
	v_add_f64 v[40:41], v[40:41], v[44:45]
	v_add_f64 v[42:43], v[2:3], v[42:43]
	v_fma_f64 v[44:45], v[12:13], v[8:9], -v[0:1]
	ds_read_b128 v[0:3], v30 offset:1536
	v_add_f64 v[14:15], v[10:11], v[20:21]
	ds_read_b128 v[8:11], v30 offset:1792
	v_add_f64 v[12:13], v[22:23], v[44:45]
	s_add_i32 s29, s29, 8
	s_waitcnt lgkmcnt(1)
	v_mul_f64 v[20:21], v[50:51], v[2:3]
	v_mul_f64 v[22:23], v[48:49], v[2:3]
	s_waitcnt lgkmcnt(0)
	v_mul_f64 v[44:45], v[50:51], v[10:11]
	v_fma_f64 v[44:45], v[48:49], v[8:9], -v[44:45]
	v_add_f64 v[38:39], v[38:39], v[44:45]
	v_mul_f64 v[44:45], v[18:19], v[2:3]
	v_mul_f64 v[2:3], v[16:17], v[2:3]
	v_fma_f64 v[20:21], v[48:49], v[0:1], -v[20:21]
	v_fmac_f64_e32 v[22:23], v[50:51], v[0:1]
	v_fma_f64 v[44:45], v[16:17], v[0:1], -v[44:45]
	v_fmac_f64_e32 v[2:3], v[18:19], v[0:1]
	v_mul_f64 v[0:1], v[18:19], v[10:11]
	v_mul_f64 v[46:47], v[48:49], v[10:11]
	v_add_f64 v[40:41], v[40:41], v[44:45]
	v_fma_f64 v[44:45], v[16:17], v[8:9], -v[0:1]
	v_mul_f64 v[16:17], v[16:17], v[10:11]
	v_fmac_f64_e32 v[46:47], v[50:51], v[8:9]
	v_add_f64 v[42:43], v[2:3], v[42:43]
	v_fmac_f64_e32 v[16:17], v[18:19], v[8:9]
	ds_read_b128 v[0:3], v31 offset:64
	ds_read_b128 v[8:11], v30 offset:2048
	v_add_f64 v[36:37], v[46:47], v[36:37]
	v_add_f64 v[44:45], v[12:13], v[44:45]
	;; [unrolled: 1-line block ×3, first 2 shown]
	ds_read_b128 v[12:15], v30 offset:2304
	ds_read_b128 v[16:19], v31 offset:80
	s_waitcnt lgkmcnt(2)
	v_mul_f64 v[48:49], v[2:3], v[10:11]
	v_add_f64 v[20:21], v[52:53], v[20:21]
	v_fma_f64 v[48:49], v[0:1], v[8:9], -v[48:49]
	v_mul_f64 v[50:51], v[0:1], v[10:11]
	v_add_f64 v[22:23], v[22:23], v[54:55]
	v_fmac_f64_e32 v[50:51], v[2:3], v[8:9]
	v_add_f64 v[48:49], v[20:21], v[48:49]
	s_waitcnt lgkmcnt(1)
	v_mul_f64 v[20:21], v[2:3], v[14:15]
	v_add_f64 v[50:51], v[50:51], v[22:23]
	v_fma_f64 v[52:53], v[0:1], v[12:13], -v[20:21]
	ds_read_b128 v[20:23], v31 offset:2112
	v_mul_f64 v[0:1], v[0:1], v[14:15]
	v_fmac_f64_e32 v[0:1], v[2:3], v[12:13]
	v_add_f64 v[38:39], v[38:39], v[52:53]
	v_add_f64 v[36:37], v[0:1], v[36:37]
	ds_read_b128 v[0:3], v31 offset:2128
	s_waitcnt lgkmcnt(1)
	v_mul_f64 v[52:53], v[22:23], v[10:11]
	v_mul_f64 v[10:11], v[20:21], v[10:11]
	v_fma_f64 v[52:53], v[20:21], v[8:9], -v[52:53]
	v_fmac_f64_e32 v[10:11], v[22:23], v[8:9]
	v_mul_f64 v[8:9], v[22:23], v[14:15]
	v_add_f64 v[40:41], v[40:41], v[52:53]
	v_add_f64 v[42:43], v[10:11], v[42:43]
	v_fma_f64 v[52:53], v[20:21], v[12:13], -v[8:9]
	v_mul_f64 v[14:15], v[20:21], v[14:15]
	ds_read_b128 v[8:11], v30 offset:2560
	v_fmac_f64_e32 v[14:15], v[22:23], v[12:13]
	v_add_f64 v[22:23], v[14:15], v[46:47]
	ds_read_b128 v[12:15], v30 offset:2816
	v_add_f64 v[20:21], v[44:45], v[52:53]
	s_waitcnt lgkmcnt(1)
	v_mul_f64 v[44:45], v[18:19], v[10:11]
	v_fma_f64 v[44:45], v[16:17], v[8:9], -v[44:45]
	v_add_f64 v[44:45], v[48:49], v[44:45]
	s_waitcnt lgkmcnt(0)
	v_mul_f64 v[48:49], v[18:19], v[14:15]
	v_mul_f64 v[46:47], v[16:17], v[10:11]
	v_fma_f64 v[48:49], v[16:17], v[12:13], -v[48:49]
	v_mul_f64 v[16:17], v[16:17], v[14:15]
	v_fmac_f64_e32 v[16:17], v[18:19], v[12:13]
	v_add_f64 v[36:37], v[16:17], v[36:37]
	v_mul_f64 v[16:17], v[2:3], v[10:11]
	v_mul_f64 v[10:11], v[0:1], v[10:11]
	v_fmac_f64_e32 v[46:47], v[18:19], v[8:9]
	v_fma_f64 v[16:17], v[0:1], v[8:9], -v[16:17]
	v_fmac_f64_e32 v[10:11], v[2:3], v[8:9]
	v_mul_f64 v[8:9], v[2:3], v[14:15]
	v_mul_f64 v[14:15], v[0:1], v[14:15]
	v_add_f64 v[40:41], v[40:41], v[16:17]
	v_add_f64 v[42:43], v[10:11], v[42:43]
	v_fma_f64 v[16:17], v[0:1], v[12:13], -v[8:9]
	v_fmac_f64_e32 v[14:15], v[2:3], v[12:13]
	ds_read_b128 v[0:3], v31 offset:96
	ds_read_b128 v[8:11], v30 offset:3072
	v_add_f64 v[46:47], v[46:47], v[50:51]
	v_add_f64 v[38:39], v[38:39], v[48:49]
	;; [unrolled: 1-line block ×4, first 2 shown]
	ds_read_b128 v[12:15], v30 offset:3328
	ds_read_b128 v[16:19], v31 offset:112
	s_waitcnt lgkmcnt(2)
	v_mul_f64 v[20:21], v[2:3], v[10:11]
	v_fma_f64 v[20:21], v[0:1], v[8:9], -v[20:21]
	v_mul_f64 v[22:23], v[0:1], v[10:11]
	v_fmac_f64_e32 v[22:23], v[2:3], v[8:9]
	v_add_f64 v[44:45], v[44:45], v[20:21]
	s_waitcnt lgkmcnt(1)
	v_mul_f64 v[20:21], v[2:3], v[14:15]
	v_add_f64 v[46:47], v[22:23], v[46:47]
	v_fma_f64 v[52:53], v[0:1], v[12:13], -v[20:21]
	ds_read_b128 v[20:23], v31 offset:2144
	v_mul_f64 v[0:1], v[0:1], v[14:15]
	v_fmac_f64_e32 v[0:1], v[2:3], v[12:13]
	v_add_f64 v[54:55], v[0:1], v[36:37]
	ds_read_b128 v[0:3], v31 offset:2160
	s_waitcnt lgkmcnt(1)
	v_mul_f64 v[36:37], v[22:23], v[10:11]
	v_mul_f64 v[10:11], v[20:21], v[10:11]
	v_fma_f64 v[36:37], v[20:21], v[8:9], -v[36:37]
	v_fmac_f64_e32 v[10:11], v[22:23], v[8:9]
	v_mul_f64 v[8:9], v[22:23], v[14:15]
	v_add_f64 v[40:41], v[40:41], v[36:37]
	v_add_f64 v[42:43], v[10:11], v[42:43]
	v_fma_f64 v[36:37], v[20:21], v[12:13], -v[8:9]
	ds_read_b128 v[8:11], v30 offset:3584
	v_add_f64 v[52:53], v[38:39], v[52:53]
	v_add_f64 v[48:49], v[48:49], v[36:37]
	ds_read_b128 v[36:39], v30 offset:3840
	v_mul_f64 v[14:15], v[20:21], v[14:15]
	v_fmac_f64_e32 v[14:15], v[22:23], v[12:13]
	s_waitcnt lgkmcnt(1)
	v_mul_f64 v[12:13], v[18:19], v[10:11]
	v_fma_f64 v[12:13], v[16:17], v[8:9], -v[12:13]
	v_add_f64 v[50:51], v[14:15], v[50:51]
	v_mul_f64 v[14:15], v[16:17], v[10:11]
	v_add_f64 v[20:21], v[44:45], v[12:13]
	s_waitcnt lgkmcnt(0)
	v_mul_f64 v[12:13], v[18:19], v[38:39]
	v_fmac_f64_e32 v[14:15], v[18:19], v[8:9]
	v_fma_f64 v[12:13], v[16:17], v[36:37], -v[12:13]
	v_add_f64 v[22:23], v[14:15], v[46:47]
	v_mul_f64 v[14:15], v[16:17], v[38:39]
	v_add_f64 v[16:17], v[52:53], v[12:13]
	v_mul_f64 v[12:13], v[2:3], v[10:11]
	v_mul_f64 v[10:11], v[0:1], v[10:11]
	v_fma_f64 v[12:13], v[0:1], v[8:9], -v[12:13]
	v_fmac_f64_e32 v[10:11], v[2:3], v[8:9]
	v_mul_f64 v[8:9], v[2:3], v[38:39]
	v_fma_f64 v[8:9], v[0:1], v[36:37], -v[8:9]
	v_mul_f64 v[0:1], v[0:1], v[38:39]
	v_fmac_f64_e32 v[14:15], v[18:19], v[36:37]
	v_fmac_f64_e32 v[0:1], v[2:3], v[36:37]
	v_add_f64 v[18:19], v[14:15], v[54:55]
	v_add_f64 v[12:13], v[40:41], v[12:13]
	;; [unrolled: 1-line block ×5, first 2 shown]
	v_lshl_add_u64 v[4:5], v[4:5], 0, s[22:23]
	s_cmp_lt_i32 s29, s7
	v_lshl_add_u64 v[6:7], v[6:7], 0, s[16:17]
	s_barrier
	s_cbranch_scc0 .LBB119_14
.LBB119_8:                              ; =>This Inner Loop Header: Depth=1
	v_add_u32_e32 v0, s29, v27
	v_cmp_le_i32_e64 s[2:3], s7, v0
	s_or_b64 s[2:3], s[24:25], s[2:3]
	s_and_saveexec_b64 s[26:27], s[2:3]
	s_xor_b64 s[2:3], exec, s[26:27]
; %bb.9:                                ;   in Loop: Header=BB119_8 Depth=1
	ds_write_b128 v28, v[32:35]
; %bb.10:                               ;   in Loop: Header=BB119_8 Depth=1
	s_andn2_saveexec_b64 s[2:3], s[2:3]
	s_cbranch_execz .LBB119_12
; %bb.11:                               ;   in Loop: Header=BB119_8 Depth=1
	global_load_dwordx4 v[0:3], v[4:5], off
	s_waitcnt vmcnt(0)
	ds_write2_b64 v28, v[0:1], v[2:3] offset1:1
.LBB119_12:                             ;   in Loop: Header=BB119_8 Depth=1
	s_or_b64 exec, exec, s[2:3]
	v_add_u32_e32 v0, s29, v26
	v_cmp_gt_i32_e64 s[2:3], s7, v0
	s_and_b64 s[26:27], s[2:3], vcc
	v_mov_b64_e32 v[0:1], 0
	v_mov_b64_e32 v[2:3], 0
	s_and_saveexec_b64 s[2:3], s[26:27]
	s_cbranch_execz .LBB119_7
; %bb.13:                               ;   in Loop: Header=BB119_8 Depth=1
	global_load_dwordx4 v[0:3], v[6:7], off offset:-8
	s_waitcnt vmcnt(0)
	v_xor_b32_e32 v3, 0x80000000, v3
	s_branch .LBB119_7
.LBB119_14:
	s_load_dwordx2 s[2:3], s[0:1], 0x58
	s_load_dword s22, s[0:1], 0x50
	v_add_u32_e32 v26, s5, v24
	v_add_u32_e32 v4, s28, v25
	v_cmp_le_i32_e32 vcc, v26, v4
	s_waitcnt lgkmcnt(0)
	s_mul_i32 s1, s3, s4
	s_mul_hi_u32 s3, s2, s4
	s_mul_i32 s0, s2, s4
	s_add_i32 s1, s3, s1
	s_lshl_b64 s[0:1], s[0:1], 4
	s_add_u32 s16, s20, s0
	s_addc_u32 s17, s21, s1
	v_cmp_neq_f64_e64 s[0:1], s[8:9], 0
	s_xor_b64 s[4:5], s[18:19], -1
	v_mad_i64_i32 v[0:1], s[2:3], v26, s22, 0
	s_or_b64 s[0:1], s[0:1], s[4:5]
	v_lshl_add_u64 v[24:25], v[0:1], 4, s[16:17]
	v_cmp_gt_i32_e64 s[2:3], s6, v4
	v_cndmask_b32_e64 v0, 0, 1, s[0:1]
	s_and_b64 s[18:19], vcc, s[2:3]
	v_ashrrev_i32_e32 v5, 31, v4
	v_cmp_ne_u32_e64 s[0:1], 1, v0
	s_and_saveexec_b64 s[4:5], s[18:19]
	s_cbranch_execz .LBB119_18
; %bb.15:
	v_mul_f64 v[0:1], s[14:15], v[22:23]
	v_mul_f64 v[2:3], s[12:13], v[22:23]
	v_fma_f64 v[0:1], s[12:13], v[20:21], -v[0:1]
	v_fmac_f64_e32 v[2:3], s[14:15], v[20:21]
	s_and_b64 vcc, exec, s[0:1]
	v_lshl_add_u64 v[6:7], v[4:5], 4, v[24:25]
	s_cbranch_vccnz .LBB119_17
; %bb.16:
	global_load_dwordx4 v[20:23], v[6:7], off
	s_waitcnt vmcnt(0)
	v_mul_f64 v[28:29], s[10:11], v[22:23]
	v_mul_f64 v[22:23], s[8:9], v[22:23]
	v_fma_f64 v[28:29], s[8:9], v[20:21], -v[28:29]
	v_fmac_f64_e32 v[22:23], s[10:11], v[20:21]
	v_add_f64 v[0:1], v[0:1], v[28:29]
	v_add_f64 v[2:3], v[2:3], v[22:23]
.LBB119_17:
	global_store_dwordx4 v[6:7], v[0:3], off
.LBB119_18:
	s_or_b64 exec, exec, s[4:5]
	v_add_u32_e32 v6, 16, v4
	v_cmp_le_i32_e32 vcc, v26, v6
	v_cmp_gt_i32_e64 s[4:5], s6, v6
	s_and_b64 s[18:19], vcc, s[4:5]
	v_ashrrev_i32_e32 v7, 31, v6
	s_and_saveexec_b64 s[6:7], s[18:19]
	s_cbranch_execz .LBB119_22
; %bb.19:
	v_mul_f64 v[0:1], s[14:15], v[18:19]
	v_mul_f64 v[2:3], s[12:13], v[18:19]
	v_fma_f64 v[0:1], s[12:13], v[16:17], -v[0:1]
	v_fmac_f64_e32 v[2:3], s[14:15], v[16:17]
	s_and_b64 vcc, exec, s[0:1]
	v_lshl_add_u64 v[16:17], v[6:7], 4, v[24:25]
	s_cbranch_vccnz .LBB119_21
; %bb.20:
	global_load_dwordx4 v[18:21], v[16:17], off
	s_waitcnt vmcnt(0)
	v_mul_f64 v[22:23], s[10:11], v[20:21]
	v_mul_f64 v[20:21], s[8:9], v[20:21]
	v_fma_f64 v[22:23], s[8:9], v[18:19], -v[22:23]
	v_fmac_f64_e32 v[20:21], s[10:11], v[18:19]
	v_add_f64 v[0:1], v[0:1], v[22:23]
	v_add_f64 v[2:3], v[2:3], v[20:21]
.LBB119_21:
	global_store_dwordx4 v[16:17], v[0:3], off
.LBB119_22:
	s_or_b64 exec, exec, s[6:7]
	v_add_u32_e32 v18, 16, v26
	v_mad_i64_i32 v[0:1], s[6:7], v18, s22, 0
	v_cmp_le_i32_e32 vcc, v18, v4
	v_lshl_add_u64 v[16:17], v[0:1], 4, s[16:17]
	s_and_b64 s[6:7], vcc, s[2:3]
	s_and_saveexec_b64 s[2:3], s[6:7]
	s_cbranch_execz .LBB119_26
; %bb.23:
	v_mul_f64 v[0:1], s[14:15], v[14:15]
	v_mul_f64 v[2:3], s[12:13], v[14:15]
	v_fma_f64 v[0:1], s[12:13], v[12:13], -v[0:1]
	v_fmac_f64_e32 v[2:3], s[14:15], v[12:13]
	s_and_b64 vcc, exec, s[0:1]
	v_lshl_add_u64 v[4:5], v[4:5], 4, v[16:17]
	s_cbranch_vccnz .LBB119_25
; %bb.24:
	global_load_dwordx4 v[12:15], v[4:5], off
	s_waitcnt vmcnt(0)
	v_mul_f64 v[20:21], s[10:11], v[14:15]
	v_mul_f64 v[14:15], s[8:9], v[14:15]
	v_fma_f64 v[20:21], s[8:9], v[12:13], -v[20:21]
	v_fmac_f64_e32 v[14:15], s[10:11], v[12:13]
	v_add_f64 v[0:1], v[0:1], v[20:21]
	v_add_f64 v[2:3], v[2:3], v[14:15]
.LBB119_25:
	global_store_dwordx4 v[4:5], v[0:3], off
.LBB119_26:
	s_or_b64 exec, exec, s[2:3]
	v_cmp_le_i32_e32 vcc, v18, v6
	s_and_b64 s[2:3], vcc, s[4:5]
	s_and_saveexec_b64 s[4:5], s[2:3]
	s_cbranch_execz .LBB119_30
; %bb.27:
	v_mul_f64 v[0:1], s[14:15], v[8:9]
	v_mul_f64 v[2:3], s[12:13], v[8:9]
	v_fma_f64 v[0:1], s[12:13], v[10:11], -v[0:1]
	v_fmac_f64_e32 v[2:3], s[14:15], v[10:11]
	s_and_b64 vcc, exec, s[0:1]
	v_lshl_add_u64 v[4:5], v[6:7], 4, v[16:17]
	s_cbranch_vccnz .LBB119_29
; %bb.28:
	global_load_dwordx4 v[6:9], v[4:5], off
	s_waitcnt vmcnt(0)
	v_mul_f64 v[10:11], s[10:11], v[8:9]
	v_mul_f64 v[8:9], s[8:9], v[8:9]
	v_fma_f64 v[10:11], s[8:9], v[6:7], -v[10:11]
	v_fmac_f64_e32 v[8:9], s[10:11], v[6:7]
	v_add_f64 v[0:1], v[0:1], v[10:11]
	v_add_f64 v[2:3], v[2:3], v[8:9]
.LBB119_29:
	global_store_dwordx4 v[4:5], v[0:3], off
.LBB119_30:
	s_endpgm
	.section	.rodata,"a",@progbits
	.p2align	6, 0x0
	.amdhsa_kernel _ZL29rocblas_internal_gemmt_kernelIiLi16ELi32ELi8ELc78ELc67ELc76ELb0ELb1E19rocblas_complex_numIdEPKS1_S3_PS1_EviT_T9_T10_S5_lS7_S5_lS6_T11_S5_li
		.amdhsa_group_segment_fixed_size 8192
		.amdhsa_private_segment_fixed_size 0
		.amdhsa_kernarg_size 100
		.amdhsa_user_sgpr_count 2
		.amdhsa_user_sgpr_dispatch_ptr 0
		.amdhsa_user_sgpr_queue_ptr 0
		.amdhsa_user_sgpr_kernarg_segment_ptr 1
		.amdhsa_user_sgpr_dispatch_id 0
		.amdhsa_user_sgpr_kernarg_preload_length 0
		.amdhsa_user_sgpr_kernarg_preload_offset 0
		.amdhsa_user_sgpr_private_segment_size 0
		.amdhsa_uses_dynamic_stack 0
		.amdhsa_enable_private_segment 0
		.amdhsa_system_sgpr_workgroup_id_x 1
		.amdhsa_system_sgpr_workgroup_id_y 1
		.amdhsa_system_sgpr_workgroup_id_z 1
		.amdhsa_system_sgpr_workgroup_info 0
		.amdhsa_system_vgpr_workitem_id 1
		.amdhsa_next_free_vgpr 62
		.amdhsa_next_free_sgpr 38
		.amdhsa_accum_offset 64
		.amdhsa_reserve_vcc 1
		.amdhsa_float_round_mode_32 0
		.amdhsa_float_round_mode_16_64 0
		.amdhsa_float_denorm_mode_32 3
		.amdhsa_float_denorm_mode_16_64 3
		.amdhsa_dx10_clamp 1
		.amdhsa_ieee_mode 1
		.amdhsa_fp16_overflow 0
		.amdhsa_tg_split 0
		.amdhsa_exception_fp_ieee_invalid_op 0
		.amdhsa_exception_fp_denorm_src 0
		.amdhsa_exception_fp_ieee_div_zero 0
		.amdhsa_exception_fp_ieee_overflow 0
		.amdhsa_exception_fp_ieee_underflow 0
		.amdhsa_exception_fp_ieee_inexact 0
		.amdhsa_exception_int_div_zero 0
	.end_amdhsa_kernel
	.section	.text._ZL29rocblas_internal_gemmt_kernelIiLi16ELi32ELi8ELc78ELc67ELc76ELb0ELb1E19rocblas_complex_numIdEPKS1_S3_PS1_EviT_T9_T10_S5_lS7_S5_lS6_T11_S5_li,"axG",@progbits,_ZL29rocblas_internal_gemmt_kernelIiLi16ELi32ELi8ELc78ELc67ELc76ELb0ELb1E19rocblas_complex_numIdEPKS1_S3_PS1_EviT_T9_T10_S5_lS7_S5_lS6_T11_S5_li,comdat
.Lfunc_end119:
	.size	_ZL29rocblas_internal_gemmt_kernelIiLi16ELi32ELi8ELc78ELc67ELc76ELb0ELb1E19rocblas_complex_numIdEPKS1_S3_PS1_EviT_T9_T10_S5_lS7_S5_lS6_T11_S5_li, .Lfunc_end119-_ZL29rocblas_internal_gemmt_kernelIiLi16ELi32ELi8ELc78ELc67ELc76ELb0ELb1E19rocblas_complex_numIdEPKS1_S3_PS1_EviT_T9_T10_S5_lS7_S5_lS6_T11_S5_li
                                        ; -- End function
	.set _ZL29rocblas_internal_gemmt_kernelIiLi16ELi32ELi8ELc78ELc67ELc76ELb0ELb1E19rocblas_complex_numIdEPKS1_S3_PS1_EviT_T9_T10_S5_lS7_S5_lS6_T11_S5_li.num_vgpr, 62
	.set _ZL29rocblas_internal_gemmt_kernelIiLi16ELi32ELi8ELc78ELc67ELc76ELb0ELb1E19rocblas_complex_numIdEPKS1_S3_PS1_EviT_T9_T10_S5_lS7_S5_lS6_T11_S5_li.num_agpr, 0
	.set _ZL29rocblas_internal_gemmt_kernelIiLi16ELi32ELi8ELc78ELc67ELc76ELb0ELb1E19rocblas_complex_numIdEPKS1_S3_PS1_EviT_T9_T10_S5_lS7_S5_lS6_T11_S5_li.numbered_sgpr, 38
	.set _ZL29rocblas_internal_gemmt_kernelIiLi16ELi32ELi8ELc78ELc67ELc76ELb0ELb1E19rocblas_complex_numIdEPKS1_S3_PS1_EviT_T9_T10_S5_lS7_S5_lS6_T11_S5_li.num_named_barrier, 0
	.set _ZL29rocblas_internal_gemmt_kernelIiLi16ELi32ELi8ELc78ELc67ELc76ELb0ELb1E19rocblas_complex_numIdEPKS1_S3_PS1_EviT_T9_T10_S5_lS7_S5_lS6_T11_S5_li.private_seg_size, 0
	.set _ZL29rocblas_internal_gemmt_kernelIiLi16ELi32ELi8ELc78ELc67ELc76ELb0ELb1E19rocblas_complex_numIdEPKS1_S3_PS1_EviT_T9_T10_S5_lS7_S5_lS6_T11_S5_li.uses_vcc, 1
	.set _ZL29rocblas_internal_gemmt_kernelIiLi16ELi32ELi8ELc78ELc67ELc76ELb0ELb1E19rocblas_complex_numIdEPKS1_S3_PS1_EviT_T9_T10_S5_lS7_S5_lS6_T11_S5_li.uses_flat_scratch, 0
	.set _ZL29rocblas_internal_gemmt_kernelIiLi16ELi32ELi8ELc78ELc67ELc76ELb0ELb1E19rocblas_complex_numIdEPKS1_S3_PS1_EviT_T9_T10_S5_lS7_S5_lS6_T11_S5_li.has_dyn_sized_stack, 0
	.set _ZL29rocblas_internal_gemmt_kernelIiLi16ELi32ELi8ELc78ELc67ELc76ELb0ELb1E19rocblas_complex_numIdEPKS1_S3_PS1_EviT_T9_T10_S5_lS7_S5_lS6_T11_S5_li.has_recursion, 0
	.set _ZL29rocblas_internal_gemmt_kernelIiLi16ELi32ELi8ELc78ELc67ELc76ELb0ELb1E19rocblas_complex_numIdEPKS1_S3_PS1_EviT_T9_T10_S5_lS7_S5_lS6_T11_S5_li.has_indirect_call, 0
	.section	.AMDGPU.csdata,"",@progbits
; Kernel info:
; codeLenInByte = 3136
; TotalNumSgprs: 44
; NumVgprs: 62
; NumAgprs: 0
; TotalNumVgprs: 62
; ScratchSize: 0
; MemoryBound: 1
; FloatMode: 240
; IeeeMode: 1
; LDSByteSize: 8192 bytes/workgroup (compile time only)
; SGPRBlocks: 5
; VGPRBlocks: 7
; NumSGPRsForWavesPerEU: 44
; NumVGPRsForWavesPerEU: 62
; AccumOffset: 64
; Occupancy: 8
; WaveLimiterHint : 0
; COMPUTE_PGM_RSRC2:SCRATCH_EN: 0
; COMPUTE_PGM_RSRC2:USER_SGPR: 2
; COMPUTE_PGM_RSRC2:TRAP_HANDLER: 0
; COMPUTE_PGM_RSRC2:TGID_X_EN: 1
; COMPUTE_PGM_RSRC2:TGID_Y_EN: 1
; COMPUTE_PGM_RSRC2:TGID_Z_EN: 1
; COMPUTE_PGM_RSRC2:TIDIG_COMP_CNT: 1
; COMPUTE_PGM_RSRC3_GFX90A:ACCUM_OFFSET: 15
; COMPUTE_PGM_RSRC3_GFX90A:TG_SPLIT: 0
	.section	.text._ZL29rocblas_internal_gemmt_kernelIiLi16ELi32ELi8ELc84ELc78ELc76ELb0ELb0E19rocblas_complex_numIdEPKS1_S3_PS1_EviT_T9_T10_S5_lS7_S5_lS6_T11_S5_li,"axG",@progbits,_ZL29rocblas_internal_gemmt_kernelIiLi16ELi32ELi8ELc84ELc78ELc76ELb0ELb0E19rocblas_complex_numIdEPKS1_S3_PS1_EviT_T9_T10_S5_lS7_S5_lS6_T11_S5_li,comdat
	.globl	_ZL29rocblas_internal_gemmt_kernelIiLi16ELi32ELi8ELc84ELc78ELc76ELb0ELb0E19rocblas_complex_numIdEPKS1_S3_PS1_EviT_T9_T10_S5_lS7_S5_lS6_T11_S5_li ; -- Begin function _ZL29rocblas_internal_gemmt_kernelIiLi16ELi32ELi8ELc84ELc78ELc76ELb0ELb0E19rocblas_complex_numIdEPKS1_S3_PS1_EviT_T9_T10_S5_lS7_S5_lS6_T11_S5_li
	.p2align	8
	.type	_ZL29rocblas_internal_gemmt_kernelIiLi16ELi32ELi8ELc84ELc78ELc76ELb0ELb0E19rocblas_complex_numIdEPKS1_S3_PS1_EviT_T9_T10_S5_lS7_S5_lS6_T11_S5_li,@function
_ZL29rocblas_internal_gemmt_kernelIiLi16ELi32ELi8ELc84ELc78ELc76ELb0ELb0E19rocblas_complex_numIdEPKS1_S3_PS1_EviT_T9_T10_S5_lS7_S5_lS6_T11_S5_li: ; @_ZL29rocblas_internal_gemmt_kernelIiLi16ELi32ELi8ELc84ELc78ELc76ELb0ELb0E19rocblas_complex_numIdEPKS1_S3_PS1_EviT_T9_T10_S5_lS7_S5_lS6_T11_S5_li
; %bb.0:
	s_load_dwordx4 s[16:19], s[0:1], 0x38
	s_load_dwordx4 s[20:23], s[0:1], 0x8
	s_mov_b64 s[24:25], 0
	s_waitcnt lgkmcnt(0)
	s_load_dwordx4 s[8:11], s[18:19], 0x0
	s_load_dwordx2 s[6:7], s[0:1], 0x0
	s_load_dwordx4 s[12:15], s[20:21], 0x0
	s_waitcnt lgkmcnt(0)
	v_cmp_eq_f64_e64 s[20:21], s[8:9], 1.0
	v_cmp_eq_f64_e64 s[18:19], s[10:11], 0
	s_and_b64 s[20:21], s[20:21], s[18:19]
	s_andn2_b64 vcc, exec, s[20:21]
	s_mov_b64 s[20:21], -1
	s_cbranch_vccnz .LBB120_4
; %bb.1:
	s_cmp_lg_u32 s7, 0
	s_cbranch_scc0 .LBB120_3
; %bb.2:
	v_cmp_neq_f64_e64 s[20:21], s[12:13], 0
	v_cmp_neq_f64_e64 s[24:25], s[14:15], 0
	s_or_b64 s[24:25], s[20:21], s[24:25]
.LBB120_3:
	s_mov_b64 s[20:21], s[24:25]
.LBB120_4:
	s_and_b64 vcc, exec, s[20:21]
	s_cbranch_vccz .LBB120_32
; %bb.5:
	s_lshl_b32 s28, s2, 5
	s_lshl_b32 s5, s3, 5
	v_cmp_eq_f64_e64 s[2:3], s[12:13], 0
	v_cmp_eq_f64_e64 s[24:25], s[14:15], 0
	s_load_dwordx2 s[20:21], s[0:1], 0x48
	s_and_b64 s[2:3], s[2:3], s[24:25]
	s_cmp_lt_i32 s7, 1
	s_cselect_b64 s[24:25], -1, 0
	s_or_b64 s[2:3], s[2:3], s[24:25]
	v_and_b32_e32 v25, 0x3ff, v0
	v_bfe_u32 v24, v0, 10, 10
	s_mov_b32 s29, 0
	v_mov_b64_e32 v[20:21], 0
	s_and_b64 vcc, exec, s[2:3]
	v_mov_b64_e32 v[22:23], 0
	v_mov_b64_e32 v[16:17], 0
	;; [unrolled: 1-line block ×7, first 2 shown]
	s_cbranch_vccnz .LBB120_16
; %bb.6:
	v_lshl_add_u32 v0, v24, 4, v25
	v_lshrrev_b32_e32 v27, 5, v0
	v_lshrrev_b32_e32 v1, 3, v0
	v_and_b32_e32 v0, 31, v0
	v_or_b32_e32 v2, s28, v0
	v_and_b32_e32 v26, 7, v25
	v_cmp_gt_i32_e32 vcc, s6, v2
	v_lshlrev_b32_e32 v2, 4, v0
	s_load_dword s30, s[0:1], 0x18
	s_load_dwordx4 s[24:27], s[0:1], 0x20
	s_load_dword s33, s[0:1], 0x30
	v_lshl_or_b32 v28, v27, 9, v2
	v_lshlrev_b32_e32 v2, 4, v26
	v_add_u32_e32 v3, s5, v1
	v_lshl_or_b32 v1, v1, 7, v2
	v_add_u32_e32 v29, 0x1000, v1
	v_mov_b32_e32 v1, 0x1000
	v_add_u32_e32 v0, s28, v0
	v_lshl_add_u32 v31, v24, 7, v1
	s_waitcnt lgkmcnt(0)
	v_mad_i64_i32 v[0:1], s[30:31], s30, v0, 0
	s_mul_i32 s25, s25, s4
	s_mul_hi_u32 s30, s24, s4
	s_add_i32 s25, s30, s25
	s_mul_i32 s24, s24, s4
	s_lshl_b64 s[24:25], s[24:25], 4
	v_lshl_add_u64 v[4:5], v[0:1], 4, s[24:25]
	v_lshlrev_b32_e32 v0, 4, v27
	v_mov_b32_e32 v1, 0
	v_lshl_add_u64 v[4:5], v[4:5], 0, v[0:1]
	v_lshl_add_u64 v[4:5], s[22:23], 0, v[4:5]
	v_mad_i64_i32 v[6:7], s[22:23], s33, v3, 0
	s_mul_i32 s17, s17, s4
	s_mul_hi_u32 s22, s16, s4
	s_add_i32 s17, s22, s17
	s_mul_i32 s16, s16, s4
	s_lshl_b64 s[16:17], s[16:17], 4
	v_cmp_gt_i32_e64 s[2:3], s6, v3
	v_lshl_add_u64 v[6:7], v[6:7], 4, s[16:17]
	v_mov_b32_e32 v3, v1
	v_lshl_add_u64 v[2:3], v[6:7], 0, v[2:3]
	v_lshlrev_b32_e32 v30, 4, v25
	v_lshl_add_u64 v[6:7], s[26:27], 0, v[2:3]
	v_mov_b64_e32 v[8:9], 0
	s_xor_b64 s[16:17], vcc, -1
	s_xor_b64 s[2:3], s[2:3], -1
	s_mov_b64 s[22:23], 0x80
	v_mov_b32_e32 v0, v1
	v_mov_b32_e32 v2, v1
	;; [unrolled: 1-line block ×3, first 2 shown]
	v_mov_b64_e32 v[10:11], 0
	v_mov_b64_e32 v[14:15], 0
	;; [unrolled: 1-line block ×7, first 2 shown]
	s_branch .LBB120_8
.LBB120_7:                              ;   in Loop: Header=BB120_8 Depth=1
	s_or_b64 exec, exec, s[24:25]
	s_waitcnt lgkmcnt(0)
	s_barrier
	ds_read_b128 v[32:35], v30
	ds_read_b128 v[36:39], v31
	ds_read_b128 v[40:43], v31 offset:16
	ds_read_b128 v[44:47], v31 offset:32
	;; [unrolled: 1-line block ×4, first 2 shown]
	s_waitcnt lgkmcnt(4)
	v_mul_f64 v[56:57], v[38:39], v[34:35]
	v_fma_f64 v[56:57], v[36:37], v[32:33], -v[56:57]
	v_mul_f64 v[58:59], v[36:37], v[34:35]
	v_fmac_f64_e32 v[58:59], v[38:39], v[32:33]
	v_add_f64 v[56:57], v[20:21], v[56:57]
	s_waitcnt lgkmcnt(0)
	v_mul_f64 v[20:21], v[38:39], v[54:55]
	v_add_f64 v[58:59], v[58:59], v[22:23]
	v_fma_f64 v[60:61], v[36:37], v[52:53], -v[20:21]
	ds_read_b128 v[20:23], v31 offset:2048
	v_mul_f64 v[36:37], v[36:37], v[54:55]
	v_fmac_f64_e32 v[36:37], v[38:39], v[52:53]
	v_add_f64 v[38:39], v[16:17], v[60:61]
	v_add_f64 v[36:37], v[36:37], v[18:19]
	ds_read_b128 v[16:19], v31 offset:2064
	s_waitcnt lgkmcnt(1)
	v_mul_f64 v[60:61], v[22:23], v[34:35]
	v_fma_f64 v[60:61], v[20:21], v[32:33], -v[60:61]
	v_mul_f64 v[34:35], v[20:21], v[34:35]
	v_fmac_f64_e32 v[34:35], v[22:23], v[32:33]
	v_add_f64 v[32:33], v[12:13], v[60:61]
	v_mul_f64 v[12:13], v[22:23], v[54:55]
	v_add_f64 v[34:35], v[34:35], v[14:15]
	v_fma_f64 v[60:61], v[20:21], v[52:53], -v[12:13]
	v_mul_f64 v[20:21], v[20:21], v[54:55]
	ds_read_b128 v[12:15], v30 offset:512
	v_fmac_f64_e32 v[20:21], v[22:23], v[52:53]
	v_add_f64 v[22:23], v[10:11], v[60:61]
	v_add_f64 v[20:21], v[20:21], v[8:9]
	ds_read_b128 v[8:11], v30 offset:768
	s_waitcnt lgkmcnt(1)
	v_mul_f64 v[52:53], v[42:43], v[14:15]
	v_fma_f64 v[52:53], v[40:41], v[12:13], -v[52:53]
	v_add_f64 v[52:53], v[56:57], v[52:53]
	v_mul_f64 v[54:55], v[40:41], v[14:15]
	s_waitcnt lgkmcnt(0)
	v_mul_f64 v[56:57], v[42:43], v[10:11]
	v_fma_f64 v[56:57], v[40:41], v[8:9], -v[56:57]
	v_mul_f64 v[40:41], v[40:41], v[10:11]
	v_fmac_f64_e32 v[40:41], v[42:43], v[8:9]
	v_add_f64 v[36:37], v[40:41], v[36:37]
	v_mul_f64 v[40:41], v[18:19], v[14:15]
	v_mul_f64 v[14:15], v[16:17], v[14:15]
	v_fmac_f64_e32 v[54:55], v[42:43], v[12:13]
	v_fma_f64 v[40:41], v[16:17], v[12:13], -v[40:41]
	v_fmac_f64_e32 v[14:15], v[18:19], v[12:13]
	v_mul_f64 v[12:13], v[18:19], v[10:11]
	v_add_f64 v[42:43], v[14:15], v[34:35]
	v_fma_f64 v[14:15], v[16:17], v[8:9], -v[12:13]
	v_mul_f64 v[16:17], v[16:17], v[10:11]
	ds_read_b128 v[10:13], v30 offset:1024
	v_fmac_f64_e32 v[16:17], v[18:19], v[8:9]
	v_add_f64 v[38:39], v[38:39], v[56:57]
	v_add_f64 v[22:23], v[22:23], v[14:15]
	;; [unrolled: 1-line block ×3, first 2 shown]
	ds_read_b128 v[14:17], v30 offset:1280
	s_waitcnt lgkmcnt(1)
	v_mul_f64 v[18:19], v[44:45], v[12:13]
	v_add_f64 v[54:55], v[54:55], v[58:59]
	v_fmac_f64_e32 v[18:19], v[46:47], v[10:11]
	v_add_f64 v[54:55], v[18:19], v[54:55]
	ds_read_b128 v[18:21], v31 offset:2080
	v_mul_f64 v[8:9], v[46:47], v[12:13]
	v_fma_f64 v[8:9], v[44:45], v[10:11], -v[8:9]
	v_add_f64 v[40:41], v[32:33], v[40:41]
	v_add_f64 v[52:53], v[52:53], v[8:9]
	s_waitcnt lgkmcnt(1)
	v_mul_f64 v[8:9], v[46:47], v[16:17]
	v_mul_f64 v[32:33], v[44:45], v[16:17]
	v_fma_f64 v[8:9], v[44:45], v[14:15], -v[8:9]
	v_fmac_f64_e32 v[32:33], v[46:47], v[14:15]
	v_add_f64 v[38:39], v[38:39], v[8:9]
	v_add_f64 v[36:37], v[32:33], v[36:37]
	ds_read_b128 v[32:35], v31 offset:2096
	s_waitcnt lgkmcnt(1)
	v_mul_f64 v[8:9], v[20:21], v[12:13]
	v_fma_f64 v[8:9], v[18:19], v[10:11], -v[8:9]
	v_mul_f64 v[12:13], v[18:19], v[12:13]
	v_fmac_f64_e32 v[12:13], v[20:21], v[10:11]
	v_add_f64 v[40:41], v[40:41], v[8:9]
	v_mul_f64 v[8:9], v[20:21], v[16:17]
	v_add_f64 v[42:43], v[12:13], v[42:43]
	v_fma_f64 v[12:13], v[18:19], v[14:15], -v[8:9]
	ds_read_b128 v[8:11], v30 offset:1536
	v_mul_f64 v[16:17], v[18:19], v[16:17]
	v_fmac_f64_e32 v[16:17], v[20:21], v[14:15]
	v_add_f64 v[18:19], v[22:23], v[12:13]
	ds_read_b128 v[12:15], v30 offset:1792
	s_waitcnt lgkmcnt(1)
	v_mul_f64 v[20:21], v[50:51], v[10:11]
	v_fma_f64 v[20:21], v[48:49], v[8:9], -v[20:21]
	v_mul_f64 v[22:23], v[48:49], v[10:11]
	v_fmac_f64_e32 v[22:23], v[50:51], v[8:9]
	v_add_f64 v[44:45], v[52:53], v[20:21]
	s_waitcnt lgkmcnt(0)
	v_mul_f64 v[20:21], v[50:51], v[14:15]
	v_add_f64 v[46:47], v[22:23], v[54:55]
	v_fma_f64 v[20:21], v[48:49], v[12:13], -v[20:21]
	v_mul_f64 v[22:23], v[48:49], v[14:15]
	v_fmac_f64_e32 v[22:23], v[50:51], v[12:13]
	v_add_f64 v[38:39], v[38:39], v[20:21]
	v_mul_f64 v[20:21], v[34:35], v[10:11]
	v_mul_f64 v[10:11], v[32:33], v[10:11]
	v_add_f64 v[36:37], v[22:23], v[36:37]
	v_fma_f64 v[20:21], v[32:33], v[8:9], -v[20:21]
	v_fmac_f64_e32 v[10:11], v[34:35], v[8:9]
	v_mul_f64 v[8:9], v[34:35], v[14:15]
	v_mul_f64 v[22:23], v[32:33], v[14:15]
	v_add_f64 v[40:41], v[40:41], v[20:21]
	v_add_f64 v[42:43], v[10:11], v[42:43]
	v_fma_f64 v[20:21], v[32:33], v[12:13], -v[8:9]
	v_fmac_f64_e32 v[22:23], v[34:35], v[12:13]
	ds_read_b128 v[8:11], v31 offset:64
	ds_read_b128 v[12:15], v30 offset:2048
	v_add_f64 v[16:17], v[16:17], v[56:57]
	v_add_f64 v[48:49], v[18:19], v[20:21]
	v_add_f64 v[50:51], v[22:23], v[16:17]
	ds_read_b128 v[16:19], v30 offset:2304
	ds_read_b128 v[20:23], v31 offset:80
	s_waitcnt lgkmcnt(2)
	v_mul_f64 v[32:33], v[10:11], v[14:15]
	v_fma_f64 v[32:33], v[8:9], v[12:13], -v[32:33]
	v_mul_f64 v[34:35], v[8:9], v[14:15]
	v_fmac_f64_e32 v[34:35], v[10:11], v[12:13]
	v_add_f64 v[44:45], v[44:45], v[32:33]
	s_waitcnt lgkmcnt(1)
	v_mul_f64 v[32:33], v[10:11], v[18:19]
	v_add_f64 v[46:47], v[34:35], v[46:47]
	v_fma_f64 v[52:53], v[8:9], v[16:17], -v[32:33]
	ds_read_b128 v[32:35], v31 offset:2112
	v_mul_f64 v[8:9], v[8:9], v[18:19]
	v_fmac_f64_e32 v[8:9], v[10:11], v[16:17]
	v_add_f64 v[38:39], v[38:39], v[52:53]
	v_add_f64 v[36:37], v[8:9], v[36:37]
	ds_read_b128 v[8:11], v31 offset:2128
	s_waitcnt lgkmcnt(1)
	v_mul_f64 v[52:53], v[34:35], v[14:15]
	v_mul_f64 v[14:15], v[32:33], v[14:15]
	v_fma_f64 v[52:53], v[32:33], v[12:13], -v[52:53]
	v_fmac_f64_e32 v[14:15], v[34:35], v[12:13]
	v_mul_f64 v[12:13], v[34:35], v[18:19]
	v_add_f64 v[40:41], v[40:41], v[52:53]
	v_add_f64 v[42:43], v[14:15], v[42:43]
	v_fma_f64 v[52:53], v[32:33], v[16:17], -v[12:13]
	v_mul_f64 v[18:19], v[32:33], v[18:19]
	ds_read_b128 v[12:15], v30 offset:2560
	v_fmac_f64_e32 v[18:19], v[34:35], v[16:17]
	v_add_f64 v[34:35], v[18:19], v[50:51]
	ds_read_b128 v[16:19], v30 offset:2816
	v_add_f64 v[32:33], v[48:49], v[52:53]
	s_waitcnt lgkmcnt(1)
	v_mul_f64 v[48:49], v[22:23], v[14:15]
	v_fma_f64 v[48:49], v[20:21], v[12:13], -v[48:49]
	v_add_f64 v[44:45], v[44:45], v[48:49]
	s_waitcnt lgkmcnt(0)
	v_mul_f64 v[48:49], v[22:23], v[18:19]
	v_mul_f64 v[50:51], v[20:21], v[14:15]
	v_fma_f64 v[48:49], v[20:21], v[16:17], -v[48:49]
	v_mul_f64 v[20:21], v[20:21], v[18:19]
	v_fmac_f64_e32 v[20:21], v[22:23], v[16:17]
	v_add_f64 v[36:37], v[20:21], v[36:37]
	v_mul_f64 v[20:21], v[10:11], v[14:15]
	v_mul_f64 v[14:15], v[8:9], v[14:15]
	v_fmac_f64_e32 v[50:51], v[22:23], v[12:13]
	v_fma_f64 v[20:21], v[8:9], v[12:13], -v[20:21]
	v_fmac_f64_e32 v[14:15], v[10:11], v[12:13]
	v_mul_f64 v[12:13], v[10:11], v[18:19]
	v_mul_f64 v[18:19], v[8:9], v[18:19]
	v_add_f64 v[40:41], v[40:41], v[20:21]
	v_add_f64 v[42:43], v[14:15], v[42:43]
	v_fma_f64 v[20:21], v[8:9], v[16:17], -v[12:13]
	v_fmac_f64_e32 v[18:19], v[10:11], v[16:17]
	ds_read_b128 v[8:11], v31 offset:96
	ds_read_b128 v[12:15], v30 offset:3072
	v_add_f64 v[46:47], v[50:51], v[46:47]
	v_add_f64 v[38:39], v[38:39], v[48:49]
	;; [unrolled: 1-line block ×4, first 2 shown]
	ds_read_b128 v[16:19], v30 offset:3328
	ds_read_b128 v[32:35], v31 offset:112
	s_waitcnt lgkmcnt(2)
	v_mul_f64 v[20:21], v[10:11], v[14:15]
	v_fma_f64 v[20:21], v[8:9], v[12:13], -v[20:21]
	v_mul_f64 v[22:23], v[8:9], v[14:15]
	v_fmac_f64_e32 v[22:23], v[10:11], v[12:13]
	v_add_f64 v[44:45], v[44:45], v[20:21]
	s_waitcnt lgkmcnt(1)
	v_mul_f64 v[20:21], v[10:11], v[18:19]
	v_add_f64 v[46:47], v[22:23], v[46:47]
	v_fma_f64 v[52:53], v[8:9], v[16:17], -v[20:21]
	ds_read_b128 v[20:23], v31 offset:2144
	v_mul_f64 v[8:9], v[8:9], v[18:19]
	v_fmac_f64_e32 v[8:9], v[10:11], v[16:17]
	v_add_f64 v[54:55], v[8:9], v[36:37]
	ds_read_b128 v[8:11], v31 offset:2160
	s_waitcnt lgkmcnt(1)
	v_mul_f64 v[36:37], v[22:23], v[14:15]
	v_mul_f64 v[14:15], v[20:21], v[14:15]
	v_fma_f64 v[36:37], v[20:21], v[12:13], -v[36:37]
	v_fmac_f64_e32 v[14:15], v[22:23], v[12:13]
	v_mul_f64 v[12:13], v[22:23], v[18:19]
	v_add_f64 v[40:41], v[40:41], v[36:37]
	v_add_f64 v[42:43], v[14:15], v[42:43]
	v_fma_f64 v[36:37], v[20:21], v[16:17], -v[12:13]
	ds_read_b128 v[12:15], v30 offset:3584
	v_add_f64 v[52:53], v[38:39], v[52:53]
	v_add_f64 v[48:49], v[48:49], v[36:37]
	ds_read_b128 v[36:39], v30 offset:3840
	v_mul_f64 v[18:19], v[20:21], v[18:19]
	v_fmac_f64_e32 v[18:19], v[22:23], v[16:17]
	s_waitcnt lgkmcnt(1)
	v_mul_f64 v[16:17], v[34:35], v[14:15]
	v_add_f64 v[50:51], v[18:19], v[50:51]
	v_fma_f64 v[16:17], v[32:33], v[12:13], -v[16:17]
	v_mul_f64 v[18:19], v[32:33], v[14:15]
	v_fmac_f64_e32 v[18:19], v[34:35], v[12:13]
	v_add_f64 v[20:21], v[44:45], v[16:17]
	s_waitcnt lgkmcnt(0)
	v_mul_f64 v[16:17], v[34:35], v[38:39]
	v_add_f64 v[22:23], v[18:19], v[46:47]
	v_fma_f64 v[16:17], v[32:33], v[36:37], -v[16:17]
	v_mul_f64 v[18:19], v[32:33], v[38:39]
	v_mul_f64 v[32:33], v[10:11], v[14:15]
	v_fma_f64 v[32:33], v[8:9], v[12:13], -v[32:33]
	v_mul_f64 v[14:15], v[8:9], v[14:15]
	v_fmac_f64_e32 v[14:15], v[10:11], v[12:13]
	v_add_f64 v[12:13], v[40:41], v[32:33]
	v_mul_f64 v[32:33], v[10:11], v[38:39]
	v_fma_f64 v[32:33], v[8:9], v[36:37], -v[32:33]
	v_mul_f64 v[8:9], v[8:9], v[38:39]
	v_fmac_f64_e32 v[18:19], v[34:35], v[36:37]
	v_fmac_f64_e32 v[8:9], v[10:11], v[36:37]
	s_add_i32 s29, s29, 8
	v_add_f64 v[16:17], v[52:53], v[16:17]
	v_add_f64 v[18:19], v[18:19], v[54:55]
	;; [unrolled: 1-line block ×5, first 2 shown]
	v_lshl_add_u64 v[4:5], v[4:5], 0, s[22:23]
	s_cmp_lt_i32 s29, s7
	v_lshl_add_u64 v[6:7], v[6:7], 0, s[22:23]
	s_barrier
	s_cbranch_scc0 .LBB120_16
.LBB120_8:                              ; =>This Inner Loop Header: Depth=1
	v_add_u32_e32 v32, s29, v27
	v_cmp_le_i32_e32 vcc, s7, v32
	s_or_b64 s[24:25], s[16:17], vcc
	s_and_saveexec_b64 s[26:27], s[24:25]
	s_xor_b64 s[24:25], exec, s[26:27]
; %bb.9:                                ;   in Loop: Header=BB120_8 Depth=1
	ds_write_b128 v28, v[0:3]
; %bb.10:                               ;   in Loop: Header=BB120_8 Depth=1
	s_andn2_saveexec_b64 s[24:25], s[24:25]
	s_cbranch_execz .LBB120_12
; %bb.11:                               ;   in Loop: Header=BB120_8 Depth=1
	global_load_dwordx4 v[32:35], v[4:5], off
	s_waitcnt vmcnt(0)
	ds_write2_b64 v28, v[32:33], v[34:35] offset1:1
.LBB120_12:                             ;   in Loop: Header=BB120_8 Depth=1
	s_or_b64 exec, exec, s[24:25]
	v_add_u32_e32 v32, s29, v26
	v_cmp_le_i32_e32 vcc, s7, v32
	s_or_b64 s[24:25], vcc, s[2:3]
	s_and_saveexec_b64 s[26:27], s[24:25]
	s_xor_b64 s[24:25], exec, s[26:27]
; %bb.13:                               ;   in Loop: Header=BB120_8 Depth=1
	ds_write_b128 v29, v[0:3]
; %bb.14:                               ;   in Loop: Header=BB120_8 Depth=1
	s_andn2_saveexec_b64 s[24:25], s[24:25]
	s_cbranch_execz .LBB120_7
; %bb.15:                               ;   in Loop: Header=BB120_8 Depth=1
	global_load_dwordx4 v[32:35], v[6:7], off
	s_waitcnt vmcnt(0)
	ds_write2_b64 v29, v[32:33], v[34:35] offset1:1
	s_branch .LBB120_7
.LBB120_16:
	s_load_dwordx2 s[2:3], s[0:1], 0x58
	s_load_dword s22, s[0:1], 0x50
	v_add_u32_e32 v26, s5, v24
	v_add_u32_e32 v4, s28, v25
	v_cmp_le_i32_e32 vcc, v26, v4
	s_waitcnt lgkmcnt(0)
	s_mul_i32 s1, s3, s4
	s_mul_hi_u32 s3, s2, s4
	s_mul_i32 s0, s2, s4
	s_add_i32 s1, s3, s1
	s_lshl_b64 s[0:1], s[0:1], 4
	s_add_u32 s16, s20, s0
	s_addc_u32 s17, s21, s1
	v_cmp_neq_f64_e64 s[0:1], s[8:9], 0
	s_xor_b64 s[4:5], s[18:19], -1
	v_mad_i64_i32 v[0:1], s[2:3], v26, s22, 0
	s_or_b64 s[0:1], s[0:1], s[4:5]
	v_lshl_add_u64 v[24:25], v[0:1], 4, s[16:17]
	v_cmp_gt_i32_e64 s[2:3], s6, v4
	v_cndmask_b32_e64 v0, 0, 1, s[0:1]
	s_and_b64 s[18:19], vcc, s[2:3]
	v_ashrrev_i32_e32 v5, 31, v4
	v_cmp_ne_u32_e64 s[0:1], 1, v0
	s_and_saveexec_b64 s[4:5], s[18:19]
	s_cbranch_execz .LBB120_20
; %bb.17:
	v_mul_f64 v[0:1], s[14:15], v[22:23]
	v_mul_f64 v[2:3], s[12:13], v[22:23]
	v_fma_f64 v[0:1], s[12:13], v[20:21], -v[0:1]
	v_fmac_f64_e32 v[2:3], s[14:15], v[20:21]
	s_and_b64 vcc, exec, s[0:1]
	v_lshl_add_u64 v[6:7], v[4:5], 4, v[24:25]
	s_cbranch_vccnz .LBB120_19
; %bb.18:
	global_load_dwordx4 v[20:23], v[6:7], off
	s_waitcnt vmcnt(0)
	v_mul_f64 v[28:29], s[10:11], v[22:23]
	v_mul_f64 v[22:23], s[8:9], v[22:23]
	v_fma_f64 v[28:29], s[8:9], v[20:21], -v[28:29]
	v_fmac_f64_e32 v[22:23], s[10:11], v[20:21]
	v_add_f64 v[0:1], v[0:1], v[28:29]
	v_add_f64 v[2:3], v[2:3], v[22:23]
.LBB120_19:
	global_store_dwordx4 v[6:7], v[0:3], off
.LBB120_20:
	s_or_b64 exec, exec, s[4:5]
	v_add_u32_e32 v6, 16, v4
	v_cmp_le_i32_e32 vcc, v26, v6
	v_cmp_gt_i32_e64 s[4:5], s6, v6
	s_and_b64 s[18:19], vcc, s[4:5]
	v_ashrrev_i32_e32 v7, 31, v6
	s_and_saveexec_b64 s[6:7], s[18:19]
	s_cbranch_execz .LBB120_24
; %bb.21:
	v_mul_f64 v[0:1], s[14:15], v[18:19]
	v_mul_f64 v[2:3], s[12:13], v[18:19]
	v_fma_f64 v[0:1], s[12:13], v[16:17], -v[0:1]
	v_fmac_f64_e32 v[2:3], s[14:15], v[16:17]
	s_and_b64 vcc, exec, s[0:1]
	v_lshl_add_u64 v[16:17], v[6:7], 4, v[24:25]
	s_cbranch_vccnz .LBB120_23
; %bb.22:
	global_load_dwordx4 v[18:21], v[16:17], off
	s_waitcnt vmcnt(0)
	v_mul_f64 v[22:23], s[10:11], v[20:21]
	v_mul_f64 v[20:21], s[8:9], v[20:21]
	v_fma_f64 v[22:23], s[8:9], v[18:19], -v[22:23]
	v_fmac_f64_e32 v[20:21], s[10:11], v[18:19]
	v_add_f64 v[0:1], v[0:1], v[22:23]
	v_add_f64 v[2:3], v[2:3], v[20:21]
.LBB120_23:
	global_store_dwordx4 v[16:17], v[0:3], off
.LBB120_24:
	s_or_b64 exec, exec, s[6:7]
	v_add_u32_e32 v18, 16, v26
	v_mad_i64_i32 v[0:1], s[6:7], v18, s22, 0
	v_cmp_le_i32_e32 vcc, v18, v4
	v_lshl_add_u64 v[16:17], v[0:1], 4, s[16:17]
	s_and_b64 s[6:7], vcc, s[2:3]
	s_and_saveexec_b64 s[2:3], s[6:7]
	s_cbranch_execz .LBB120_28
; %bb.25:
	v_mul_f64 v[0:1], s[14:15], v[14:15]
	v_mul_f64 v[2:3], s[12:13], v[14:15]
	v_fma_f64 v[0:1], s[12:13], v[12:13], -v[0:1]
	v_fmac_f64_e32 v[2:3], s[14:15], v[12:13]
	s_and_b64 vcc, exec, s[0:1]
	v_lshl_add_u64 v[4:5], v[4:5], 4, v[16:17]
	s_cbranch_vccnz .LBB120_27
; %bb.26:
	global_load_dwordx4 v[12:15], v[4:5], off
	s_waitcnt vmcnt(0)
	v_mul_f64 v[20:21], s[10:11], v[14:15]
	v_mul_f64 v[14:15], s[8:9], v[14:15]
	v_fma_f64 v[20:21], s[8:9], v[12:13], -v[20:21]
	v_fmac_f64_e32 v[14:15], s[10:11], v[12:13]
	v_add_f64 v[0:1], v[0:1], v[20:21]
	v_add_f64 v[2:3], v[2:3], v[14:15]
.LBB120_27:
	global_store_dwordx4 v[4:5], v[0:3], off
.LBB120_28:
	s_or_b64 exec, exec, s[2:3]
	v_cmp_le_i32_e32 vcc, v18, v6
	s_and_b64 s[2:3], vcc, s[4:5]
	s_and_saveexec_b64 s[4:5], s[2:3]
	s_cbranch_execz .LBB120_32
; %bb.29:
	v_mul_f64 v[0:1], s[14:15], v[8:9]
	v_mul_f64 v[2:3], s[12:13], v[8:9]
	v_fma_f64 v[0:1], s[12:13], v[10:11], -v[0:1]
	v_fmac_f64_e32 v[2:3], s[14:15], v[10:11]
	s_and_b64 vcc, exec, s[0:1]
	v_lshl_add_u64 v[4:5], v[6:7], 4, v[16:17]
	s_cbranch_vccnz .LBB120_31
; %bb.30:
	global_load_dwordx4 v[6:9], v[4:5], off
	s_waitcnt vmcnt(0)
	v_mul_f64 v[10:11], s[10:11], v[8:9]
	v_mul_f64 v[8:9], s[8:9], v[8:9]
	v_fma_f64 v[10:11], s[8:9], v[6:7], -v[10:11]
	v_fmac_f64_e32 v[8:9], s[10:11], v[6:7]
	v_add_f64 v[0:1], v[0:1], v[10:11]
	v_add_f64 v[2:3], v[2:3], v[8:9]
.LBB120_31:
	global_store_dwordx4 v[4:5], v[0:3], off
.LBB120_32:
	s_endpgm
	.section	.rodata,"a",@progbits
	.p2align	6, 0x0
	.amdhsa_kernel _ZL29rocblas_internal_gemmt_kernelIiLi16ELi32ELi8ELc84ELc78ELc76ELb0ELb0E19rocblas_complex_numIdEPKS1_S3_PS1_EviT_T9_T10_S5_lS7_S5_lS6_T11_S5_li
		.amdhsa_group_segment_fixed_size 8192
		.amdhsa_private_segment_fixed_size 0
		.amdhsa_kernarg_size 100
		.amdhsa_user_sgpr_count 2
		.amdhsa_user_sgpr_dispatch_ptr 0
		.amdhsa_user_sgpr_queue_ptr 0
		.amdhsa_user_sgpr_kernarg_segment_ptr 1
		.amdhsa_user_sgpr_dispatch_id 0
		.amdhsa_user_sgpr_kernarg_preload_length 0
		.amdhsa_user_sgpr_kernarg_preload_offset 0
		.amdhsa_user_sgpr_private_segment_size 0
		.amdhsa_uses_dynamic_stack 0
		.amdhsa_enable_private_segment 0
		.amdhsa_system_sgpr_workgroup_id_x 1
		.amdhsa_system_sgpr_workgroup_id_y 1
		.amdhsa_system_sgpr_workgroup_id_z 1
		.amdhsa_system_sgpr_workgroup_info 0
		.amdhsa_system_vgpr_workitem_id 1
		.amdhsa_next_free_vgpr 62
		.amdhsa_next_free_sgpr 34
		.amdhsa_accum_offset 64
		.amdhsa_reserve_vcc 1
		.amdhsa_float_round_mode_32 0
		.amdhsa_float_round_mode_16_64 0
		.amdhsa_float_denorm_mode_32 3
		.amdhsa_float_denorm_mode_16_64 3
		.amdhsa_dx10_clamp 1
		.amdhsa_ieee_mode 1
		.amdhsa_fp16_overflow 0
		.amdhsa_tg_split 0
		.amdhsa_exception_fp_ieee_invalid_op 0
		.amdhsa_exception_fp_denorm_src 0
		.amdhsa_exception_fp_ieee_div_zero 0
		.amdhsa_exception_fp_ieee_overflow 0
		.amdhsa_exception_fp_ieee_underflow 0
		.amdhsa_exception_fp_ieee_inexact 0
		.amdhsa_exception_int_div_zero 0
	.end_amdhsa_kernel
	.section	.text._ZL29rocblas_internal_gemmt_kernelIiLi16ELi32ELi8ELc84ELc78ELc76ELb0ELb0E19rocblas_complex_numIdEPKS1_S3_PS1_EviT_T9_T10_S5_lS7_S5_lS6_T11_S5_li,"axG",@progbits,_ZL29rocblas_internal_gemmt_kernelIiLi16ELi32ELi8ELc84ELc78ELc76ELb0ELb0E19rocblas_complex_numIdEPKS1_S3_PS1_EviT_T9_T10_S5_lS7_S5_lS6_T11_S5_li,comdat
.Lfunc_end120:
	.size	_ZL29rocblas_internal_gemmt_kernelIiLi16ELi32ELi8ELc84ELc78ELc76ELb0ELb0E19rocblas_complex_numIdEPKS1_S3_PS1_EviT_T9_T10_S5_lS7_S5_lS6_T11_S5_li, .Lfunc_end120-_ZL29rocblas_internal_gemmt_kernelIiLi16ELi32ELi8ELc84ELc78ELc76ELb0ELb0E19rocblas_complex_numIdEPKS1_S3_PS1_EviT_T9_T10_S5_lS7_S5_lS6_T11_S5_li
                                        ; -- End function
	.set _ZL29rocblas_internal_gemmt_kernelIiLi16ELi32ELi8ELc84ELc78ELc76ELb0ELb0E19rocblas_complex_numIdEPKS1_S3_PS1_EviT_T9_T10_S5_lS7_S5_lS6_T11_S5_li.num_vgpr, 62
	.set _ZL29rocblas_internal_gemmt_kernelIiLi16ELi32ELi8ELc84ELc78ELc76ELb0ELb0E19rocblas_complex_numIdEPKS1_S3_PS1_EviT_T9_T10_S5_lS7_S5_lS6_T11_S5_li.num_agpr, 0
	.set _ZL29rocblas_internal_gemmt_kernelIiLi16ELi32ELi8ELc84ELc78ELc76ELb0ELb0E19rocblas_complex_numIdEPKS1_S3_PS1_EviT_T9_T10_S5_lS7_S5_lS6_T11_S5_li.numbered_sgpr, 34
	.set _ZL29rocblas_internal_gemmt_kernelIiLi16ELi32ELi8ELc84ELc78ELc76ELb0ELb0E19rocblas_complex_numIdEPKS1_S3_PS1_EviT_T9_T10_S5_lS7_S5_lS6_T11_S5_li.num_named_barrier, 0
	.set _ZL29rocblas_internal_gemmt_kernelIiLi16ELi32ELi8ELc84ELc78ELc76ELb0ELb0E19rocblas_complex_numIdEPKS1_S3_PS1_EviT_T9_T10_S5_lS7_S5_lS6_T11_S5_li.private_seg_size, 0
	.set _ZL29rocblas_internal_gemmt_kernelIiLi16ELi32ELi8ELc84ELc78ELc76ELb0ELb0E19rocblas_complex_numIdEPKS1_S3_PS1_EviT_T9_T10_S5_lS7_S5_lS6_T11_S5_li.uses_vcc, 1
	.set _ZL29rocblas_internal_gemmt_kernelIiLi16ELi32ELi8ELc84ELc78ELc76ELb0ELb0E19rocblas_complex_numIdEPKS1_S3_PS1_EviT_T9_T10_S5_lS7_S5_lS6_T11_S5_li.uses_flat_scratch, 0
	.set _ZL29rocblas_internal_gemmt_kernelIiLi16ELi32ELi8ELc84ELc78ELc76ELb0ELb0E19rocblas_complex_numIdEPKS1_S3_PS1_EviT_T9_T10_S5_lS7_S5_lS6_T11_S5_li.has_dyn_sized_stack, 0
	.set _ZL29rocblas_internal_gemmt_kernelIiLi16ELi32ELi8ELc84ELc78ELc76ELb0ELb0E19rocblas_complex_numIdEPKS1_S3_PS1_EviT_T9_T10_S5_lS7_S5_lS6_T11_S5_li.has_recursion, 0
	.set _ZL29rocblas_internal_gemmt_kernelIiLi16ELi32ELi8ELc84ELc78ELc76ELb0ELb0E19rocblas_complex_numIdEPKS1_S3_PS1_EviT_T9_T10_S5_lS7_S5_lS6_T11_S5_li.has_indirect_call, 0
	.section	.AMDGPU.csdata,"",@progbits
; Kernel info:
; codeLenInByte = 3112
; TotalNumSgprs: 40
; NumVgprs: 62
; NumAgprs: 0
; TotalNumVgprs: 62
; ScratchSize: 0
; MemoryBound: 0
; FloatMode: 240
; IeeeMode: 1
; LDSByteSize: 8192 bytes/workgroup (compile time only)
; SGPRBlocks: 4
; VGPRBlocks: 7
; NumSGPRsForWavesPerEU: 40
; NumVGPRsForWavesPerEU: 62
; AccumOffset: 64
; Occupancy: 8
; WaveLimiterHint : 0
; COMPUTE_PGM_RSRC2:SCRATCH_EN: 0
; COMPUTE_PGM_RSRC2:USER_SGPR: 2
; COMPUTE_PGM_RSRC2:TRAP_HANDLER: 0
; COMPUTE_PGM_RSRC2:TGID_X_EN: 1
; COMPUTE_PGM_RSRC2:TGID_Y_EN: 1
; COMPUTE_PGM_RSRC2:TGID_Z_EN: 1
; COMPUTE_PGM_RSRC2:TIDIG_COMP_CNT: 1
; COMPUTE_PGM_RSRC3_GFX90A:ACCUM_OFFSET: 15
; COMPUTE_PGM_RSRC3_GFX90A:TG_SPLIT: 0
	.section	.text._ZL29rocblas_internal_gemmt_kernelIiLi16ELi32ELi8ELc84ELc84ELc76ELb0ELb0E19rocblas_complex_numIdEPKS1_S3_PS1_EviT_T9_T10_S5_lS7_S5_lS6_T11_S5_li,"axG",@progbits,_ZL29rocblas_internal_gemmt_kernelIiLi16ELi32ELi8ELc84ELc84ELc76ELb0ELb0E19rocblas_complex_numIdEPKS1_S3_PS1_EviT_T9_T10_S5_lS7_S5_lS6_T11_S5_li,comdat
	.globl	_ZL29rocblas_internal_gemmt_kernelIiLi16ELi32ELi8ELc84ELc84ELc76ELb0ELb0E19rocblas_complex_numIdEPKS1_S3_PS1_EviT_T9_T10_S5_lS7_S5_lS6_T11_S5_li ; -- Begin function _ZL29rocblas_internal_gemmt_kernelIiLi16ELi32ELi8ELc84ELc84ELc76ELb0ELb0E19rocblas_complex_numIdEPKS1_S3_PS1_EviT_T9_T10_S5_lS7_S5_lS6_T11_S5_li
	.p2align	8
	.type	_ZL29rocblas_internal_gemmt_kernelIiLi16ELi32ELi8ELc84ELc84ELc76ELb0ELb0E19rocblas_complex_numIdEPKS1_S3_PS1_EviT_T9_T10_S5_lS7_S5_lS6_T11_S5_li,@function
_ZL29rocblas_internal_gemmt_kernelIiLi16ELi32ELi8ELc84ELc84ELc76ELb0ELb0E19rocblas_complex_numIdEPKS1_S3_PS1_EviT_T9_T10_S5_lS7_S5_lS6_T11_S5_li: ; @_ZL29rocblas_internal_gemmt_kernelIiLi16ELi32ELi8ELc84ELc84ELc76ELb0ELb0E19rocblas_complex_numIdEPKS1_S3_PS1_EviT_T9_T10_S5_lS7_S5_lS6_T11_S5_li
; %bb.0:
	s_load_dwordx4 s[16:19], s[0:1], 0x38
	s_load_dwordx4 s[20:23], s[0:1], 0x8
	s_mov_b64 s[24:25], 0
	s_waitcnt lgkmcnt(0)
	s_load_dwordx4 s[8:11], s[18:19], 0x0
	s_load_dwordx2 s[6:7], s[0:1], 0x0
	s_load_dwordx4 s[12:15], s[20:21], 0x0
	s_waitcnt lgkmcnt(0)
	v_cmp_eq_f64_e64 s[20:21], s[8:9], 1.0
	v_cmp_eq_f64_e64 s[18:19], s[10:11], 0
	s_and_b64 s[20:21], s[20:21], s[18:19]
	s_andn2_b64 vcc, exec, s[20:21]
	s_mov_b64 s[20:21], -1
	s_cbranch_vccnz .LBB121_4
; %bb.1:
	s_cmp_lg_u32 s7, 0
	s_cbranch_scc0 .LBB121_3
; %bb.2:
	v_cmp_neq_f64_e64 s[20:21], s[12:13], 0
	v_cmp_neq_f64_e64 s[24:25], s[14:15], 0
	s_or_b64 s[24:25], s[20:21], s[24:25]
.LBB121_3:
	s_mov_b64 s[20:21], s[24:25]
.LBB121_4:
	s_and_b64 vcc, exec, s[20:21]
	s_cbranch_vccz .LBB121_32
; %bb.5:
	s_lshl_b32 s28, s2, 5
	s_lshl_b32 s5, s3, 5
	v_cmp_eq_f64_e64 s[2:3], s[12:13], 0
	v_cmp_eq_f64_e64 s[24:25], s[14:15], 0
	s_load_dwordx2 s[20:21], s[0:1], 0x48
	s_and_b64 s[2:3], s[2:3], s[24:25]
	s_cmp_lt_i32 s7, 1
	s_cselect_b64 s[24:25], -1, 0
	s_or_b64 s[2:3], s[2:3], s[24:25]
	v_and_b32_e32 v25, 0x3ff, v0
	v_bfe_u32 v24, v0, 10, 10
	s_mov_b32 s29, 0
	v_mov_b64_e32 v[20:21], 0
	s_and_b64 vcc, exec, s[2:3]
	v_mov_b64_e32 v[22:23], 0
	v_mov_b64_e32 v[16:17], 0
	;; [unrolled: 1-line block ×7, first 2 shown]
	s_cbranch_vccnz .LBB121_16
; %bb.6:
	v_lshl_add_u32 v0, v24, 4, v25
	v_lshrrev_b32_e32 v27, 5, v0
	v_lshrrev_b32_e32 v1, 3, v0
	v_and_b32_e32 v0, 31, v0
	s_load_dword s33, s[0:1], 0x18
	s_load_dword s30, s[0:1], 0x30
	s_load_dwordx4 s[24:27], s[0:1], 0x20
	v_or_b32_e32 v3, s28, v0
	v_and_b32_e32 v26, 7, v25
	v_cmp_gt_i32_e32 vcc, s6, v3
	v_lshlrev_b32_e32 v3, 4, v0
	v_lshl_or_b32 v28, v27, 9, v3
	v_lshlrev_b32_e32 v3, 4, v26
	v_add_u32_e32 v2, s5, v1
	v_lshl_or_b32 v1, v1, 7, v3
	v_add_u32_e32 v29, 0x1000, v1
	v_mov_b32_e32 v1, 0x1000
	v_add_u32_e32 v0, s28, v0
	v_lshl_add_u32 v31, v24, 7, v1
	s_waitcnt lgkmcnt(0)
	v_mad_i64_i32 v[0:1], s[34:35], s33, v0, 0
	s_mul_i32 s25, s25, s4
	s_mul_hi_u32 s33, s24, s4
	s_add_i32 s25, s33, s25
	s_mul_i32 s24, s24, s4
	s_lshl_b64 s[24:25], s[24:25], 4
	v_lshl_add_u64 v[4:5], v[0:1], 4, s[24:25]
	v_lshlrev_b32_e32 v0, 4, v27
	v_mov_b32_e32 v1, 0
	v_lshl_add_u64 v[4:5], v[4:5], 0, v[0:1]
	v_lshl_add_u64 v[4:5], s[22:23], 0, v[4:5]
	s_mul_i32 s17, s17, s4
	s_mul_hi_u32 s22, s16, s4
	s_add_i32 s17, s22, s17
	v_mad_i64_i32 v[6:7], s[22:23], s30, v26, 0
	s_mul_i32 s16, s16, s4
	v_lshlrev_b64 v[6:7], 4, v[6:7]
	v_ashrrev_i32_e32 v3, 31, v2
	v_lshl_add_u64 v[6:7], s[16:17], 4, v[6:7]
	s_ashr_i32 s31, s30, 31
	v_cmp_gt_i32_e64 s[2:3], s6, v2
	v_lshl_add_u64 v[2:3], v[2:3], 4, v[6:7]
	v_lshlrev_b32_e32 v30, 4, v25
	v_lshl_add_u64 v[6:7], s[26:27], 0, v[2:3]
	s_lshl_b64 s[16:17], s[30:31], 7
	v_mov_b64_e32 v[8:9], 0
	s_xor_b64 s[22:23], vcc, -1
	s_xor_b64 s[2:3], s[2:3], -1
	s_mov_b64 s[24:25], 0x80
	v_mov_b32_e32 v0, v1
	v_mov_b32_e32 v2, v1
	v_mov_b32_e32 v3, v1
	v_mov_b64_e32 v[10:11], 0
	v_mov_b64_e32 v[14:15], 0
	;; [unrolled: 1-line block ×7, first 2 shown]
	s_branch .LBB121_8
.LBB121_7:                              ;   in Loop: Header=BB121_8 Depth=1
	s_or_b64 exec, exec, s[26:27]
	s_waitcnt lgkmcnt(0)
	s_barrier
	ds_read_b128 v[32:35], v30
	ds_read_b128 v[36:39], v31
	ds_read_b128 v[40:43], v31 offset:16
	ds_read_b128 v[44:47], v31 offset:32
	;; [unrolled: 1-line block ×4, first 2 shown]
	s_waitcnt lgkmcnt(4)
	v_mul_f64 v[56:57], v[38:39], v[34:35]
	v_fma_f64 v[56:57], v[36:37], v[32:33], -v[56:57]
	v_mul_f64 v[58:59], v[36:37], v[34:35]
	v_fmac_f64_e32 v[58:59], v[38:39], v[32:33]
	v_add_f64 v[56:57], v[20:21], v[56:57]
	s_waitcnt lgkmcnt(0)
	v_mul_f64 v[20:21], v[38:39], v[54:55]
	v_add_f64 v[58:59], v[58:59], v[22:23]
	v_fma_f64 v[60:61], v[36:37], v[52:53], -v[20:21]
	ds_read_b128 v[20:23], v31 offset:2048
	v_mul_f64 v[36:37], v[36:37], v[54:55]
	v_fmac_f64_e32 v[36:37], v[38:39], v[52:53]
	v_add_f64 v[38:39], v[16:17], v[60:61]
	v_add_f64 v[36:37], v[36:37], v[18:19]
	ds_read_b128 v[16:19], v31 offset:2064
	s_waitcnt lgkmcnt(1)
	v_mul_f64 v[60:61], v[22:23], v[34:35]
	v_fma_f64 v[60:61], v[20:21], v[32:33], -v[60:61]
	v_mul_f64 v[34:35], v[20:21], v[34:35]
	v_fmac_f64_e32 v[34:35], v[22:23], v[32:33]
	v_add_f64 v[32:33], v[12:13], v[60:61]
	v_mul_f64 v[12:13], v[22:23], v[54:55]
	v_add_f64 v[34:35], v[34:35], v[14:15]
	v_fma_f64 v[60:61], v[20:21], v[52:53], -v[12:13]
	v_mul_f64 v[20:21], v[20:21], v[54:55]
	ds_read_b128 v[12:15], v30 offset:512
	v_fmac_f64_e32 v[20:21], v[22:23], v[52:53]
	v_add_f64 v[22:23], v[10:11], v[60:61]
	v_add_f64 v[20:21], v[20:21], v[8:9]
	ds_read_b128 v[8:11], v30 offset:768
	s_waitcnt lgkmcnt(1)
	v_mul_f64 v[52:53], v[42:43], v[14:15]
	v_fma_f64 v[52:53], v[40:41], v[12:13], -v[52:53]
	v_add_f64 v[52:53], v[56:57], v[52:53]
	v_mul_f64 v[54:55], v[40:41], v[14:15]
	s_waitcnt lgkmcnt(0)
	v_mul_f64 v[56:57], v[42:43], v[10:11]
	v_fma_f64 v[56:57], v[40:41], v[8:9], -v[56:57]
	v_mul_f64 v[40:41], v[40:41], v[10:11]
	v_fmac_f64_e32 v[40:41], v[42:43], v[8:9]
	v_add_f64 v[36:37], v[40:41], v[36:37]
	v_mul_f64 v[40:41], v[18:19], v[14:15]
	v_mul_f64 v[14:15], v[16:17], v[14:15]
	v_fmac_f64_e32 v[54:55], v[42:43], v[12:13]
	v_fma_f64 v[40:41], v[16:17], v[12:13], -v[40:41]
	v_fmac_f64_e32 v[14:15], v[18:19], v[12:13]
	v_mul_f64 v[12:13], v[18:19], v[10:11]
	v_add_f64 v[42:43], v[14:15], v[34:35]
	v_fma_f64 v[14:15], v[16:17], v[8:9], -v[12:13]
	v_mul_f64 v[16:17], v[16:17], v[10:11]
	ds_read_b128 v[10:13], v30 offset:1024
	v_fmac_f64_e32 v[16:17], v[18:19], v[8:9]
	v_add_f64 v[38:39], v[38:39], v[56:57]
	v_add_f64 v[22:23], v[22:23], v[14:15]
	v_add_f64 v[56:57], v[16:17], v[20:21]
	ds_read_b128 v[14:17], v30 offset:1280
	s_waitcnt lgkmcnt(1)
	v_mul_f64 v[18:19], v[44:45], v[12:13]
	v_add_f64 v[54:55], v[54:55], v[58:59]
	v_fmac_f64_e32 v[18:19], v[46:47], v[10:11]
	v_add_f64 v[54:55], v[18:19], v[54:55]
	ds_read_b128 v[18:21], v31 offset:2080
	v_mul_f64 v[8:9], v[46:47], v[12:13]
	v_fma_f64 v[8:9], v[44:45], v[10:11], -v[8:9]
	v_add_f64 v[40:41], v[32:33], v[40:41]
	v_add_f64 v[52:53], v[52:53], v[8:9]
	s_waitcnt lgkmcnt(1)
	v_mul_f64 v[8:9], v[46:47], v[16:17]
	v_mul_f64 v[32:33], v[44:45], v[16:17]
	v_fma_f64 v[8:9], v[44:45], v[14:15], -v[8:9]
	v_fmac_f64_e32 v[32:33], v[46:47], v[14:15]
	v_add_f64 v[38:39], v[38:39], v[8:9]
	v_add_f64 v[36:37], v[32:33], v[36:37]
	ds_read_b128 v[32:35], v31 offset:2096
	s_waitcnt lgkmcnt(1)
	v_mul_f64 v[8:9], v[20:21], v[12:13]
	v_fma_f64 v[8:9], v[18:19], v[10:11], -v[8:9]
	v_mul_f64 v[12:13], v[18:19], v[12:13]
	v_fmac_f64_e32 v[12:13], v[20:21], v[10:11]
	v_add_f64 v[40:41], v[40:41], v[8:9]
	v_mul_f64 v[8:9], v[20:21], v[16:17]
	v_add_f64 v[42:43], v[12:13], v[42:43]
	v_fma_f64 v[12:13], v[18:19], v[14:15], -v[8:9]
	ds_read_b128 v[8:11], v30 offset:1536
	v_mul_f64 v[16:17], v[18:19], v[16:17]
	v_fmac_f64_e32 v[16:17], v[20:21], v[14:15]
	v_add_f64 v[18:19], v[22:23], v[12:13]
	ds_read_b128 v[12:15], v30 offset:1792
	s_waitcnt lgkmcnt(1)
	v_mul_f64 v[20:21], v[50:51], v[10:11]
	v_fma_f64 v[20:21], v[48:49], v[8:9], -v[20:21]
	v_mul_f64 v[22:23], v[48:49], v[10:11]
	v_fmac_f64_e32 v[22:23], v[50:51], v[8:9]
	v_add_f64 v[44:45], v[52:53], v[20:21]
	s_waitcnt lgkmcnt(0)
	v_mul_f64 v[20:21], v[50:51], v[14:15]
	v_add_f64 v[46:47], v[22:23], v[54:55]
	v_fma_f64 v[20:21], v[48:49], v[12:13], -v[20:21]
	v_mul_f64 v[22:23], v[48:49], v[14:15]
	v_fmac_f64_e32 v[22:23], v[50:51], v[12:13]
	v_add_f64 v[38:39], v[38:39], v[20:21]
	v_mul_f64 v[20:21], v[34:35], v[10:11]
	v_mul_f64 v[10:11], v[32:33], v[10:11]
	v_add_f64 v[36:37], v[22:23], v[36:37]
	v_fma_f64 v[20:21], v[32:33], v[8:9], -v[20:21]
	v_fmac_f64_e32 v[10:11], v[34:35], v[8:9]
	v_mul_f64 v[8:9], v[34:35], v[14:15]
	v_mul_f64 v[22:23], v[32:33], v[14:15]
	v_add_f64 v[40:41], v[40:41], v[20:21]
	v_add_f64 v[42:43], v[10:11], v[42:43]
	v_fma_f64 v[20:21], v[32:33], v[12:13], -v[8:9]
	v_fmac_f64_e32 v[22:23], v[34:35], v[12:13]
	ds_read_b128 v[8:11], v31 offset:64
	ds_read_b128 v[12:15], v30 offset:2048
	v_add_f64 v[16:17], v[16:17], v[56:57]
	v_add_f64 v[48:49], v[18:19], v[20:21]
	;; [unrolled: 1-line block ×3, first 2 shown]
	ds_read_b128 v[16:19], v30 offset:2304
	ds_read_b128 v[20:23], v31 offset:80
	s_waitcnt lgkmcnt(2)
	v_mul_f64 v[32:33], v[10:11], v[14:15]
	v_fma_f64 v[32:33], v[8:9], v[12:13], -v[32:33]
	v_mul_f64 v[34:35], v[8:9], v[14:15]
	v_fmac_f64_e32 v[34:35], v[10:11], v[12:13]
	v_add_f64 v[44:45], v[44:45], v[32:33]
	s_waitcnt lgkmcnt(1)
	v_mul_f64 v[32:33], v[10:11], v[18:19]
	v_add_f64 v[46:47], v[34:35], v[46:47]
	v_fma_f64 v[52:53], v[8:9], v[16:17], -v[32:33]
	ds_read_b128 v[32:35], v31 offset:2112
	v_mul_f64 v[8:9], v[8:9], v[18:19]
	v_fmac_f64_e32 v[8:9], v[10:11], v[16:17]
	v_add_f64 v[38:39], v[38:39], v[52:53]
	v_add_f64 v[36:37], v[8:9], v[36:37]
	ds_read_b128 v[8:11], v31 offset:2128
	s_waitcnt lgkmcnt(1)
	v_mul_f64 v[52:53], v[34:35], v[14:15]
	v_mul_f64 v[14:15], v[32:33], v[14:15]
	v_fma_f64 v[52:53], v[32:33], v[12:13], -v[52:53]
	v_fmac_f64_e32 v[14:15], v[34:35], v[12:13]
	v_mul_f64 v[12:13], v[34:35], v[18:19]
	v_add_f64 v[40:41], v[40:41], v[52:53]
	v_add_f64 v[42:43], v[14:15], v[42:43]
	v_fma_f64 v[52:53], v[32:33], v[16:17], -v[12:13]
	v_mul_f64 v[18:19], v[32:33], v[18:19]
	ds_read_b128 v[12:15], v30 offset:2560
	v_fmac_f64_e32 v[18:19], v[34:35], v[16:17]
	v_add_f64 v[34:35], v[18:19], v[50:51]
	ds_read_b128 v[16:19], v30 offset:2816
	v_add_f64 v[32:33], v[48:49], v[52:53]
	s_waitcnt lgkmcnt(1)
	v_mul_f64 v[48:49], v[22:23], v[14:15]
	v_fma_f64 v[48:49], v[20:21], v[12:13], -v[48:49]
	v_add_f64 v[44:45], v[44:45], v[48:49]
	s_waitcnt lgkmcnt(0)
	v_mul_f64 v[48:49], v[22:23], v[18:19]
	v_mul_f64 v[50:51], v[20:21], v[14:15]
	v_fma_f64 v[48:49], v[20:21], v[16:17], -v[48:49]
	v_mul_f64 v[20:21], v[20:21], v[18:19]
	v_fmac_f64_e32 v[20:21], v[22:23], v[16:17]
	v_add_f64 v[36:37], v[20:21], v[36:37]
	v_mul_f64 v[20:21], v[10:11], v[14:15]
	v_mul_f64 v[14:15], v[8:9], v[14:15]
	v_fmac_f64_e32 v[50:51], v[22:23], v[12:13]
	v_fma_f64 v[20:21], v[8:9], v[12:13], -v[20:21]
	v_fmac_f64_e32 v[14:15], v[10:11], v[12:13]
	v_mul_f64 v[12:13], v[10:11], v[18:19]
	v_mul_f64 v[18:19], v[8:9], v[18:19]
	v_add_f64 v[40:41], v[40:41], v[20:21]
	v_add_f64 v[42:43], v[14:15], v[42:43]
	v_fma_f64 v[20:21], v[8:9], v[16:17], -v[12:13]
	v_fmac_f64_e32 v[18:19], v[10:11], v[16:17]
	ds_read_b128 v[8:11], v31 offset:96
	ds_read_b128 v[12:15], v30 offset:3072
	v_add_f64 v[46:47], v[50:51], v[46:47]
	v_add_f64 v[38:39], v[38:39], v[48:49]
	;; [unrolled: 1-line block ×4, first 2 shown]
	ds_read_b128 v[16:19], v30 offset:3328
	ds_read_b128 v[32:35], v31 offset:112
	s_waitcnt lgkmcnt(2)
	v_mul_f64 v[20:21], v[10:11], v[14:15]
	v_fma_f64 v[20:21], v[8:9], v[12:13], -v[20:21]
	v_mul_f64 v[22:23], v[8:9], v[14:15]
	v_fmac_f64_e32 v[22:23], v[10:11], v[12:13]
	v_add_f64 v[44:45], v[44:45], v[20:21]
	s_waitcnt lgkmcnt(1)
	v_mul_f64 v[20:21], v[10:11], v[18:19]
	v_add_f64 v[46:47], v[22:23], v[46:47]
	v_fma_f64 v[52:53], v[8:9], v[16:17], -v[20:21]
	ds_read_b128 v[20:23], v31 offset:2144
	v_mul_f64 v[8:9], v[8:9], v[18:19]
	v_fmac_f64_e32 v[8:9], v[10:11], v[16:17]
	v_add_f64 v[54:55], v[8:9], v[36:37]
	ds_read_b128 v[8:11], v31 offset:2160
	s_waitcnt lgkmcnt(1)
	v_mul_f64 v[36:37], v[22:23], v[14:15]
	v_mul_f64 v[14:15], v[20:21], v[14:15]
	v_fma_f64 v[36:37], v[20:21], v[12:13], -v[36:37]
	v_fmac_f64_e32 v[14:15], v[22:23], v[12:13]
	v_mul_f64 v[12:13], v[22:23], v[18:19]
	v_add_f64 v[40:41], v[40:41], v[36:37]
	v_add_f64 v[42:43], v[14:15], v[42:43]
	v_fma_f64 v[36:37], v[20:21], v[16:17], -v[12:13]
	ds_read_b128 v[12:15], v30 offset:3584
	v_add_f64 v[52:53], v[38:39], v[52:53]
	v_add_f64 v[48:49], v[48:49], v[36:37]
	ds_read_b128 v[36:39], v30 offset:3840
	v_mul_f64 v[18:19], v[20:21], v[18:19]
	v_fmac_f64_e32 v[18:19], v[22:23], v[16:17]
	s_waitcnt lgkmcnt(1)
	v_mul_f64 v[16:17], v[34:35], v[14:15]
	v_add_f64 v[50:51], v[18:19], v[50:51]
	v_fma_f64 v[16:17], v[32:33], v[12:13], -v[16:17]
	v_mul_f64 v[18:19], v[32:33], v[14:15]
	v_fmac_f64_e32 v[18:19], v[34:35], v[12:13]
	v_add_f64 v[20:21], v[44:45], v[16:17]
	s_waitcnt lgkmcnt(0)
	v_mul_f64 v[16:17], v[34:35], v[38:39]
	v_add_f64 v[22:23], v[18:19], v[46:47]
	v_fma_f64 v[16:17], v[32:33], v[36:37], -v[16:17]
	v_mul_f64 v[18:19], v[32:33], v[38:39]
	v_mul_f64 v[32:33], v[10:11], v[14:15]
	v_fma_f64 v[32:33], v[8:9], v[12:13], -v[32:33]
	v_mul_f64 v[14:15], v[8:9], v[14:15]
	v_fmac_f64_e32 v[14:15], v[10:11], v[12:13]
	v_add_f64 v[12:13], v[40:41], v[32:33]
	v_mul_f64 v[32:33], v[10:11], v[38:39]
	v_fma_f64 v[32:33], v[8:9], v[36:37], -v[32:33]
	v_mul_f64 v[8:9], v[8:9], v[38:39]
	v_fmac_f64_e32 v[18:19], v[34:35], v[36:37]
	v_fmac_f64_e32 v[8:9], v[10:11], v[36:37]
	s_add_i32 s29, s29, 8
	v_add_f64 v[16:17], v[52:53], v[16:17]
	v_add_f64 v[18:19], v[18:19], v[54:55]
	v_add_f64 v[14:15], v[14:15], v[42:43]
	v_add_f64 v[10:11], v[48:49], v[32:33]
	v_add_f64 v[8:9], v[8:9], v[50:51]
	v_lshl_add_u64 v[4:5], v[4:5], 0, s[24:25]
	s_cmp_lt_i32 s29, s7
	v_lshl_add_u64 v[6:7], v[6:7], 0, s[16:17]
	s_barrier
	s_cbranch_scc0 .LBB121_16
.LBB121_8:                              ; =>This Inner Loop Header: Depth=1
	v_add_u32_e32 v32, s29, v27
	v_cmp_le_i32_e32 vcc, s7, v32
	s_or_b64 s[26:27], s[22:23], vcc
	s_and_saveexec_b64 s[30:31], s[26:27]
	s_xor_b64 s[26:27], exec, s[30:31]
; %bb.9:                                ;   in Loop: Header=BB121_8 Depth=1
	ds_write_b128 v28, v[0:3]
; %bb.10:                               ;   in Loop: Header=BB121_8 Depth=1
	s_andn2_saveexec_b64 s[26:27], s[26:27]
	s_cbranch_execz .LBB121_12
; %bb.11:                               ;   in Loop: Header=BB121_8 Depth=1
	global_load_dwordx4 v[32:35], v[4:5], off
	s_waitcnt vmcnt(0)
	ds_write2_b64 v28, v[32:33], v[34:35] offset1:1
.LBB121_12:                             ;   in Loop: Header=BB121_8 Depth=1
	s_or_b64 exec, exec, s[26:27]
	v_add_u32_e32 v32, s29, v26
	v_cmp_le_i32_e32 vcc, s7, v32
	s_or_b64 s[26:27], vcc, s[2:3]
	s_and_saveexec_b64 s[30:31], s[26:27]
	s_xor_b64 s[26:27], exec, s[30:31]
; %bb.13:                               ;   in Loop: Header=BB121_8 Depth=1
	ds_write_b128 v29, v[0:3]
; %bb.14:                               ;   in Loop: Header=BB121_8 Depth=1
	s_andn2_saveexec_b64 s[26:27], s[26:27]
	s_cbranch_execz .LBB121_7
; %bb.15:                               ;   in Loop: Header=BB121_8 Depth=1
	global_load_dwordx4 v[32:35], v[6:7], off
	s_waitcnt vmcnt(0)
	ds_write2_b64 v29, v[32:33], v[34:35] offset1:1
	s_branch .LBB121_7
.LBB121_16:
	s_load_dwordx2 s[2:3], s[0:1], 0x58
	s_load_dword s22, s[0:1], 0x50
	v_add_u32_e32 v26, s5, v24
	v_add_u32_e32 v4, s28, v25
	v_cmp_le_i32_e32 vcc, v26, v4
	s_waitcnt lgkmcnt(0)
	s_mul_i32 s1, s3, s4
	s_mul_hi_u32 s3, s2, s4
	s_mul_i32 s0, s2, s4
	s_add_i32 s1, s3, s1
	s_lshl_b64 s[0:1], s[0:1], 4
	s_add_u32 s16, s20, s0
	s_addc_u32 s17, s21, s1
	v_cmp_neq_f64_e64 s[0:1], s[8:9], 0
	s_xor_b64 s[4:5], s[18:19], -1
	v_mad_i64_i32 v[0:1], s[2:3], v26, s22, 0
	s_or_b64 s[0:1], s[0:1], s[4:5]
	v_lshl_add_u64 v[24:25], v[0:1], 4, s[16:17]
	v_cmp_gt_i32_e64 s[2:3], s6, v4
	v_cndmask_b32_e64 v0, 0, 1, s[0:1]
	s_and_b64 s[18:19], vcc, s[2:3]
	v_ashrrev_i32_e32 v5, 31, v4
	v_cmp_ne_u32_e64 s[0:1], 1, v0
	s_and_saveexec_b64 s[4:5], s[18:19]
	s_cbranch_execz .LBB121_20
; %bb.17:
	v_mul_f64 v[0:1], s[14:15], v[22:23]
	v_mul_f64 v[2:3], s[12:13], v[22:23]
	v_fma_f64 v[0:1], s[12:13], v[20:21], -v[0:1]
	v_fmac_f64_e32 v[2:3], s[14:15], v[20:21]
	s_and_b64 vcc, exec, s[0:1]
	v_lshl_add_u64 v[6:7], v[4:5], 4, v[24:25]
	s_cbranch_vccnz .LBB121_19
; %bb.18:
	global_load_dwordx4 v[20:23], v[6:7], off
	s_waitcnt vmcnt(0)
	v_mul_f64 v[28:29], s[10:11], v[22:23]
	v_mul_f64 v[22:23], s[8:9], v[22:23]
	v_fma_f64 v[28:29], s[8:9], v[20:21], -v[28:29]
	v_fmac_f64_e32 v[22:23], s[10:11], v[20:21]
	v_add_f64 v[0:1], v[0:1], v[28:29]
	v_add_f64 v[2:3], v[2:3], v[22:23]
.LBB121_19:
	global_store_dwordx4 v[6:7], v[0:3], off
.LBB121_20:
	s_or_b64 exec, exec, s[4:5]
	v_add_u32_e32 v6, 16, v4
	v_cmp_le_i32_e32 vcc, v26, v6
	v_cmp_gt_i32_e64 s[4:5], s6, v6
	s_and_b64 s[18:19], vcc, s[4:5]
	v_ashrrev_i32_e32 v7, 31, v6
	s_and_saveexec_b64 s[6:7], s[18:19]
	s_cbranch_execz .LBB121_24
; %bb.21:
	v_mul_f64 v[0:1], s[14:15], v[18:19]
	v_mul_f64 v[2:3], s[12:13], v[18:19]
	v_fma_f64 v[0:1], s[12:13], v[16:17], -v[0:1]
	v_fmac_f64_e32 v[2:3], s[14:15], v[16:17]
	s_and_b64 vcc, exec, s[0:1]
	v_lshl_add_u64 v[16:17], v[6:7], 4, v[24:25]
	s_cbranch_vccnz .LBB121_23
; %bb.22:
	global_load_dwordx4 v[18:21], v[16:17], off
	s_waitcnt vmcnt(0)
	v_mul_f64 v[22:23], s[10:11], v[20:21]
	v_mul_f64 v[20:21], s[8:9], v[20:21]
	v_fma_f64 v[22:23], s[8:9], v[18:19], -v[22:23]
	v_fmac_f64_e32 v[20:21], s[10:11], v[18:19]
	v_add_f64 v[0:1], v[0:1], v[22:23]
	v_add_f64 v[2:3], v[2:3], v[20:21]
.LBB121_23:
	global_store_dwordx4 v[16:17], v[0:3], off
.LBB121_24:
	s_or_b64 exec, exec, s[6:7]
	v_add_u32_e32 v18, 16, v26
	v_mad_i64_i32 v[0:1], s[6:7], v18, s22, 0
	v_cmp_le_i32_e32 vcc, v18, v4
	v_lshl_add_u64 v[16:17], v[0:1], 4, s[16:17]
	s_and_b64 s[6:7], vcc, s[2:3]
	s_and_saveexec_b64 s[2:3], s[6:7]
	s_cbranch_execz .LBB121_28
; %bb.25:
	v_mul_f64 v[0:1], s[14:15], v[14:15]
	v_mul_f64 v[2:3], s[12:13], v[14:15]
	v_fma_f64 v[0:1], s[12:13], v[12:13], -v[0:1]
	v_fmac_f64_e32 v[2:3], s[14:15], v[12:13]
	s_and_b64 vcc, exec, s[0:1]
	v_lshl_add_u64 v[4:5], v[4:5], 4, v[16:17]
	s_cbranch_vccnz .LBB121_27
; %bb.26:
	global_load_dwordx4 v[12:15], v[4:5], off
	s_waitcnt vmcnt(0)
	v_mul_f64 v[20:21], s[10:11], v[14:15]
	v_mul_f64 v[14:15], s[8:9], v[14:15]
	v_fma_f64 v[20:21], s[8:9], v[12:13], -v[20:21]
	v_fmac_f64_e32 v[14:15], s[10:11], v[12:13]
	v_add_f64 v[0:1], v[0:1], v[20:21]
	v_add_f64 v[2:3], v[2:3], v[14:15]
.LBB121_27:
	global_store_dwordx4 v[4:5], v[0:3], off
.LBB121_28:
	s_or_b64 exec, exec, s[2:3]
	v_cmp_le_i32_e32 vcc, v18, v6
	s_and_b64 s[2:3], vcc, s[4:5]
	s_and_saveexec_b64 s[4:5], s[2:3]
	s_cbranch_execz .LBB121_32
; %bb.29:
	v_mul_f64 v[0:1], s[14:15], v[8:9]
	v_mul_f64 v[2:3], s[12:13], v[8:9]
	v_fma_f64 v[0:1], s[12:13], v[10:11], -v[0:1]
	v_fmac_f64_e32 v[2:3], s[14:15], v[10:11]
	s_and_b64 vcc, exec, s[0:1]
	v_lshl_add_u64 v[4:5], v[6:7], 4, v[16:17]
	s_cbranch_vccnz .LBB121_31
; %bb.30:
	global_load_dwordx4 v[6:9], v[4:5], off
	s_waitcnt vmcnt(0)
	v_mul_f64 v[10:11], s[10:11], v[8:9]
	v_mul_f64 v[8:9], s[8:9], v[8:9]
	v_fma_f64 v[10:11], s[8:9], v[6:7], -v[10:11]
	v_fmac_f64_e32 v[8:9], s[10:11], v[6:7]
	v_add_f64 v[0:1], v[0:1], v[10:11]
	v_add_f64 v[2:3], v[2:3], v[8:9]
.LBB121_31:
	global_store_dwordx4 v[4:5], v[0:3], off
.LBB121_32:
	s_endpgm
	.section	.rodata,"a",@progbits
	.p2align	6, 0x0
	.amdhsa_kernel _ZL29rocblas_internal_gemmt_kernelIiLi16ELi32ELi8ELc84ELc84ELc76ELb0ELb0E19rocblas_complex_numIdEPKS1_S3_PS1_EviT_T9_T10_S5_lS7_S5_lS6_T11_S5_li
		.amdhsa_group_segment_fixed_size 8192
		.amdhsa_private_segment_fixed_size 0
		.amdhsa_kernarg_size 100
		.amdhsa_user_sgpr_count 2
		.amdhsa_user_sgpr_dispatch_ptr 0
		.amdhsa_user_sgpr_queue_ptr 0
		.amdhsa_user_sgpr_kernarg_segment_ptr 1
		.amdhsa_user_sgpr_dispatch_id 0
		.amdhsa_user_sgpr_kernarg_preload_length 0
		.amdhsa_user_sgpr_kernarg_preload_offset 0
		.amdhsa_user_sgpr_private_segment_size 0
		.amdhsa_uses_dynamic_stack 0
		.amdhsa_enable_private_segment 0
		.amdhsa_system_sgpr_workgroup_id_x 1
		.amdhsa_system_sgpr_workgroup_id_y 1
		.amdhsa_system_sgpr_workgroup_id_z 1
		.amdhsa_system_sgpr_workgroup_info 0
		.amdhsa_system_vgpr_workitem_id 1
		.amdhsa_next_free_vgpr 62
		.amdhsa_next_free_sgpr 36
		.amdhsa_accum_offset 64
		.amdhsa_reserve_vcc 1
		.amdhsa_float_round_mode_32 0
		.amdhsa_float_round_mode_16_64 0
		.amdhsa_float_denorm_mode_32 3
		.amdhsa_float_denorm_mode_16_64 3
		.amdhsa_dx10_clamp 1
		.amdhsa_ieee_mode 1
		.amdhsa_fp16_overflow 0
		.amdhsa_tg_split 0
		.amdhsa_exception_fp_ieee_invalid_op 0
		.amdhsa_exception_fp_denorm_src 0
		.amdhsa_exception_fp_ieee_div_zero 0
		.amdhsa_exception_fp_ieee_overflow 0
		.amdhsa_exception_fp_ieee_underflow 0
		.amdhsa_exception_fp_ieee_inexact 0
		.amdhsa_exception_int_div_zero 0
	.end_amdhsa_kernel
	.section	.text._ZL29rocblas_internal_gemmt_kernelIiLi16ELi32ELi8ELc84ELc84ELc76ELb0ELb0E19rocblas_complex_numIdEPKS1_S3_PS1_EviT_T9_T10_S5_lS7_S5_lS6_T11_S5_li,"axG",@progbits,_ZL29rocblas_internal_gemmt_kernelIiLi16ELi32ELi8ELc84ELc84ELc76ELb0ELb0E19rocblas_complex_numIdEPKS1_S3_PS1_EviT_T9_T10_S5_lS7_S5_lS6_T11_S5_li,comdat
.Lfunc_end121:
	.size	_ZL29rocblas_internal_gemmt_kernelIiLi16ELi32ELi8ELc84ELc84ELc76ELb0ELb0E19rocblas_complex_numIdEPKS1_S3_PS1_EviT_T9_T10_S5_lS7_S5_lS6_T11_S5_li, .Lfunc_end121-_ZL29rocblas_internal_gemmt_kernelIiLi16ELi32ELi8ELc84ELc84ELc76ELb0ELb0E19rocblas_complex_numIdEPKS1_S3_PS1_EviT_T9_T10_S5_lS7_S5_lS6_T11_S5_li
                                        ; -- End function
	.set _ZL29rocblas_internal_gemmt_kernelIiLi16ELi32ELi8ELc84ELc84ELc76ELb0ELb0E19rocblas_complex_numIdEPKS1_S3_PS1_EviT_T9_T10_S5_lS7_S5_lS6_T11_S5_li.num_vgpr, 62
	.set _ZL29rocblas_internal_gemmt_kernelIiLi16ELi32ELi8ELc84ELc84ELc76ELb0ELb0E19rocblas_complex_numIdEPKS1_S3_PS1_EviT_T9_T10_S5_lS7_S5_lS6_T11_S5_li.num_agpr, 0
	.set _ZL29rocblas_internal_gemmt_kernelIiLi16ELi32ELi8ELc84ELc84ELc76ELb0ELb0E19rocblas_complex_numIdEPKS1_S3_PS1_EviT_T9_T10_S5_lS7_S5_lS6_T11_S5_li.numbered_sgpr, 36
	.set _ZL29rocblas_internal_gemmt_kernelIiLi16ELi32ELi8ELc84ELc84ELc76ELb0ELb0E19rocblas_complex_numIdEPKS1_S3_PS1_EviT_T9_T10_S5_lS7_S5_lS6_T11_S5_li.num_named_barrier, 0
	.set _ZL29rocblas_internal_gemmt_kernelIiLi16ELi32ELi8ELc84ELc84ELc76ELb0ELb0E19rocblas_complex_numIdEPKS1_S3_PS1_EviT_T9_T10_S5_lS7_S5_lS6_T11_S5_li.private_seg_size, 0
	.set _ZL29rocblas_internal_gemmt_kernelIiLi16ELi32ELi8ELc84ELc84ELc76ELb0ELb0E19rocblas_complex_numIdEPKS1_S3_PS1_EviT_T9_T10_S5_lS7_S5_lS6_T11_S5_li.uses_vcc, 1
	.set _ZL29rocblas_internal_gemmt_kernelIiLi16ELi32ELi8ELc84ELc84ELc76ELb0ELb0E19rocblas_complex_numIdEPKS1_S3_PS1_EviT_T9_T10_S5_lS7_S5_lS6_T11_S5_li.uses_flat_scratch, 0
	.set _ZL29rocblas_internal_gemmt_kernelIiLi16ELi32ELi8ELc84ELc84ELc76ELb0ELb0E19rocblas_complex_numIdEPKS1_S3_PS1_EviT_T9_T10_S5_lS7_S5_lS6_T11_S5_li.has_dyn_sized_stack, 0
	.set _ZL29rocblas_internal_gemmt_kernelIiLi16ELi32ELi8ELc84ELc84ELc76ELb0ELb0E19rocblas_complex_numIdEPKS1_S3_PS1_EviT_T9_T10_S5_lS7_S5_lS6_T11_S5_li.has_recursion, 0
	.set _ZL29rocblas_internal_gemmt_kernelIiLi16ELi32ELi8ELc84ELc84ELc76ELb0ELb0E19rocblas_complex_numIdEPKS1_S3_PS1_EviT_T9_T10_S5_lS7_S5_lS6_T11_S5_li.has_indirect_call, 0
	.section	.AMDGPU.csdata,"",@progbits
; Kernel info:
; codeLenInByte = 3124
; TotalNumSgprs: 42
; NumVgprs: 62
; NumAgprs: 0
; TotalNumVgprs: 62
; ScratchSize: 0
; MemoryBound: 0
; FloatMode: 240
; IeeeMode: 1
; LDSByteSize: 8192 bytes/workgroup (compile time only)
; SGPRBlocks: 5
; VGPRBlocks: 7
; NumSGPRsForWavesPerEU: 42
; NumVGPRsForWavesPerEU: 62
; AccumOffset: 64
; Occupancy: 8
; WaveLimiterHint : 0
; COMPUTE_PGM_RSRC2:SCRATCH_EN: 0
; COMPUTE_PGM_RSRC2:USER_SGPR: 2
; COMPUTE_PGM_RSRC2:TRAP_HANDLER: 0
; COMPUTE_PGM_RSRC2:TGID_X_EN: 1
; COMPUTE_PGM_RSRC2:TGID_Y_EN: 1
; COMPUTE_PGM_RSRC2:TGID_Z_EN: 1
; COMPUTE_PGM_RSRC2:TIDIG_COMP_CNT: 1
; COMPUTE_PGM_RSRC3_GFX90A:ACCUM_OFFSET: 15
; COMPUTE_PGM_RSRC3_GFX90A:TG_SPLIT: 0
	.section	.text._ZL29rocblas_internal_gemmt_kernelIiLi16ELi32ELi8ELc84ELc67ELc76ELb0ELb1E19rocblas_complex_numIdEPKS1_S3_PS1_EviT_T9_T10_S5_lS7_S5_lS6_T11_S5_li,"axG",@progbits,_ZL29rocblas_internal_gemmt_kernelIiLi16ELi32ELi8ELc84ELc67ELc76ELb0ELb1E19rocblas_complex_numIdEPKS1_S3_PS1_EviT_T9_T10_S5_lS7_S5_lS6_T11_S5_li,comdat
	.globl	_ZL29rocblas_internal_gemmt_kernelIiLi16ELi32ELi8ELc84ELc67ELc76ELb0ELb1E19rocblas_complex_numIdEPKS1_S3_PS1_EviT_T9_T10_S5_lS7_S5_lS6_T11_S5_li ; -- Begin function _ZL29rocblas_internal_gemmt_kernelIiLi16ELi32ELi8ELc84ELc67ELc76ELb0ELb1E19rocblas_complex_numIdEPKS1_S3_PS1_EviT_T9_T10_S5_lS7_S5_lS6_T11_S5_li
	.p2align	8
	.type	_ZL29rocblas_internal_gemmt_kernelIiLi16ELi32ELi8ELc84ELc67ELc76ELb0ELb1E19rocblas_complex_numIdEPKS1_S3_PS1_EviT_T9_T10_S5_lS7_S5_lS6_T11_S5_li,@function
_ZL29rocblas_internal_gemmt_kernelIiLi16ELi32ELi8ELc84ELc67ELc76ELb0ELb1E19rocblas_complex_numIdEPKS1_S3_PS1_EviT_T9_T10_S5_lS7_S5_lS6_T11_S5_li: ; @_ZL29rocblas_internal_gemmt_kernelIiLi16ELi32ELi8ELc84ELc67ELc76ELb0ELb1E19rocblas_complex_numIdEPKS1_S3_PS1_EviT_T9_T10_S5_lS7_S5_lS6_T11_S5_li
; %bb.0:
	s_load_dwordx4 s[16:19], s[0:1], 0x38
	s_load_dwordx4 s[20:23], s[0:1], 0x8
	s_mov_b64 s[24:25], 0
	s_waitcnt lgkmcnt(0)
	s_load_dwordx4 s[8:11], s[18:19], 0x0
	s_load_dwordx2 s[6:7], s[0:1], 0x0
	s_load_dwordx4 s[12:15], s[20:21], 0x0
	s_waitcnt lgkmcnt(0)
	v_cmp_eq_f64_e64 s[20:21], s[8:9], 1.0
	v_cmp_eq_f64_e64 s[18:19], s[10:11], 0
	s_and_b64 s[20:21], s[20:21], s[18:19]
	s_andn2_b64 vcc, exec, s[20:21]
	s_mov_b64 s[20:21], -1
	s_cbranch_vccnz .LBB122_4
; %bb.1:
	s_cmp_lg_u32 s7, 0
	s_cbranch_scc0 .LBB122_3
; %bb.2:
	v_cmp_neq_f64_e64 s[20:21], s[12:13], 0
	v_cmp_neq_f64_e64 s[24:25], s[14:15], 0
	s_or_b64 s[24:25], s[20:21], s[24:25]
.LBB122_3:
	s_mov_b64 s[20:21], s[24:25]
.LBB122_4:
	s_and_b64 vcc, exec, s[20:21]
	s_cbranch_vccz .LBB122_30
; %bb.5:
	s_lshl_b32 s28, s2, 5
	s_lshl_b32 s5, s3, 5
	v_cmp_eq_f64_e64 s[2:3], s[12:13], 0
	v_cmp_eq_f64_e64 s[24:25], s[14:15], 0
	s_load_dwordx2 s[20:21], s[0:1], 0x48
	s_and_b64 s[2:3], s[2:3], s[24:25]
	s_cmp_lt_i32 s7, 1
	s_cselect_b64 s[24:25], -1, 0
	s_or_b64 s[2:3], s[2:3], s[24:25]
	v_and_b32_e32 v29, 0x3ff, v0
	v_bfe_u32 v28, v0, 10, 10
	s_mov_b32 s29, 0
	v_mov_b64_e32 v[24:25], 0
	s_and_b64 vcc, exec, s[2:3]
	v_mov_b64_e32 v[26:27], 0
	v_mov_b64_e32 v[20:21], 0
	;; [unrolled: 1-line block ×7, first 2 shown]
	s_cbranch_vccnz .LBB122_14
; %bb.6:
	v_lshl_add_u32 v0, v28, 4, v29
	v_lshrrev_b32_e32 v31, 5, v0
	v_lshrrev_b32_e32 v1, 3, v0
	v_and_b32_e32 v0, 31, v0
	s_load_dword s33, s[0:1], 0x18
	s_load_dword s30, s[0:1], 0x30
	s_load_dwordx4 s[24:27], s[0:1], 0x20
	v_or_b32_e32 v3, s28, v0
	v_and_b32_e32 v30, 7, v29
	v_cmp_gt_i32_e64 s[2:3], s6, v3
	v_lshlrev_b32_e32 v3, 4, v0
	v_lshl_or_b32 v32, v31, 9, v3
	v_lshlrev_b32_e32 v3, 4, v30
	v_add_u32_e32 v2, s5, v1
	v_lshl_or_b32 v1, v1, 7, v3
	v_add_u32_e32 v33, 0x1000, v1
	v_mov_b32_e32 v1, 0x1000
	v_add_u32_e32 v0, s28, v0
	v_lshl_add_u32 v35, v28, 7, v1
	s_waitcnt lgkmcnt(0)
	v_mad_i64_i32 v[0:1], s[34:35], s33, v0, 0
	s_mul_i32 s25, s25, s4
	s_mul_hi_u32 s33, s24, s4
	s_add_i32 s25, s33, s25
	s_mul_i32 s24, s24, s4
	s_lshl_b64 s[24:25], s[24:25], 4
	v_lshl_add_u64 v[4:5], v[0:1], 4, s[24:25]
	v_lshlrev_b32_e32 v0, 4, v31
	v_mov_b32_e32 v1, 0
	v_lshl_add_u64 v[4:5], v[4:5], 0, v[0:1]
	v_lshl_add_u64 v[8:9], s[22:23], 0, v[4:5]
	s_mul_i32 s17, s17, s4
	s_mul_hi_u32 s22, s16, s4
	s_add_i32 s17, s22, s17
	v_mad_i64_i32 v[4:5], s[22:23], s30, v30, 0
	s_mul_i32 s16, s16, s4
	v_lshlrev_b64 v[4:5], 4, v[4:5]
	v_ashrrev_i32_e32 v3, 31, v2
	v_lshl_add_u64 v[4:5], s[16:17], 4, v[4:5]
	v_cmp_gt_i32_e32 vcc, s6, v2
	v_lshl_add_u64 v[2:3], v[2:3], 4, v[4:5]
	s_ashr_i32 s31, s30, 31
	v_lshl_add_u64 v[2:3], s[26:27], 0, v[2:3]
	v_lshlrev_b32_e32 v34, 4, v29
	v_lshl_add_u64 v[10:11], v[2:3], 0, 8
	s_lshl_b64 s[16:17], s[30:31], 7
	v_mov_b64_e32 v[12:13], 0
	s_xor_b64 s[22:23], s[2:3], -1
	s_mov_b64 s[24:25], 0x80
	v_mov_b32_e32 v0, v1
	v_mov_b32_e32 v2, v1
	;; [unrolled: 1-line block ×3, first 2 shown]
	v_mov_b64_e32 v[14:15], 0
	v_mov_b64_e32 v[18:19], 0
	;; [unrolled: 1-line block ×7, first 2 shown]
	s_branch .LBB122_8
.LBB122_7:                              ;   in Loop: Header=BB122_8 Depth=1
	s_or_b64 exec, exec, s[2:3]
	ds_write_b128 v33, v[4:7]
	s_waitcnt lgkmcnt(0)
	s_barrier
	ds_read_b128 v[4:7], v34
	ds_read_b128 v[36:39], v35
	ds_read_b128 v[40:43], v35 offset:16
	ds_read_b128 v[44:47], v35 offset:32
	ds_read_b128 v[48:51], v35 offset:48
	ds_read_b128 v[52:55], v34 offset:256
	s_waitcnt lgkmcnt(4)
	v_mul_f64 v[56:57], v[38:39], v[6:7]
	v_fma_f64 v[56:57], v[36:37], v[4:5], -v[56:57]
	v_mul_f64 v[58:59], v[36:37], v[6:7]
	v_fmac_f64_e32 v[58:59], v[38:39], v[4:5]
	v_add_f64 v[56:57], v[24:25], v[56:57]
	s_waitcnt lgkmcnt(0)
	v_mul_f64 v[24:25], v[38:39], v[54:55]
	v_add_f64 v[58:59], v[58:59], v[26:27]
	v_fma_f64 v[60:61], v[36:37], v[52:53], -v[24:25]
	ds_read_b128 v[24:27], v35 offset:2048
	v_mul_f64 v[36:37], v[36:37], v[54:55]
	v_fmac_f64_e32 v[36:37], v[38:39], v[52:53]
	v_add_f64 v[38:39], v[20:21], v[60:61]
	v_add_f64 v[36:37], v[36:37], v[22:23]
	ds_read_b128 v[20:23], v35 offset:2064
	s_waitcnt lgkmcnt(1)
	v_mul_f64 v[60:61], v[26:27], v[6:7]
	v_mul_f64 v[6:7], v[24:25], v[6:7]
	v_fma_f64 v[60:61], v[24:25], v[4:5], -v[60:61]
	v_fmac_f64_e32 v[6:7], v[26:27], v[4:5]
	v_mul_f64 v[4:5], v[26:27], v[54:55]
	v_add_f64 v[16:17], v[16:17], v[60:61]
	v_add_f64 v[18:19], v[6:7], v[18:19]
	v_fma_f64 v[60:61], v[24:25], v[52:53], -v[4:5]
	v_mul_f64 v[24:25], v[24:25], v[54:55]
	ds_read_b128 v[4:7], v34 offset:512
	v_fmac_f64_e32 v[24:25], v[26:27], v[52:53]
	v_add_f64 v[26:27], v[14:15], v[60:61]
	v_add_f64 v[24:25], v[24:25], v[12:13]
	ds_read_b128 v[12:15], v34 offset:768
	s_waitcnt lgkmcnt(1)
	v_mul_f64 v[52:53], v[42:43], v[6:7]
	v_fma_f64 v[52:53], v[40:41], v[4:5], -v[52:53]
	v_add_f64 v[52:53], v[56:57], v[52:53]
	v_mul_f64 v[54:55], v[40:41], v[6:7]
	s_waitcnt lgkmcnt(0)
	v_mul_f64 v[56:57], v[42:43], v[14:15]
	v_fma_f64 v[56:57], v[40:41], v[12:13], -v[56:57]
	v_mul_f64 v[40:41], v[40:41], v[14:15]
	v_fmac_f64_e32 v[40:41], v[42:43], v[12:13]
	v_add_f64 v[36:37], v[40:41], v[36:37]
	v_mul_f64 v[40:41], v[22:23], v[6:7]
	v_mul_f64 v[6:7], v[20:21], v[6:7]
	v_fmac_f64_e32 v[54:55], v[42:43], v[4:5]
	v_fma_f64 v[40:41], v[20:21], v[4:5], -v[40:41]
	v_fmac_f64_e32 v[6:7], v[22:23], v[4:5]
	v_mul_f64 v[4:5], v[22:23], v[14:15]
	v_add_f64 v[40:41], v[16:17], v[40:41]
	v_add_f64 v[42:43], v[6:7], v[18:19]
	v_fma_f64 v[16:17], v[20:21], v[12:13], -v[4:5]
	v_mul_f64 v[14:15], v[20:21], v[14:15]
	ds_read_b128 v[4:7], v34 offset:1024
	v_fmac_f64_e32 v[14:15], v[22:23], v[12:13]
	v_add_f64 v[24:25], v[14:15], v[24:25]
	ds_read_b128 v[12:15], v34 offset:1280
	v_add_f64 v[26:27], v[26:27], v[16:17]
	s_waitcnt lgkmcnt(1)
	v_mul_f64 v[16:17], v[46:47], v[6:7]
	v_fma_f64 v[16:17], v[44:45], v[4:5], -v[16:17]
	v_mul_f64 v[18:19], v[44:45], v[6:7]
	v_add_f64 v[54:55], v[54:55], v[58:59]
	v_fmac_f64_e32 v[18:19], v[46:47], v[4:5]
	v_add_f64 v[52:53], v[52:53], v[16:17]
	s_waitcnt lgkmcnt(0)
	v_mul_f64 v[16:17], v[46:47], v[14:15]
	v_add_f64 v[54:55], v[18:19], v[54:55]
	v_fma_f64 v[20:21], v[44:45], v[12:13], -v[16:17]
	ds_read_b128 v[16:19], v35 offset:2080
	v_mul_f64 v[22:23], v[44:45], v[14:15]
	v_add_f64 v[38:39], v[38:39], v[56:57]
	v_fmac_f64_e32 v[22:23], v[46:47], v[12:13]
	v_add_f64 v[38:39], v[38:39], v[20:21]
	v_add_f64 v[36:37], v[22:23], v[36:37]
	ds_read_b128 v[20:23], v35 offset:2096
	s_waitcnt lgkmcnt(1)
	v_mul_f64 v[44:45], v[18:19], v[6:7]
	v_mul_f64 v[6:7], v[16:17], v[6:7]
	v_fma_f64 v[44:45], v[16:17], v[4:5], -v[44:45]
	v_fmac_f64_e32 v[6:7], v[18:19], v[4:5]
	v_mul_f64 v[4:5], v[18:19], v[14:15]
	v_mul_f64 v[14:15], v[16:17], v[14:15]
	v_fmac_f64_e32 v[14:15], v[18:19], v[12:13]
	v_add_f64 v[40:41], v[40:41], v[44:45]
	v_add_f64 v[42:43], v[6:7], v[42:43]
	v_fma_f64 v[44:45], v[16:17], v[12:13], -v[4:5]
	ds_read_b128 v[4:7], v34 offset:1536
	v_add_f64 v[18:19], v[14:15], v[24:25]
	ds_read_b128 v[12:15], v34 offset:1792
	v_add_f64 v[16:17], v[26:27], v[44:45]
	s_add_i32 s29, s29, 8
	s_waitcnt lgkmcnt(1)
	v_mul_f64 v[24:25], v[50:51], v[6:7]
	v_mul_f64 v[26:27], v[48:49], v[6:7]
	s_waitcnt lgkmcnt(0)
	v_mul_f64 v[44:45], v[50:51], v[14:15]
	v_fma_f64 v[44:45], v[48:49], v[12:13], -v[44:45]
	v_add_f64 v[38:39], v[38:39], v[44:45]
	v_mul_f64 v[44:45], v[22:23], v[6:7]
	v_mul_f64 v[6:7], v[20:21], v[6:7]
	v_fma_f64 v[24:25], v[48:49], v[4:5], -v[24:25]
	v_fmac_f64_e32 v[26:27], v[50:51], v[4:5]
	v_fma_f64 v[44:45], v[20:21], v[4:5], -v[44:45]
	v_fmac_f64_e32 v[6:7], v[22:23], v[4:5]
	v_mul_f64 v[4:5], v[22:23], v[14:15]
	v_mul_f64 v[46:47], v[48:49], v[14:15]
	v_add_f64 v[40:41], v[40:41], v[44:45]
	v_fma_f64 v[44:45], v[20:21], v[12:13], -v[4:5]
	v_mul_f64 v[20:21], v[20:21], v[14:15]
	v_fmac_f64_e32 v[46:47], v[50:51], v[12:13]
	v_add_f64 v[42:43], v[6:7], v[42:43]
	v_fmac_f64_e32 v[20:21], v[22:23], v[12:13]
	ds_read_b128 v[4:7], v35 offset:64
	ds_read_b128 v[12:15], v34 offset:2048
	v_add_f64 v[36:37], v[46:47], v[36:37]
	v_add_f64 v[44:45], v[16:17], v[44:45]
	;; [unrolled: 1-line block ×3, first 2 shown]
	ds_read_b128 v[16:19], v34 offset:2304
	ds_read_b128 v[20:23], v35 offset:80
	s_waitcnt lgkmcnt(2)
	v_mul_f64 v[48:49], v[6:7], v[14:15]
	v_add_f64 v[24:25], v[52:53], v[24:25]
	v_fma_f64 v[48:49], v[4:5], v[12:13], -v[48:49]
	v_mul_f64 v[50:51], v[4:5], v[14:15]
	v_add_f64 v[26:27], v[26:27], v[54:55]
	v_fmac_f64_e32 v[50:51], v[6:7], v[12:13]
	v_add_f64 v[48:49], v[24:25], v[48:49]
	s_waitcnt lgkmcnt(1)
	v_mul_f64 v[24:25], v[6:7], v[18:19]
	v_add_f64 v[50:51], v[50:51], v[26:27]
	v_fma_f64 v[52:53], v[4:5], v[16:17], -v[24:25]
	ds_read_b128 v[24:27], v35 offset:2112
	v_mul_f64 v[4:5], v[4:5], v[18:19]
	v_fmac_f64_e32 v[4:5], v[6:7], v[16:17]
	v_add_f64 v[38:39], v[38:39], v[52:53]
	v_add_f64 v[36:37], v[4:5], v[36:37]
	ds_read_b128 v[4:7], v35 offset:2128
	s_waitcnt lgkmcnt(1)
	v_mul_f64 v[52:53], v[26:27], v[14:15]
	v_mul_f64 v[14:15], v[24:25], v[14:15]
	v_fma_f64 v[52:53], v[24:25], v[12:13], -v[52:53]
	v_fmac_f64_e32 v[14:15], v[26:27], v[12:13]
	v_mul_f64 v[12:13], v[26:27], v[18:19]
	v_add_f64 v[40:41], v[40:41], v[52:53]
	v_add_f64 v[42:43], v[14:15], v[42:43]
	v_fma_f64 v[52:53], v[24:25], v[16:17], -v[12:13]
	v_mul_f64 v[18:19], v[24:25], v[18:19]
	ds_read_b128 v[12:15], v34 offset:2560
	v_fmac_f64_e32 v[18:19], v[26:27], v[16:17]
	v_add_f64 v[26:27], v[18:19], v[46:47]
	ds_read_b128 v[16:19], v34 offset:2816
	v_add_f64 v[24:25], v[44:45], v[52:53]
	s_waitcnt lgkmcnt(1)
	v_mul_f64 v[44:45], v[22:23], v[14:15]
	v_fma_f64 v[44:45], v[20:21], v[12:13], -v[44:45]
	v_add_f64 v[44:45], v[48:49], v[44:45]
	s_waitcnt lgkmcnt(0)
	v_mul_f64 v[48:49], v[22:23], v[18:19]
	v_mul_f64 v[46:47], v[20:21], v[14:15]
	v_fma_f64 v[48:49], v[20:21], v[16:17], -v[48:49]
	v_mul_f64 v[20:21], v[20:21], v[18:19]
	v_fmac_f64_e32 v[20:21], v[22:23], v[16:17]
	v_add_f64 v[36:37], v[20:21], v[36:37]
	v_mul_f64 v[20:21], v[6:7], v[14:15]
	v_mul_f64 v[14:15], v[4:5], v[14:15]
	v_fmac_f64_e32 v[46:47], v[22:23], v[12:13]
	v_fma_f64 v[20:21], v[4:5], v[12:13], -v[20:21]
	v_fmac_f64_e32 v[14:15], v[6:7], v[12:13]
	v_mul_f64 v[12:13], v[6:7], v[18:19]
	v_mul_f64 v[18:19], v[4:5], v[18:19]
	v_add_f64 v[40:41], v[40:41], v[20:21]
	v_add_f64 v[42:43], v[14:15], v[42:43]
	v_fma_f64 v[20:21], v[4:5], v[16:17], -v[12:13]
	v_fmac_f64_e32 v[18:19], v[6:7], v[16:17]
	ds_read_b128 v[4:7], v35 offset:96
	ds_read_b128 v[12:15], v34 offset:3072
	v_add_f64 v[46:47], v[46:47], v[50:51]
	v_add_f64 v[38:39], v[38:39], v[48:49]
	;; [unrolled: 1-line block ×4, first 2 shown]
	ds_read_b128 v[16:19], v34 offset:3328
	ds_read_b128 v[20:23], v35 offset:112
	s_waitcnt lgkmcnt(2)
	v_mul_f64 v[24:25], v[6:7], v[14:15]
	v_fma_f64 v[24:25], v[4:5], v[12:13], -v[24:25]
	v_mul_f64 v[26:27], v[4:5], v[14:15]
	v_fmac_f64_e32 v[26:27], v[6:7], v[12:13]
	v_add_f64 v[44:45], v[44:45], v[24:25]
	s_waitcnt lgkmcnt(1)
	v_mul_f64 v[24:25], v[6:7], v[18:19]
	v_add_f64 v[46:47], v[26:27], v[46:47]
	v_fma_f64 v[52:53], v[4:5], v[16:17], -v[24:25]
	ds_read_b128 v[24:27], v35 offset:2144
	v_mul_f64 v[4:5], v[4:5], v[18:19]
	v_fmac_f64_e32 v[4:5], v[6:7], v[16:17]
	v_add_f64 v[54:55], v[4:5], v[36:37]
	ds_read_b128 v[4:7], v35 offset:2160
	s_waitcnt lgkmcnt(1)
	v_mul_f64 v[36:37], v[26:27], v[14:15]
	v_mul_f64 v[14:15], v[24:25], v[14:15]
	v_fma_f64 v[36:37], v[24:25], v[12:13], -v[36:37]
	v_fmac_f64_e32 v[14:15], v[26:27], v[12:13]
	v_mul_f64 v[12:13], v[26:27], v[18:19]
	v_add_f64 v[40:41], v[40:41], v[36:37]
	v_add_f64 v[42:43], v[14:15], v[42:43]
	v_fma_f64 v[36:37], v[24:25], v[16:17], -v[12:13]
	ds_read_b128 v[12:15], v34 offset:3584
	v_add_f64 v[52:53], v[38:39], v[52:53]
	v_add_f64 v[48:49], v[48:49], v[36:37]
	ds_read_b128 v[36:39], v34 offset:3840
	v_mul_f64 v[18:19], v[24:25], v[18:19]
	v_fmac_f64_e32 v[18:19], v[26:27], v[16:17]
	s_waitcnt lgkmcnt(1)
	v_mul_f64 v[16:17], v[22:23], v[14:15]
	v_fma_f64 v[16:17], v[20:21], v[12:13], -v[16:17]
	v_add_f64 v[50:51], v[18:19], v[50:51]
	v_mul_f64 v[18:19], v[20:21], v[14:15]
	v_add_f64 v[24:25], v[44:45], v[16:17]
	s_waitcnt lgkmcnt(0)
	v_mul_f64 v[16:17], v[22:23], v[38:39]
	v_fmac_f64_e32 v[18:19], v[22:23], v[12:13]
	v_fma_f64 v[16:17], v[20:21], v[36:37], -v[16:17]
	v_add_f64 v[26:27], v[18:19], v[46:47]
	v_mul_f64 v[18:19], v[20:21], v[38:39]
	v_add_f64 v[20:21], v[52:53], v[16:17]
	v_mul_f64 v[16:17], v[6:7], v[14:15]
	v_mul_f64 v[14:15], v[4:5], v[14:15]
	v_fma_f64 v[16:17], v[4:5], v[12:13], -v[16:17]
	v_fmac_f64_e32 v[14:15], v[6:7], v[12:13]
	v_mul_f64 v[12:13], v[6:7], v[38:39]
	v_fma_f64 v[12:13], v[4:5], v[36:37], -v[12:13]
	v_mul_f64 v[4:5], v[4:5], v[38:39]
	v_fmac_f64_e32 v[18:19], v[22:23], v[36:37]
	v_fmac_f64_e32 v[4:5], v[6:7], v[36:37]
	v_add_f64 v[22:23], v[18:19], v[54:55]
	v_add_f64 v[16:17], v[40:41], v[16:17]
	;; [unrolled: 1-line block ×5, first 2 shown]
	v_lshl_add_u64 v[8:9], v[8:9], 0, s[24:25]
	s_cmp_lt_i32 s29, s7
	v_lshl_add_u64 v[10:11], v[10:11], 0, s[16:17]
	s_barrier
	s_cbranch_scc0 .LBB122_14
.LBB122_8:                              ; =>This Inner Loop Header: Depth=1
	v_add_u32_e32 v4, s29, v31
	v_cmp_le_i32_e64 s[2:3], s7, v4
	s_or_b64 s[2:3], s[22:23], s[2:3]
	s_and_saveexec_b64 s[26:27], s[2:3]
	s_xor_b64 s[2:3], exec, s[26:27]
; %bb.9:                                ;   in Loop: Header=BB122_8 Depth=1
	ds_write_b128 v32, v[0:3]
; %bb.10:                               ;   in Loop: Header=BB122_8 Depth=1
	s_andn2_saveexec_b64 s[2:3], s[2:3]
	s_cbranch_execz .LBB122_12
; %bb.11:                               ;   in Loop: Header=BB122_8 Depth=1
	global_load_dwordx4 v[4:7], v[8:9], off
	s_waitcnt vmcnt(0)
	ds_write2_b64 v32, v[4:5], v[6:7] offset1:1
.LBB122_12:                             ;   in Loop: Header=BB122_8 Depth=1
	s_or_b64 exec, exec, s[2:3]
	v_add_u32_e32 v4, s29, v30
	v_cmp_gt_i32_e64 s[2:3], s7, v4
	s_and_b64 s[26:27], s[2:3], vcc
	v_mov_b64_e32 v[4:5], 0
	v_mov_b64_e32 v[6:7], 0
	s_and_saveexec_b64 s[2:3], s[26:27]
	s_cbranch_execz .LBB122_7
; %bb.13:                               ;   in Loop: Header=BB122_8 Depth=1
	global_load_dwordx4 v[4:7], v[10:11], off offset:-8
	s_waitcnt vmcnt(0)
	v_xor_b32_e32 v7, 0x80000000, v7
	s_branch .LBB122_7
.LBB122_14:
	s_load_dwordx2 s[2:3], s[0:1], 0x58
	s_load_dword s22, s[0:1], 0x50
	v_add_u32_e32 v10, s5, v28
	v_add_u32_e32 v4, s28, v29
	v_cmp_le_i32_e32 vcc, v10, v4
	s_waitcnt lgkmcnt(0)
	s_mul_i32 s1, s3, s4
	s_mul_hi_u32 s3, s2, s4
	s_mul_i32 s0, s2, s4
	s_add_i32 s1, s3, s1
	s_lshl_b64 s[0:1], s[0:1], 4
	s_add_u32 s16, s20, s0
	s_addc_u32 s17, s21, s1
	v_cmp_neq_f64_e64 s[0:1], s[8:9], 0
	s_xor_b64 s[4:5], s[18:19], -1
	v_mad_i64_i32 v[0:1], s[2:3], v10, s22, 0
	s_or_b64 s[0:1], s[0:1], s[4:5]
	v_lshl_add_u64 v[8:9], v[0:1], 4, s[16:17]
	v_cmp_gt_i32_e64 s[2:3], s6, v4
	v_cndmask_b32_e64 v0, 0, 1, s[0:1]
	s_and_b64 s[18:19], vcc, s[2:3]
	v_ashrrev_i32_e32 v5, 31, v4
	v_cmp_ne_u32_e64 s[0:1], 1, v0
	s_and_saveexec_b64 s[4:5], s[18:19]
	s_cbranch_execz .LBB122_18
; %bb.15:
	v_mul_f64 v[0:1], s[14:15], v[26:27]
	v_mul_f64 v[2:3], s[12:13], v[26:27]
	v_fma_f64 v[0:1], s[12:13], v[24:25], -v[0:1]
	v_fmac_f64_e32 v[2:3], s[14:15], v[24:25]
	s_and_b64 vcc, exec, s[0:1]
	v_lshl_add_u64 v[6:7], v[4:5], 4, v[8:9]
	s_cbranch_vccnz .LBB122_17
; %bb.16:
	global_load_dwordx4 v[24:27], v[6:7], off
	s_waitcnt vmcnt(0)
	v_mul_f64 v[28:29], s[10:11], v[26:27]
	v_mul_f64 v[26:27], s[8:9], v[26:27]
	v_fma_f64 v[28:29], s[8:9], v[24:25], -v[28:29]
	v_fmac_f64_e32 v[26:27], s[10:11], v[24:25]
	v_add_f64 v[0:1], v[0:1], v[28:29]
	v_add_f64 v[2:3], v[2:3], v[26:27]
.LBB122_17:
	global_store_dwordx4 v[6:7], v[0:3], off
.LBB122_18:
	s_or_b64 exec, exec, s[4:5]
	v_add_u32_e32 v6, 16, v4
	v_cmp_le_i32_e32 vcc, v10, v6
	v_cmp_gt_i32_e64 s[4:5], s6, v6
	s_and_b64 s[18:19], vcc, s[4:5]
	v_ashrrev_i32_e32 v7, 31, v6
	s_and_saveexec_b64 s[6:7], s[18:19]
	s_cbranch_execz .LBB122_22
; %bb.19:
	v_mul_f64 v[0:1], s[14:15], v[22:23]
	v_mul_f64 v[2:3], s[12:13], v[22:23]
	v_fma_f64 v[0:1], s[12:13], v[20:21], -v[0:1]
	v_fmac_f64_e32 v[2:3], s[14:15], v[20:21]
	s_and_b64 vcc, exec, s[0:1]
	v_lshl_add_u64 v[8:9], v[6:7], 4, v[8:9]
	s_cbranch_vccnz .LBB122_21
; %bb.20:
	global_load_dwordx4 v[20:23], v[8:9], off
	s_waitcnt vmcnt(0)
	v_mul_f64 v[24:25], s[10:11], v[22:23]
	v_mul_f64 v[22:23], s[8:9], v[22:23]
	v_fma_f64 v[24:25], s[8:9], v[20:21], -v[24:25]
	v_fmac_f64_e32 v[22:23], s[10:11], v[20:21]
	v_add_f64 v[0:1], v[0:1], v[24:25]
	v_add_f64 v[2:3], v[2:3], v[22:23]
.LBB122_21:
	global_store_dwordx4 v[8:9], v[0:3], off
.LBB122_22:
	s_or_b64 exec, exec, s[6:7]
	v_add_u32_e32 v10, 16, v10
	v_mad_i64_i32 v[0:1], s[6:7], v10, s22, 0
	v_cmp_le_i32_e32 vcc, v10, v4
	v_lshl_add_u64 v[8:9], v[0:1], 4, s[16:17]
	s_and_b64 s[6:7], vcc, s[2:3]
	s_and_saveexec_b64 s[2:3], s[6:7]
	s_cbranch_execz .LBB122_26
; %bb.23:
	v_mul_f64 v[0:1], s[14:15], v[18:19]
	v_mul_f64 v[2:3], s[12:13], v[18:19]
	v_fma_f64 v[0:1], s[12:13], v[16:17], -v[0:1]
	v_fmac_f64_e32 v[2:3], s[14:15], v[16:17]
	s_and_b64 vcc, exec, s[0:1]
	v_lshl_add_u64 v[4:5], v[4:5], 4, v[8:9]
	s_cbranch_vccnz .LBB122_25
; %bb.24:
	global_load_dwordx4 v[16:19], v[4:5], off
	s_waitcnt vmcnt(0)
	v_mul_f64 v[20:21], s[10:11], v[18:19]
	v_mul_f64 v[18:19], s[8:9], v[18:19]
	v_fma_f64 v[20:21], s[8:9], v[16:17], -v[20:21]
	v_fmac_f64_e32 v[18:19], s[10:11], v[16:17]
	v_add_f64 v[0:1], v[0:1], v[20:21]
	v_add_f64 v[2:3], v[2:3], v[18:19]
.LBB122_25:
	global_store_dwordx4 v[4:5], v[0:3], off
.LBB122_26:
	s_or_b64 exec, exec, s[2:3]
	v_cmp_le_i32_e32 vcc, v10, v6
	s_and_b64 s[2:3], vcc, s[4:5]
	s_and_saveexec_b64 s[4:5], s[2:3]
	s_cbranch_execz .LBB122_30
; %bb.27:
	v_mul_f64 v[0:1], s[14:15], v[12:13]
	v_mul_f64 v[2:3], s[12:13], v[12:13]
	v_fma_f64 v[0:1], s[12:13], v[14:15], -v[0:1]
	v_fmac_f64_e32 v[2:3], s[14:15], v[14:15]
	s_and_b64 vcc, exec, s[0:1]
	v_lshl_add_u64 v[4:5], v[6:7], 4, v[8:9]
	s_cbranch_vccnz .LBB122_29
; %bb.28:
	global_load_dwordx4 v[6:9], v[4:5], off
	s_waitcnt vmcnt(0)
	v_mul_f64 v[10:11], s[10:11], v[8:9]
	v_mul_f64 v[8:9], s[8:9], v[8:9]
	v_fma_f64 v[10:11], s[8:9], v[6:7], -v[10:11]
	v_fmac_f64_e32 v[8:9], s[10:11], v[6:7]
	v_add_f64 v[0:1], v[0:1], v[10:11]
	v_add_f64 v[2:3], v[2:3], v[8:9]
.LBB122_29:
	global_store_dwordx4 v[4:5], v[0:3], off
.LBB122_30:
	s_endpgm
	.section	.rodata,"a",@progbits
	.p2align	6, 0x0
	.amdhsa_kernel _ZL29rocblas_internal_gemmt_kernelIiLi16ELi32ELi8ELc84ELc67ELc76ELb0ELb1E19rocblas_complex_numIdEPKS1_S3_PS1_EviT_T9_T10_S5_lS7_S5_lS6_T11_S5_li
		.amdhsa_group_segment_fixed_size 8192
		.amdhsa_private_segment_fixed_size 0
		.amdhsa_kernarg_size 100
		.amdhsa_user_sgpr_count 2
		.amdhsa_user_sgpr_dispatch_ptr 0
		.amdhsa_user_sgpr_queue_ptr 0
		.amdhsa_user_sgpr_kernarg_segment_ptr 1
		.amdhsa_user_sgpr_dispatch_id 0
		.amdhsa_user_sgpr_kernarg_preload_length 0
		.amdhsa_user_sgpr_kernarg_preload_offset 0
		.amdhsa_user_sgpr_private_segment_size 0
		.amdhsa_uses_dynamic_stack 0
		.amdhsa_enable_private_segment 0
		.amdhsa_system_sgpr_workgroup_id_x 1
		.amdhsa_system_sgpr_workgroup_id_y 1
		.amdhsa_system_sgpr_workgroup_id_z 1
		.amdhsa_system_sgpr_workgroup_info 0
		.amdhsa_system_vgpr_workitem_id 1
		.amdhsa_next_free_vgpr 62
		.amdhsa_next_free_sgpr 36
		.amdhsa_accum_offset 64
		.amdhsa_reserve_vcc 1
		.amdhsa_float_round_mode_32 0
		.amdhsa_float_round_mode_16_64 0
		.amdhsa_float_denorm_mode_32 3
		.amdhsa_float_denorm_mode_16_64 3
		.amdhsa_dx10_clamp 1
		.amdhsa_ieee_mode 1
		.amdhsa_fp16_overflow 0
		.amdhsa_tg_split 0
		.amdhsa_exception_fp_ieee_invalid_op 0
		.amdhsa_exception_fp_denorm_src 0
		.amdhsa_exception_fp_ieee_div_zero 0
		.amdhsa_exception_fp_ieee_overflow 0
		.amdhsa_exception_fp_ieee_underflow 0
		.amdhsa_exception_fp_ieee_inexact 0
		.amdhsa_exception_int_div_zero 0
	.end_amdhsa_kernel
	.section	.text._ZL29rocblas_internal_gemmt_kernelIiLi16ELi32ELi8ELc84ELc67ELc76ELb0ELb1E19rocblas_complex_numIdEPKS1_S3_PS1_EviT_T9_T10_S5_lS7_S5_lS6_T11_S5_li,"axG",@progbits,_ZL29rocblas_internal_gemmt_kernelIiLi16ELi32ELi8ELc84ELc67ELc76ELb0ELb1E19rocblas_complex_numIdEPKS1_S3_PS1_EviT_T9_T10_S5_lS7_S5_lS6_T11_S5_li,comdat
.Lfunc_end122:
	.size	_ZL29rocblas_internal_gemmt_kernelIiLi16ELi32ELi8ELc84ELc67ELc76ELb0ELb1E19rocblas_complex_numIdEPKS1_S3_PS1_EviT_T9_T10_S5_lS7_S5_lS6_T11_S5_li, .Lfunc_end122-_ZL29rocblas_internal_gemmt_kernelIiLi16ELi32ELi8ELc84ELc67ELc76ELb0ELb1E19rocblas_complex_numIdEPKS1_S3_PS1_EviT_T9_T10_S5_lS7_S5_lS6_T11_S5_li
                                        ; -- End function
	.set _ZL29rocblas_internal_gemmt_kernelIiLi16ELi32ELi8ELc84ELc67ELc76ELb0ELb1E19rocblas_complex_numIdEPKS1_S3_PS1_EviT_T9_T10_S5_lS7_S5_lS6_T11_S5_li.num_vgpr, 62
	.set _ZL29rocblas_internal_gemmt_kernelIiLi16ELi32ELi8ELc84ELc67ELc76ELb0ELb1E19rocblas_complex_numIdEPKS1_S3_PS1_EviT_T9_T10_S5_lS7_S5_lS6_T11_S5_li.num_agpr, 0
	.set _ZL29rocblas_internal_gemmt_kernelIiLi16ELi32ELi8ELc84ELc67ELc76ELb0ELb1E19rocblas_complex_numIdEPKS1_S3_PS1_EviT_T9_T10_S5_lS7_S5_lS6_T11_S5_li.numbered_sgpr, 36
	.set _ZL29rocblas_internal_gemmt_kernelIiLi16ELi32ELi8ELc84ELc67ELc76ELb0ELb1E19rocblas_complex_numIdEPKS1_S3_PS1_EviT_T9_T10_S5_lS7_S5_lS6_T11_S5_li.num_named_barrier, 0
	.set _ZL29rocblas_internal_gemmt_kernelIiLi16ELi32ELi8ELc84ELc67ELc76ELb0ELb1E19rocblas_complex_numIdEPKS1_S3_PS1_EviT_T9_T10_S5_lS7_S5_lS6_T11_S5_li.private_seg_size, 0
	.set _ZL29rocblas_internal_gemmt_kernelIiLi16ELi32ELi8ELc84ELc67ELc76ELb0ELb1E19rocblas_complex_numIdEPKS1_S3_PS1_EviT_T9_T10_S5_lS7_S5_lS6_T11_S5_li.uses_vcc, 1
	.set _ZL29rocblas_internal_gemmt_kernelIiLi16ELi32ELi8ELc84ELc67ELc76ELb0ELb1E19rocblas_complex_numIdEPKS1_S3_PS1_EviT_T9_T10_S5_lS7_S5_lS6_T11_S5_li.uses_flat_scratch, 0
	.set _ZL29rocblas_internal_gemmt_kernelIiLi16ELi32ELi8ELc84ELc67ELc76ELb0ELb1E19rocblas_complex_numIdEPKS1_S3_PS1_EviT_T9_T10_S5_lS7_S5_lS6_T11_S5_li.has_dyn_sized_stack, 0
	.set _ZL29rocblas_internal_gemmt_kernelIiLi16ELi32ELi8ELc84ELc67ELc76ELb0ELb1E19rocblas_complex_numIdEPKS1_S3_PS1_EviT_T9_T10_S5_lS7_S5_lS6_T11_S5_li.has_recursion, 0
	.set _ZL29rocblas_internal_gemmt_kernelIiLi16ELi32ELi8ELc84ELc67ELc76ELb0ELb1E19rocblas_complex_numIdEPKS1_S3_PS1_EviT_T9_T10_S5_lS7_S5_lS6_T11_S5_li.has_indirect_call, 0
	.section	.AMDGPU.csdata,"",@progbits
; Kernel info:
; codeLenInByte = 3136
; TotalNumSgprs: 42
; NumVgprs: 62
; NumAgprs: 0
; TotalNumVgprs: 62
; ScratchSize: 0
; MemoryBound: 1
; FloatMode: 240
; IeeeMode: 1
; LDSByteSize: 8192 bytes/workgroup (compile time only)
; SGPRBlocks: 5
; VGPRBlocks: 7
; NumSGPRsForWavesPerEU: 42
; NumVGPRsForWavesPerEU: 62
; AccumOffset: 64
; Occupancy: 8
; WaveLimiterHint : 0
; COMPUTE_PGM_RSRC2:SCRATCH_EN: 0
; COMPUTE_PGM_RSRC2:USER_SGPR: 2
; COMPUTE_PGM_RSRC2:TRAP_HANDLER: 0
; COMPUTE_PGM_RSRC2:TGID_X_EN: 1
; COMPUTE_PGM_RSRC2:TGID_Y_EN: 1
; COMPUTE_PGM_RSRC2:TGID_Z_EN: 1
; COMPUTE_PGM_RSRC2:TIDIG_COMP_CNT: 1
; COMPUTE_PGM_RSRC3_GFX90A:ACCUM_OFFSET: 15
; COMPUTE_PGM_RSRC3_GFX90A:TG_SPLIT: 0
	.section	.text._ZL29rocblas_internal_gemmt_kernelIiLi16ELi32ELi8ELc67ELc78ELc76ELb1ELb0E19rocblas_complex_numIdEPKS1_S3_PS1_EviT_T9_T10_S5_lS7_S5_lS6_T11_S5_li,"axG",@progbits,_ZL29rocblas_internal_gemmt_kernelIiLi16ELi32ELi8ELc67ELc78ELc76ELb1ELb0E19rocblas_complex_numIdEPKS1_S3_PS1_EviT_T9_T10_S5_lS7_S5_lS6_T11_S5_li,comdat
	.globl	_ZL29rocblas_internal_gemmt_kernelIiLi16ELi32ELi8ELc67ELc78ELc76ELb1ELb0E19rocblas_complex_numIdEPKS1_S3_PS1_EviT_T9_T10_S5_lS7_S5_lS6_T11_S5_li ; -- Begin function _ZL29rocblas_internal_gemmt_kernelIiLi16ELi32ELi8ELc67ELc78ELc76ELb1ELb0E19rocblas_complex_numIdEPKS1_S3_PS1_EviT_T9_T10_S5_lS7_S5_lS6_T11_S5_li
	.p2align	8
	.type	_ZL29rocblas_internal_gemmt_kernelIiLi16ELi32ELi8ELc67ELc78ELc76ELb1ELb0E19rocblas_complex_numIdEPKS1_S3_PS1_EviT_T9_T10_S5_lS7_S5_lS6_T11_S5_li,@function
_ZL29rocblas_internal_gemmt_kernelIiLi16ELi32ELi8ELc67ELc78ELc76ELb1ELb0E19rocblas_complex_numIdEPKS1_S3_PS1_EviT_T9_T10_S5_lS7_S5_lS6_T11_S5_li: ; @_ZL29rocblas_internal_gemmt_kernelIiLi16ELi32ELi8ELc67ELc78ELc76ELb1ELb0E19rocblas_complex_numIdEPKS1_S3_PS1_EviT_T9_T10_S5_lS7_S5_lS6_T11_S5_li
; %bb.0:
	s_load_dwordx4 s[16:19], s[0:1], 0x38
	s_load_dwordx4 s[20:23], s[0:1], 0x8
	s_mov_b64 s[24:25], 0
	s_waitcnt lgkmcnt(0)
	s_load_dwordx4 s[8:11], s[18:19], 0x0
	s_load_dwordx2 s[6:7], s[0:1], 0x0
	s_load_dwordx4 s[12:15], s[20:21], 0x0
	s_waitcnt lgkmcnt(0)
	v_cmp_eq_f64_e64 s[20:21], s[8:9], 1.0
	v_cmp_eq_f64_e64 s[18:19], s[10:11], 0
	s_and_b64 s[20:21], s[20:21], s[18:19]
	s_andn2_b64 vcc, exec, s[20:21]
	s_mov_b64 s[20:21], -1
	s_cbranch_vccnz .LBB123_4
; %bb.1:
	s_cmp_lg_u32 s7, 0
	s_cbranch_scc0 .LBB123_3
; %bb.2:
	v_cmp_neq_f64_e64 s[20:21], s[12:13], 0
	v_cmp_neq_f64_e64 s[24:25], s[14:15], 0
	s_or_b64 s[24:25], s[20:21], s[24:25]
.LBB123_3:
	s_mov_b64 s[20:21], s[24:25]
.LBB123_4:
	s_and_b64 vcc, exec, s[20:21]
	s_cbranch_vccz .LBB123_30
; %bb.5:
	s_lshl_b32 s28, s2, 5
	s_lshl_b32 s5, s3, 5
	v_cmp_eq_f64_e64 s[2:3], s[12:13], 0
	v_cmp_eq_f64_e64 s[24:25], s[14:15], 0
	s_load_dwordx2 s[20:21], s[0:1], 0x48
	s_and_b64 s[2:3], s[2:3], s[24:25]
	s_cmp_lt_i32 s7, 1
	s_cselect_b64 s[24:25], -1, 0
	s_or_b64 s[2:3], s[2:3], s[24:25]
	v_and_b32_e32 v29, 0x3ff, v0
	v_bfe_u32 v28, v0, 10, 10
	s_mov_b32 s29, 0
	v_mov_b64_e32 v[24:25], 0
	s_and_b64 vcc, exec, s[2:3]
	v_mov_b64_e32 v[26:27], 0
	v_mov_b64_e32 v[20:21], 0
	;; [unrolled: 1-line block ×7, first 2 shown]
	s_cbranch_vccnz .LBB123_14
; %bb.6:
	v_lshl_add_u32 v0, v28, 4, v29
	v_lshrrev_b32_e32 v31, 5, v0
	v_lshrrev_b32_e32 v1, 3, v0
	v_and_b32_e32 v0, 31, v0
	v_or_b32_e32 v2, s28, v0
	v_and_b32_e32 v30, 7, v29
	v_cmp_gt_i32_e32 vcc, s6, v2
	v_lshlrev_b32_e32 v2, 4, v0
	s_load_dword s30, s[0:1], 0x18
	s_load_dwordx4 s[24:27], s[0:1], 0x20
	s_load_dword s33, s[0:1], 0x30
	v_lshl_or_b32 v32, v31, 9, v2
	v_lshlrev_b32_e32 v2, 4, v30
	v_add_u32_e32 v3, s5, v1
	v_lshl_or_b32 v1, v1, 7, v2
	v_add_u32_e32 v33, 0x1000, v1
	v_mov_b32_e32 v1, 0x1000
	v_add_u32_e32 v0, s28, v0
	v_lshl_add_u32 v35, v28, 7, v1
	s_waitcnt lgkmcnt(0)
	v_mad_i64_i32 v[0:1], s[30:31], s30, v0, 0
	s_mul_i32 s25, s25, s4
	s_mul_hi_u32 s30, s24, s4
	s_add_i32 s25, s30, s25
	s_mul_i32 s24, s24, s4
	s_lshl_b64 s[24:25], s[24:25], 4
	v_lshl_add_u64 v[4:5], v[0:1], 4, s[24:25]
	v_lshlrev_b32_e32 v0, 4, v31
	v_mov_b32_e32 v1, 0
	v_lshl_add_u64 v[4:5], v[4:5], 0, v[0:1]
	v_lshl_add_u64 v[4:5], s[22:23], 0, v[4:5]
	;; [unrolled: 1-line block ×3, first 2 shown]
	v_mad_i64_i32 v[4:5], s[22:23], s33, v3, 0
	s_mul_i32 s17, s17, s4
	s_mul_hi_u32 s22, s16, s4
	s_add_i32 s17, s22, s17
	s_mul_i32 s16, s16, s4
	s_lshl_b64 s[16:17], s[16:17], 4
	v_cmp_gt_i32_e64 s[2:3], s6, v3
	v_lshl_add_u64 v[4:5], v[4:5], 4, s[16:17]
	v_mov_b32_e32 v3, v1
	v_lshl_add_u64 v[2:3], v[4:5], 0, v[2:3]
	v_lshlrev_b32_e32 v34, 4, v29
	v_lshl_add_u64 v[10:11], s[26:27], 0, v[2:3]
	v_mov_b64_e32 v[12:13], 0
	s_xor_b64 s[16:17], s[2:3], -1
	s_mov_b64 s[22:23], 0x80
	v_mov_b32_e32 v0, v1
	v_mov_b32_e32 v2, v1
	;; [unrolled: 1-line block ×3, first 2 shown]
	v_mov_b64_e32 v[14:15], 0
	v_mov_b64_e32 v[18:19], 0
	;; [unrolled: 1-line block ×7, first 2 shown]
	s_branch .LBB123_8
.LBB123_7:                              ;   in Loop: Header=BB123_8 Depth=1
	s_or_b64 exec, exec, s[2:3]
	s_waitcnt lgkmcnt(0)
	s_barrier
	ds_read_b128 v[4:7], v34
	ds_read_b128 v[36:39], v35
	ds_read_b128 v[40:43], v35 offset:16
	ds_read_b128 v[44:47], v35 offset:32
	ds_read_b128 v[48:51], v35 offset:48
	ds_read_b128 v[52:55], v34 offset:256
	s_waitcnt lgkmcnt(4)
	v_mul_f64 v[56:57], v[38:39], v[6:7]
	v_fma_f64 v[56:57], v[36:37], v[4:5], -v[56:57]
	v_mul_f64 v[58:59], v[36:37], v[6:7]
	v_fmac_f64_e32 v[58:59], v[38:39], v[4:5]
	v_add_f64 v[56:57], v[24:25], v[56:57]
	s_waitcnt lgkmcnt(0)
	v_mul_f64 v[24:25], v[38:39], v[54:55]
	v_add_f64 v[58:59], v[58:59], v[26:27]
	v_fma_f64 v[60:61], v[36:37], v[52:53], -v[24:25]
	ds_read_b128 v[24:27], v35 offset:2048
	v_mul_f64 v[36:37], v[36:37], v[54:55]
	v_fmac_f64_e32 v[36:37], v[38:39], v[52:53]
	v_add_f64 v[38:39], v[20:21], v[60:61]
	v_add_f64 v[36:37], v[36:37], v[22:23]
	ds_read_b128 v[20:23], v35 offset:2064
	s_waitcnt lgkmcnt(1)
	v_mul_f64 v[60:61], v[26:27], v[6:7]
	v_mul_f64 v[6:7], v[24:25], v[6:7]
	v_fma_f64 v[60:61], v[24:25], v[4:5], -v[60:61]
	v_fmac_f64_e32 v[6:7], v[26:27], v[4:5]
	v_mul_f64 v[4:5], v[26:27], v[54:55]
	v_add_f64 v[16:17], v[16:17], v[60:61]
	v_add_f64 v[18:19], v[6:7], v[18:19]
	v_fma_f64 v[60:61], v[24:25], v[52:53], -v[4:5]
	v_mul_f64 v[24:25], v[24:25], v[54:55]
	ds_read_b128 v[4:7], v34 offset:512
	v_fmac_f64_e32 v[24:25], v[26:27], v[52:53]
	v_add_f64 v[26:27], v[14:15], v[60:61]
	v_add_f64 v[24:25], v[24:25], v[12:13]
	ds_read_b128 v[12:15], v34 offset:768
	s_waitcnt lgkmcnt(1)
	v_mul_f64 v[52:53], v[42:43], v[6:7]
	v_fma_f64 v[52:53], v[40:41], v[4:5], -v[52:53]
	v_add_f64 v[52:53], v[56:57], v[52:53]
	v_mul_f64 v[54:55], v[40:41], v[6:7]
	s_waitcnt lgkmcnt(0)
	v_mul_f64 v[56:57], v[42:43], v[14:15]
	v_fma_f64 v[56:57], v[40:41], v[12:13], -v[56:57]
	v_mul_f64 v[40:41], v[40:41], v[14:15]
	v_fmac_f64_e32 v[40:41], v[42:43], v[12:13]
	v_add_f64 v[36:37], v[40:41], v[36:37]
	v_mul_f64 v[40:41], v[22:23], v[6:7]
	v_mul_f64 v[6:7], v[20:21], v[6:7]
	v_fmac_f64_e32 v[54:55], v[42:43], v[4:5]
	v_fma_f64 v[40:41], v[20:21], v[4:5], -v[40:41]
	v_fmac_f64_e32 v[6:7], v[22:23], v[4:5]
	v_mul_f64 v[4:5], v[22:23], v[14:15]
	v_add_f64 v[40:41], v[16:17], v[40:41]
	v_add_f64 v[42:43], v[6:7], v[18:19]
	v_fma_f64 v[16:17], v[20:21], v[12:13], -v[4:5]
	v_mul_f64 v[14:15], v[20:21], v[14:15]
	ds_read_b128 v[4:7], v34 offset:1024
	v_fmac_f64_e32 v[14:15], v[22:23], v[12:13]
	v_add_f64 v[24:25], v[14:15], v[24:25]
	ds_read_b128 v[12:15], v34 offset:1280
	v_add_f64 v[26:27], v[26:27], v[16:17]
	s_waitcnt lgkmcnt(1)
	v_mul_f64 v[16:17], v[46:47], v[6:7]
	v_fma_f64 v[16:17], v[44:45], v[4:5], -v[16:17]
	v_mul_f64 v[18:19], v[44:45], v[6:7]
	v_add_f64 v[54:55], v[54:55], v[58:59]
	v_fmac_f64_e32 v[18:19], v[46:47], v[4:5]
	v_add_f64 v[52:53], v[52:53], v[16:17]
	s_waitcnt lgkmcnt(0)
	v_mul_f64 v[16:17], v[46:47], v[14:15]
	v_add_f64 v[54:55], v[18:19], v[54:55]
	v_fma_f64 v[20:21], v[44:45], v[12:13], -v[16:17]
	ds_read_b128 v[16:19], v35 offset:2080
	v_mul_f64 v[22:23], v[44:45], v[14:15]
	v_add_f64 v[38:39], v[38:39], v[56:57]
	v_fmac_f64_e32 v[22:23], v[46:47], v[12:13]
	v_add_f64 v[38:39], v[38:39], v[20:21]
	v_add_f64 v[36:37], v[22:23], v[36:37]
	ds_read_b128 v[20:23], v35 offset:2096
	s_waitcnt lgkmcnt(1)
	v_mul_f64 v[44:45], v[18:19], v[6:7]
	v_mul_f64 v[6:7], v[16:17], v[6:7]
	v_fma_f64 v[44:45], v[16:17], v[4:5], -v[44:45]
	v_fmac_f64_e32 v[6:7], v[18:19], v[4:5]
	v_mul_f64 v[4:5], v[18:19], v[14:15]
	v_mul_f64 v[14:15], v[16:17], v[14:15]
	v_fmac_f64_e32 v[14:15], v[18:19], v[12:13]
	v_add_f64 v[40:41], v[40:41], v[44:45]
	v_add_f64 v[42:43], v[6:7], v[42:43]
	v_fma_f64 v[44:45], v[16:17], v[12:13], -v[4:5]
	ds_read_b128 v[4:7], v34 offset:1536
	v_add_f64 v[18:19], v[14:15], v[24:25]
	ds_read_b128 v[12:15], v34 offset:1792
	v_add_f64 v[16:17], v[26:27], v[44:45]
	s_add_i32 s29, s29, 8
	s_waitcnt lgkmcnt(1)
	v_mul_f64 v[24:25], v[50:51], v[6:7]
	v_mul_f64 v[26:27], v[48:49], v[6:7]
	s_waitcnt lgkmcnt(0)
	v_mul_f64 v[44:45], v[50:51], v[14:15]
	v_fma_f64 v[44:45], v[48:49], v[12:13], -v[44:45]
	v_add_f64 v[38:39], v[38:39], v[44:45]
	v_mul_f64 v[44:45], v[22:23], v[6:7]
	v_mul_f64 v[6:7], v[20:21], v[6:7]
	v_fma_f64 v[24:25], v[48:49], v[4:5], -v[24:25]
	v_fmac_f64_e32 v[26:27], v[50:51], v[4:5]
	v_fma_f64 v[44:45], v[20:21], v[4:5], -v[44:45]
	v_fmac_f64_e32 v[6:7], v[22:23], v[4:5]
	v_mul_f64 v[4:5], v[22:23], v[14:15]
	v_mul_f64 v[46:47], v[48:49], v[14:15]
	v_add_f64 v[40:41], v[40:41], v[44:45]
	v_fma_f64 v[44:45], v[20:21], v[12:13], -v[4:5]
	v_mul_f64 v[20:21], v[20:21], v[14:15]
	v_fmac_f64_e32 v[46:47], v[50:51], v[12:13]
	v_add_f64 v[42:43], v[6:7], v[42:43]
	v_fmac_f64_e32 v[20:21], v[22:23], v[12:13]
	ds_read_b128 v[4:7], v35 offset:64
	ds_read_b128 v[12:15], v34 offset:2048
	v_add_f64 v[36:37], v[46:47], v[36:37]
	v_add_f64 v[44:45], v[16:17], v[44:45]
	;; [unrolled: 1-line block ×3, first 2 shown]
	ds_read_b128 v[16:19], v34 offset:2304
	ds_read_b128 v[20:23], v35 offset:80
	s_waitcnt lgkmcnt(2)
	v_mul_f64 v[48:49], v[6:7], v[14:15]
	v_add_f64 v[24:25], v[52:53], v[24:25]
	v_fma_f64 v[48:49], v[4:5], v[12:13], -v[48:49]
	v_mul_f64 v[50:51], v[4:5], v[14:15]
	v_add_f64 v[26:27], v[26:27], v[54:55]
	v_fmac_f64_e32 v[50:51], v[6:7], v[12:13]
	v_add_f64 v[48:49], v[24:25], v[48:49]
	s_waitcnt lgkmcnt(1)
	v_mul_f64 v[24:25], v[6:7], v[18:19]
	v_add_f64 v[50:51], v[50:51], v[26:27]
	v_fma_f64 v[52:53], v[4:5], v[16:17], -v[24:25]
	ds_read_b128 v[24:27], v35 offset:2112
	v_mul_f64 v[4:5], v[4:5], v[18:19]
	v_fmac_f64_e32 v[4:5], v[6:7], v[16:17]
	v_add_f64 v[38:39], v[38:39], v[52:53]
	v_add_f64 v[36:37], v[4:5], v[36:37]
	ds_read_b128 v[4:7], v35 offset:2128
	s_waitcnt lgkmcnt(1)
	v_mul_f64 v[52:53], v[26:27], v[14:15]
	v_mul_f64 v[14:15], v[24:25], v[14:15]
	v_fma_f64 v[52:53], v[24:25], v[12:13], -v[52:53]
	v_fmac_f64_e32 v[14:15], v[26:27], v[12:13]
	v_mul_f64 v[12:13], v[26:27], v[18:19]
	v_add_f64 v[40:41], v[40:41], v[52:53]
	v_add_f64 v[42:43], v[14:15], v[42:43]
	v_fma_f64 v[52:53], v[24:25], v[16:17], -v[12:13]
	v_mul_f64 v[18:19], v[24:25], v[18:19]
	ds_read_b128 v[12:15], v34 offset:2560
	v_fmac_f64_e32 v[18:19], v[26:27], v[16:17]
	v_add_f64 v[26:27], v[18:19], v[46:47]
	ds_read_b128 v[16:19], v34 offset:2816
	v_add_f64 v[24:25], v[44:45], v[52:53]
	s_waitcnt lgkmcnt(1)
	v_mul_f64 v[44:45], v[22:23], v[14:15]
	v_fma_f64 v[44:45], v[20:21], v[12:13], -v[44:45]
	v_add_f64 v[44:45], v[48:49], v[44:45]
	s_waitcnt lgkmcnt(0)
	v_mul_f64 v[48:49], v[22:23], v[18:19]
	v_mul_f64 v[46:47], v[20:21], v[14:15]
	v_fma_f64 v[48:49], v[20:21], v[16:17], -v[48:49]
	v_mul_f64 v[20:21], v[20:21], v[18:19]
	v_fmac_f64_e32 v[20:21], v[22:23], v[16:17]
	v_add_f64 v[36:37], v[20:21], v[36:37]
	v_mul_f64 v[20:21], v[6:7], v[14:15]
	v_mul_f64 v[14:15], v[4:5], v[14:15]
	v_fmac_f64_e32 v[46:47], v[22:23], v[12:13]
	v_fma_f64 v[20:21], v[4:5], v[12:13], -v[20:21]
	v_fmac_f64_e32 v[14:15], v[6:7], v[12:13]
	v_mul_f64 v[12:13], v[6:7], v[18:19]
	v_mul_f64 v[18:19], v[4:5], v[18:19]
	v_add_f64 v[40:41], v[40:41], v[20:21]
	v_add_f64 v[42:43], v[14:15], v[42:43]
	v_fma_f64 v[20:21], v[4:5], v[16:17], -v[12:13]
	v_fmac_f64_e32 v[18:19], v[6:7], v[16:17]
	ds_read_b128 v[4:7], v35 offset:96
	ds_read_b128 v[12:15], v34 offset:3072
	v_add_f64 v[46:47], v[46:47], v[50:51]
	v_add_f64 v[38:39], v[38:39], v[48:49]
	;; [unrolled: 1-line block ×4, first 2 shown]
	ds_read_b128 v[16:19], v34 offset:3328
	ds_read_b128 v[20:23], v35 offset:112
	s_waitcnt lgkmcnt(2)
	v_mul_f64 v[24:25], v[6:7], v[14:15]
	v_fma_f64 v[24:25], v[4:5], v[12:13], -v[24:25]
	v_mul_f64 v[26:27], v[4:5], v[14:15]
	v_fmac_f64_e32 v[26:27], v[6:7], v[12:13]
	v_add_f64 v[44:45], v[44:45], v[24:25]
	s_waitcnt lgkmcnt(1)
	v_mul_f64 v[24:25], v[6:7], v[18:19]
	v_add_f64 v[46:47], v[26:27], v[46:47]
	v_fma_f64 v[52:53], v[4:5], v[16:17], -v[24:25]
	ds_read_b128 v[24:27], v35 offset:2144
	v_mul_f64 v[4:5], v[4:5], v[18:19]
	v_fmac_f64_e32 v[4:5], v[6:7], v[16:17]
	v_add_f64 v[54:55], v[4:5], v[36:37]
	ds_read_b128 v[4:7], v35 offset:2160
	s_waitcnt lgkmcnt(1)
	v_mul_f64 v[36:37], v[26:27], v[14:15]
	v_mul_f64 v[14:15], v[24:25], v[14:15]
	v_fma_f64 v[36:37], v[24:25], v[12:13], -v[36:37]
	v_fmac_f64_e32 v[14:15], v[26:27], v[12:13]
	v_mul_f64 v[12:13], v[26:27], v[18:19]
	v_add_f64 v[40:41], v[40:41], v[36:37]
	v_add_f64 v[42:43], v[14:15], v[42:43]
	v_fma_f64 v[36:37], v[24:25], v[16:17], -v[12:13]
	ds_read_b128 v[12:15], v34 offset:3584
	v_add_f64 v[52:53], v[38:39], v[52:53]
	v_add_f64 v[48:49], v[48:49], v[36:37]
	ds_read_b128 v[36:39], v34 offset:3840
	v_mul_f64 v[18:19], v[24:25], v[18:19]
	v_fmac_f64_e32 v[18:19], v[26:27], v[16:17]
	s_waitcnt lgkmcnt(1)
	v_mul_f64 v[16:17], v[22:23], v[14:15]
	v_fma_f64 v[16:17], v[20:21], v[12:13], -v[16:17]
	v_add_f64 v[50:51], v[18:19], v[50:51]
	v_mul_f64 v[18:19], v[20:21], v[14:15]
	v_add_f64 v[24:25], v[44:45], v[16:17]
	s_waitcnt lgkmcnt(0)
	v_mul_f64 v[16:17], v[22:23], v[38:39]
	v_fmac_f64_e32 v[18:19], v[22:23], v[12:13]
	v_fma_f64 v[16:17], v[20:21], v[36:37], -v[16:17]
	v_add_f64 v[26:27], v[18:19], v[46:47]
	v_mul_f64 v[18:19], v[20:21], v[38:39]
	v_add_f64 v[20:21], v[52:53], v[16:17]
	v_mul_f64 v[16:17], v[6:7], v[14:15]
	v_mul_f64 v[14:15], v[4:5], v[14:15]
	v_fma_f64 v[16:17], v[4:5], v[12:13], -v[16:17]
	v_fmac_f64_e32 v[14:15], v[6:7], v[12:13]
	v_mul_f64 v[12:13], v[6:7], v[38:39]
	v_fma_f64 v[12:13], v[4:5], v[36:37], -v[12:13]
	v_mul_f64 v[4:5], v[4:5], v[38:39]
	v_fmac_f64_e32 v[18:19], v[22:23], v[36:37]
	v_fmac_f64_e32 v[4:5], v[6:7], v[36:37]
	v_add_f64 v[22:23], v[18:19], v[54:55]
	v_add_f64 v[16:17], v[40:41], v[16:17]
	;; [unrolled: 1-line block ×5, first 2 shown]
	v_lshl_add_u64 v[8:9], v[8:9], 0, s[22:23]
	s_cmp_lt_i32 s29, s7
	v_lshl_add_u64 v[10:11], v[10:11], 0, s[22:23]
	s_barrier
	s_cbranch_scc0 .LBB123_14
.LBB123_8:                              ; =>This Inner Loop Header: Depth=1
	v_add_u32_e32 v4, s29, v31
	v_cmp_gt_i32_e64 s[2:3], s7, v4
	s_and_b64 s[24:25], vcc, s[2:3]
	v_mov_b64_e32 v[4:5], 0
	v_mov_b64_e32 v[6:7], 0
	s_and_saveexec_b64 s[2:3], s[24:25]
	s_cbranch_execz .LBB123_10
; %bb.9:                                ;   in Loop: Header=BB123_8 Depth=1
	global_load_dwordx4 v[4:7], v[8:9], off offset:-8
	s_waitcnt vmcnt(0)
	v_xor_b32_e32 v7, 0x80000000, v7
.LBB123_10:                             ;   in Loop: Header=BB123_8 Depth=1
	s_or_b64 exec, exec, s[2:3]
	ds_write_b128 v32, v[4:7]
	v_add_u32_e32 v4, s29, v30
	v_cmp_le_i32_e64 s[2:3], s7, v4
	s_or_b64 s[2:3], s[2:3], s[16:17]
	s_and_saveexec_b64 s[24:25], s[2:3]
	s_xor_b64 s[2:3], exec, s[24:25]
; %bb.11:                               ;   in Loop: Header=BB123_8 Depth=1
	ds_write_b128 v33, v[0:3]
; %bb.12:                               ;   in Loop: Header=BB123_8 Depth=1
	s_andn2_saveexec_b64 s[2:3], s[2:3]
	s_cbranch_execz .LBB123_7
; %bb.13:                               ;   in Loop: Header=BB123_8 Depth=1
	global_load_dwordx4 v[4:7], v[10:11], off
	s_waitcnt vmcnt(0)
	ds_write2_b64 v33, v[4:5], v[6:7] offset1:1
	s_branch .LBB123_7
.LBB123_14:
	s_load_dwordx2 s[2:3], s[0:1], 0x58
	s_load_dword s22, s[0:1], 0x50
	v_add_u32_e32 v10, s5, v28
	v_add_u32_e32 v4, s28, v29
	v_cmp_le_i32_e32 vcc, v10, v4
	s_waitcnt lgkmcnt(0)
	s_mul_i32 s1, s3, s4
	s_mul_hi_u32 s3, s2, s4
	s_mul_i32 s0, s2, s4
	s_add_i32 s1, s3, s1
	s_lshl_b64 s[0:1], s[0:1], 4
	s_add_u32 s16, s20, s0
	s_addc_u32 s17, s21, s1
	v_cmp_neq_f64_e64 s[0:1], s[8:9], 0
	s_xor_b64 s[4:5], s[18:19], -1
	v_mad_i64_i32 v[0:1], s[2:3], v10, s22, 0
	s_or_b64 s[0:1], s[0:1], s[4:5]
	v_lshl_add_u64 v[8:9], v[0:1], 4, s[16:17]
	v_cmp_gt_i32_e64 s[2:3], s6, v4
	v_cndmask_b32_e64 v0, 0, 1, s[0:1]
	s_and_b64 s[18:19], vcc, s[2:3]
	v_ashrrev_i32_e32 v5, 31, v4
	v_cmp_ne_u32_e64 s[0:1], 1, v0
	s_and_saveexec_b64 s[4:5], s[18:19]
	s_cbranch_execz .LBB123_18
; %bb.15:
	v_mul_f64 v[0:1], s[14:15], v[26:27]
	v_mul_f64 v[2:3], s[12:13], v[26:27]
	v_fma_f64 v[0:1], s[12:13], v[24:25], -v[0:1]
	v_fmac_f64_e32 v[2:3], s[14:15], v[24:25]
	s_and_b64 vcc, exec, s[0:1]
	v_lshl_add_u64 v[6:7], v[4:5], 4, v[8:9]
	s_cbranch_vccnz .LBB123_17
; %bb.16:
	global_load_dwordx4 v[24:27], v[6:7], off
	s_waitcnt vmcnt(0)
	v_mul_f64 v[28:29], s[10:11], v[26:27]
	v_mul_f64 v[26:27], s[8:9], v[26:27]
	v_fma_f64 v[28:29], s[8:9], v[24:25], -v[28:29]
	v_fmac_f64_e32 v[26:27], s[10:11], v[24:25]
	v_add_f64 v[0:1], v[0:1], v[28:29]
	v_add_f64 v[2:3], v[2:3], v[26:27]
.LBB123_17:
	global_store_dwordx4 v[6:7], v[0:3], off
.LBB123_18:
	s_or_b64 exec, exec, s[4:5]
	v_add_u32_e32 v6, 16, v4
	v_cmp_le_i32_e32 vcc, v10, v6
	v_cmp_gt_i32_e64 s[4:5], s6, v6
	s_and_b64 s[18:19], vcc, s[4:5]
	v_ashrrev_i32_e32 v7, 31, v6
	s_and_saveexec_b64 s[6:7], s[18:19]
	s_cbranch_execz .LBB123_22
; %bb.19:
	v_mul_f64 v[0:1], s[14:15], v[22:23]
	v_mul_f64 v[2:3], s[12:13], v[22:23]
	v_fma_f64 v[0:1], s[12:13], v[20:21], -v[0:1]
	v_fmac_f64_e32 v[2:3], s[14:15], v[20:21]
	s_and_b64 vcc, exec, s[0:1]
	v_lshl_add_u64 v[8:9], v[6:7], 4, v[8:9]
	s_cbranch_vccnz .LBB123_21
; %bb.20:
	global_load_dwordx4 v[20:23], v[8:9], off
	s_waitcnt vmcnt(0)
	v_mul_f64 v[24:25], s[10:11], v[22:23]
	v_mul_f64 v[22:23], s[8:9], v[22:23]
	v_fma_f64 v[24:25], s[8:9], v[20:21], -v[24:25]
	v_fmac_f64_e32 v[22:23], s[10:11], v[20:21]
	v_add_f64 v[0:1], v[0:1], v[24:25]
	v_add_f64 v[2:3], v[2:3], v[22:23]
.LBB123_21:
	global_store_dwordx4 v[8:9], v[0:3], off
.LBB123_22:
	s_or_b64 exec, exec, s[6:7]
	v_add_u32_e32 v10, 16, v10
	v_mad_i64_i32 v[0:1], s[6:7], v10, s22, 0
	v_cmp_le_i32_e32 vcc, v10, v4
	v_lshl_add_u64 v[8:9], v[0:1], 4, s[16:17]
	s_and_b64 s[6:7], vcc, s[2:3]
	s_and_saveexec_b64 s[2:3], s[6:7]
	s_cbranch_execz .LBB123_26
; %bb.23:
	v_mul_f64 v[0:1], s[14:15], v[18:19]
	v_mul_f64 v[2:3], s[12:13], v[18:19]
	v_fma_f64 v[0:1], s[12:13], v[16:17], -v[0:1]
	v_fmac_f64_e32 v[2:3], s[14:15], v[16:17]
	s_and_b64 vcc, exec, s[0:1]
	v_lshl_add_u64 v[4:5], v[4:5], 4, v[8:9]
	s_cbranch_vccnz .LBB123_25
; %bb.24:
	global_load_dwordx4 v[16:19], v[4:5], off
	s_waitcnt vmcnt(0)
	v_mul_f64 v[20:21], s[10:11], v[18:19]
	v_mul_f64 v[18:19], s[8:9], v[18:19]
	v_fma_f64 v[20:21], s[8:9], v[16:17], -v[20:21]
	v_fmac_f64_e32 v[18:19], s[10:11], v[16:17]
	v_add_f64 v[0:1], v[0:1], v[20:21]
	v_add_f64 v[2:3], v[2:3], v[18:19]
.LBB123_25:
	global_store_dwordx4 v[4:5], v[0:3], off
.LBB123_26:
	s_or_b64 exec, exec, s[2:3]
	v_cmp_le_i32_e32 vcc, v10, v6
	s_and_b64 s[2:3], vcc, s[4:5]
	s_and_saveexec_b64 s[4:5], s[2:3]
	s_cbranch_execz .LBB123_30
; %bb.27:
	v_mul_f64 v[0:1], s[14:15], v[12:13]
	v_mul_f64 v[2:3], s[12:13], v[12:13]
	v_fma_f64 v[0:1], s[12:13], v[14:15], -v[0:1]
	v_fmac_f64_e32 v[2:3], s[14:15], v[14:15]
	s_and_b64 vcc, exec, s[0:1]
	v_lshl_add_u64 v[4:5], v[6:7], 4, v[8:9]
	s_cbranch_vccnz .LBB123_29
; %bb.28:
	global_load_dwordx4 v[6:9], v[4:5], off
	s_waitcnt vmcnt(0)
	v_mul_f64 v[10:11], s[10:11], v[8:9]
	v_mul_f64 v[8:9], s[8:9], v[8:9]
	v_fma_f64 v[10:11], s[8:9], v[6:7], -v[10:11]
	v_fmac_f64_e32 v[8:9], s[10:11], v[6:7]
	v_add_f64 v[0:1], v[0:1], v[10:11]
	v_add_f64 v[2:3], v[2:3], v[8:9]
.LBB123_29:
	global_store_dwordx4 v[4:5], v[0:3], off
.LBB123_30:
	s_endpgm
	.section	.rodata,"a",@progbits
	.p2align	6, 0x0
	.amdhsa_kernel _ZL29rocblas_internal_gemmt_kernelIiLi16ELi32ELi8ELc67ELc78ELc76ELb1ELb0E19rocblas_complex_numIdEPKS1_S3_PS1_EviT_T9_T10_S5_lS7_S5_lS6_T11_S5_li
		.amdhsa_group_segment_fixed_size 8192
		.amdhsa_private_segment_fixed_size 0
		.amdhsa_kernarg_size 100
		.amdhsa_user_sgpr_count 2
		.amdhsa_user_sgpr_dispatch_ptr 0
		.amdhsa_user_sgpr_queue_ptr 0
		.amdhsa_user_sgpr_kernarg_segment_ptr 1
		.amdhsa_user_sgpr_dispatch_id 0
		.amdhsa_user_sgpr_kernarg_preload_length 0
		.amdhsa_user_sgpr_kernarg_preload_offset 0
		.amdhsa_user_sgpr_private_segment_size 0
		.amdhsa_uses_dynamic_stack 0
		.amdhsa_enable_private_segment 0
		.amdhsa_system_sgpr_workgroup_id_x 1
		.amdhsa_system_sgpr_workgroup_id_y 1
		.amdhsa_system_sgpr_workgroup_id_z 1
		.amdhsa_system_sgpr_workgroup_info 0
		.amdhsa_system_vgpr_workitem_id 1
		.amdhsa_next_free_vgpr 62
		.amdhsa_next_free_sgpr 34
		.amdhsa_accum_offset 64
		.amdhsa_reserve_vcc 1
		.amdhsa_float_round_mode_32 0
		.amdhsa_float_round_mode_16_64 0
		.amdhsa_float_denorm_mode_32 3
		.amdhsa_float_denorm_mode_16_64 3
		.amdhsa_dx10_clamp 1
		.amdhsa_ieee_mode 1
		.amdhsa_fp16_overflow 0
		.amdhsa_tg_split 0
		.amdhsa_exception_fp_ieee_invalid_op 0
		.amdhsa_exception_fp_denorm_src 0
		.amdhsa_exception_fp_ieee_div_zero 0
		.amdhsa_exception_fp_ieee_overflow 0
		.amdhsa_exception_fp_ieee_underflow 0
		.amdhsa_exception_fp_ieee_inexact 0
		.amdhsa_exception_int_div_zero 0
	.end_amdhsa_kernel
	.section	.text._ZL29rocblas_internal_gemmt_kernelIiLi16ELi32ELi8ELc67ELc78ELc76ELb1ELb0E19rocblas_complex_numIdEPKS1_S3_PS1_EviT_T9_T10_S5_lS7_S5_lS6_T11_S5_li,"axG",@progbits,_ZL29rocblas_internal_gemmt_kernelIiLi16ELi32ELi8ELc67ELc78ELc76ELb1ELb0E19rocblas_complex_numIdEPKS1_S3_PS1_EviT_T9_T10_S5_lS7_S5_lS6_T11_S5_li,comdat
.Lfunc_end123:
	.size	_ZL29rocblas_internal_gemmt_kernelIiLi16ELi32ELi8ELc67ELc78ELc76ELb1ELb0E19rocblas_complex_numIdEPKS1_S3_PS1_EviT_T9_T10_S5_lS7_S5_lS6_T11_S5_li, .Lfunc_end123-_ZL29rocblas_internal_gemmt_kernelIiLi16ELi32ELi8ELc67ELc78ELc76ELb1ELb0E19rocblas_complex_numIdEPKS1_S3_PS1_EviT_T9_T10_S5_lS7_S5_lS6_T11_S5_li
                                        ; -- End function
	.set _ZL29rocblas_internal_gemmt_kernelIiLi16ELi32ELi8ELc67ELc78ELc76ELb1ELb0E19rocblas_complex_numIdEPKS1_S3_PS1_EviT_T9_T10_S5_lS7_S5_lS6_T11_S5_li.num_vgpr, 62
	.set _ZL29rocblas_internal_gemmt_kernelIiLi16ELi32ELi8ELc67ELc78ELc76ELb1ELb0E19rocblas_complex_numIdEPKS1_S3_PS1_EviT_T9_T10_S5_lS7_S5_lS6_T11_S5_li.num_agpr, 0
	.set _ZL29rocblas_internal_gemmt_kernelIiLi16ELi32ELi8ELc67ELc78ELc76ELb1ELb0E19rocblas_complex_numIdEPKS1_S3_PS1_EviT_T9_T10_S5_lS7_S5_lS6_T11_S5_li.numbered_sgpr, 34
	.set _ZL29rocblas_internal_gemmt_kernelIiLi16ELi32ELi8ELc67ELc78ELc76ELb1ELb0E19rocblas_complex_numIdEPKS1_S3_PS1_EviT_T9_T10_S5_lS7_S5_lS6_T11_S5_li.num_named_barrier, 0
	.set _ZL29rocblas_internal_gemmt_kernelIiLi16ELi32ELi8ELc67ELc78ELc76ELb1ELb0E19rocblas_complex_numIdEPKS1_S3_PS1_EviT_T9_T10_S5_lS7_S5_lS6_T11_S5_li.private_seg_size, 0
	.set _ZL29rocblas_internal_gemmt_kernelIiLi16ELi32ELi8ELc67ELc78ELc76ELb1ELb0E19rocblas_complex_numIdEPKS1_S3_PS1_EviT_T9_T10_S5_lS7_S5_lS6_T11_S5_li.uses_vcc, 1
	.set _ZL29rocblas_internal_gemmt_kernelIiLi16ELi32ELi8ELc67ELc78ELc76ELb1ELb0E19rocblas_complex_numIdEPKS1_S3_PS1_EviT_T9_T10_S5_lS7_S5_lS6_T11_S5_li.uses_flat_scratch, 0
	.set _ZL29rocblas_internal_gemmt_kernelIiLi16ELi32ELi8ELc67ELc78ELc76ELb1ELb0E19rocblas_complex_numIdEPKS1_S3_PS1_EviT_T9_T10_S5_lS7_S5_lS6_T11_S5_li.has_dyn_sized_stack, 0
	.set _ZL29rocblas_internal_gemmt_kernelIiLi16ELi32ELi8ELc67ELc78ELc76ELb1ELb0E19rocblas_complex_numIdEPKS1_S3_PS1_EviT_T9_T10_S5_lS7_S5_lS6_T11_S5_li.has_recursion, 0
	.set _ZL29rocblas_internal_gemmt_kernelIiLi16ELi32ELi8ELc67ELc78ELc76ELb1ELb0E19rocblas_complex_numIdEPKS1_S3_PS1_EviT_T9_T10_S5_lS7_S5_lS6_T11_S5_li.has_indirect_call, 0
	.section	.AMDGPU.csdata,"",@progbits
; Kernel info:
; codeLenInByte = 3124
; TotalNumSgprs: 40
; NumVgprs: 62
; NumAgprs: 0
; TotalNumVgprs: 62
; ScratchSize: 0
; MemoryBound: 1
; FloatMode: 240
; IeeeMode: 1
; LDSByteSize: 8192 bytes/workgroup (compile time only)
; SGPRBlocks: 4
; VGPRBlocks: 7
; NumSGPRsForWavesPerEU: 40
; NumVGPRsForWavesPerEU: 62
; AccumOffset: 64
; Occupancy: 8
; WaveLimiterHint : 0
; COMPUTE_PGM_RSRC2:SCRATCH_EN: 0
; COMPUTE_PGM_RSRC2:USER_SGPR: 2
; COMPUTE_PGM_RSRC2:TRAP_HANDLER: 0
; COMPUTE_PGM_RSRC2:TGID_X_EN: 1
; COMPUTE_PGM_RSRC2:TGID_Y_EN: 1
; COMPUTE_PGM_RSRC2:TGID_Z_EN: 1
; COMPUTE_PGM_RSRC2:TIDIG_COMP_CNT: 1
; COMPUTE_PGM_RSRC3_GFX90A:ACCUM_OFFSET: 15
; COMPUTE_PGM_RSRC3_GFX90A:TG_SPLIT: 0
	.section	.text._ZL29rocblas_internal_gemmt_kernelIiLi16ELi32ELi8ELc67ELc84ELc76ELb1ELb0E19rocblas_complex_numIdEPKS1_S3_PS1_EviT_T9_T10_S5_lS7_S5_lS6_T11_S5_li,"axG",@progbits,_ZL29rocblas_internal_gemmt_kernelIiLi16ELi32ELi8ELc67ELc84ELc76ELb1ELb0E19rocblas_complex_numIdEPKS1_S3_PS1_EviT_T9_T10_S5_lS7_S5_lS6_T11_S5_li,comdat
	.globl	_ZL29rocblas_internal_gemmt_kernelIiLi16ELi32ELi8ELc67ELc84ELc76ELb1ELb0E19rocblas_complex_numIdEPKS1_S3_PS1_EviT_T9_T10_S5_lS7_S5_lS6_T11_S5_li ; -- Begin function _ZL29rocblas_internal_gemmt_kernelIiLi16ELi32ELi8ELc67ELc84ELc76ELb1ELb0E19rocblas_complex_numIdEPKS1_S3_PS1_EviT_T9_T10_S5_lS7_S5_lS6_T11_S5_li
	.p2align	8
	.type	_ZL29rocblas_internal_gemmt_kernelIiLi16ELi32ELi8ELc67ELc84ELc76ELb1ELb0E19rocblas_complex_numIdEPKS1_S3_PS1_EviT_T9_T10_S5_lS7_S5_lS6_T11_S5_li,@function
_ZL29rocblas_internal_gemmt_kernelIiLi16ELi32ELi8ELc67ELc84ELc76ELb1ELb0E19rocblas_complex_numIdEPKS1_S3_PS1_EviT_T9_T10_S5_lS7_S5_lS6_T11_S5_li: ; @_ZL29rocblas_internal_gemmt_kernelIiLi16ELi32ELi8ELc67ELc84ELc76ELb1ELb0E19rocblas_complex_numIdEPKS1_S3_PS1_EviT_T9_T10_S5_lS7_S5_lS6_T11_S5_li
; %bb.0:
	s_load_dwordx4 s[16:19], s[0:1], 0x38
	s_load_dwordx4 s[20:23], s[0:1], 0x8
	s_mov_b64 s[24:25], 0
	s_waitcnt lgkmcnt(0)
	s_load_dwordx4 s[8:11], s[18:19], 0x0
	s_load_dwordx2 s[6:7], s[0:1], 0x0
	s_load_dwordx4 s[12:15], s[20:21], 0x0
	s_waitcnt lgkmcnt(0)
	v_cmp_eq_f64_e64 s[20:21], s[8:9], 1.0
	v_cmp_eq_f64_e64 s[18:19], s[10:11], 0
	s_and_b64 s[20:21], s[20:21], s[18:19]
	s_andn2_b64 vcc, exec, s[20:21]
	s_mov_b64 s[20:21], -1
	s_cbranch_vccnz .LBB124_4
; %bb.1:
	s_cmp_lg_u32 s7, 0
	s_cbranch_scc0 .LBB124_3
; %bb.2:
	v_cmp_neq_f64_e64 s[20:21], s[12:13], 0
	v_cmp_neq_f64_e64 s[24:25], s[14:15], 0
	s_or_b64 s[24:25], s[20:21], s[24:25]
.LBB124_3:
	s_mov_b64 s[20:21], s[24:25]
.LBB124_4:
	s_and_b64 vcc, exec, s[20:21]
	s_cbranch_vccz .LBB124_30
; %bb.5:
	s_lshl_b32 s28, s2, 5
	s_lshl_b32 s5, s3, 5
	v_cmp_eq_f64_e64 s[2:3], s[12:13], 0
	v_cmp_eq_f64_e64 s[24:25], s[14:15], 0
	s_load_dwordx2 s[20:21], s[0:1], 0x48
	s_and_b64 s[2:3], s[2:3], s[24:25]
	s_cmp_lt_i32 s7, 1
	s_cselect_b64 s[24:25], -1, 0
	s_or_b64 s[2:3], s[2:3], s[24:25]
	v_and_b32_e32 v29, 0x3ff, v0
	v_bfe_u32 v28, v0, 10, 10
	s_mov_b32 s29, 0
	v_mov_b64_e32 v[24:25], 0
	s_and_b64 vcc, exec, s[2:3]
	v_mov_b64_e32 v[26:27], 0
	v_mov_b64_e32 v[20:21], 0
	;; [unrolled: 1-line block ×7, first 2 shown]
	s_cbranch_vccnz .LBB124_14
; %bb.6:
	v_lshl_add_u32 v0, v28, 4, v29
	v_lshrrev_b32_e32 v31, 5, v0
	v_lshrrev_b32_e32 v1, 3, v0
	v_and_b32_e32 v0, 31, v0
	s_load_dword s33, s[0:1], 0x18
	s_load_dword s30, s[0:1], 0x30
	s_load_dwordx4 s[24:27], s[0:1], 0x20
	v_or_b32_e32 v3, s28, v0
	v_and_b32_e32 v30, 7, v29
	v_cmp_gt_i32_e32 vcc, s6, v3
	v_lshlrev_b32_e32 v3, 4, v0
	v_lshl_or_b32 v32, v31, 9, v3
	v_lshlrev_b32_e32 v3, 4, v30
	v_add_u32_e32 v2, s5, v1
	v_lshl_or_b32 v1, v1, 7, v3
	v_add_u32_e32 v33, 0x1000, v1
	v_mov_b32_e32 v1, 0x1000
	v_add_u32_e32 v0, s28, v0
	v_lshl_add_u32 v35, v28, 7, v1
	s_waitcnt lgkmcnt(0)
	v_mad_i64_i32 v[0:1], s[34:35], s33, v0, 0
	s_mul_i32 s25, s25, s4
	s_mul_hi_u32 s33, s24, s4
	s_add_i32 s25, s33, s25
	s_mul_i32 s24, s24, s4
	s_lshl_b64 s[24:25], s[24:25], 4
	v_lshl_add_u64 v[4:5], v[0:1], 4, s[24:25]
	v_lshlrev_b32_e32 v0, 4, v31
	v_mov_b32_e32 v1, 0
	v_lshl_add_u64 v[4:5], v[4:5], 0, v[0:1]
	v_lshl_add_u64 v[4:5], s[22:23], 0, v[4:5]
	s_mul_i32 s17, s17, s4
	s_mul_hi_u32 s22, s16, s4
	v_lshl_add_u64 v[8:9], v[4:5], 0, 8
	s_add_i32 s17, s22, s17
	v_mad_i64_i32 v[4:5], s[22:23], s30, v30, 0
	s_mul_i32 s16, s16, s4
	v_lshlrev_b64 v[4:5], 4, v[4:5]
	v_ashrrev_i32_e32 v3, 31, v2
	v_lshl_add_u64 v[4:5], s[16:17], 4, v[4:5]
	s_ashr_i32 s31, s30, 31
	v_cmp_gt_i32_e64 s[2:3], s6, v2
	v_lshl_add_u64 v[2:3], v[2:3], 4, v[4:5]
	v_lshlrev_b32_e32 v34, 4, v29
	v_lshl_add_u64 v[10:11], s[26:27], 0, v[2:3]
	s_lshl_b64 s[16:17], s[30:31], 7
	v_mov_b64_e32 v[12:13], 0
	s_xor_b64 s[22:23], s[2:3], -1
	s_mov_b64 s[24:25], 0x80
	v_mov_b32_e32 v0, v1
	v_mov_b32_e32 v2, v1
	;; [unrolled: 1-line block ×3, first 2 shown]
	v_mov_b64_e32 v[14:15], 0
	v_mov_b64_e32 v[18:19], 0
	;; [unrolled: 1-line block ×7, first 2 shown]
	s_branch .LBB124_8
.LBB124_7:                              ;   in Loop: Header=BB124_8 Depth=1
	s_or_b64 exec, exec, s[2:3]
	s_waitcnt lgkmcnt(0)
	s_barrier
	ds_read_b128 v[4:7], v34
	ds_read_b128 v[36:39], v35
	ds_read_b128 v[40:43], v35 offset:16
	ds_read_b128 v[44:47], v35 offset:32
	ds_read_b128 v[48:51], v35 offset:48
	ds_read_b128 v[52:55], v34 offset:256
	s_waitcnt lgkmcnt(4)
	v_mul_f64 v[56:57], v[38:39], v[6:7]
	v_fma_f64 v[56:57], v[36:37], v[4:5], -v[56:57]
	v_mul_f64 v[58:59], v[36:37], v[6:7]
	v_fmac_f64_e32 v[58:59], v[38:39], v[4:5]
	v_add_f64 v[56:57], v[24:25], v[56:57]
	s_waitcnt lgkmcnt(0)
	v_mul_f64 v[24:25], v[38:39], v[54:55]
	v_add_f64 v[58:59], v[58:59], v[26:27]
	v_fma_f64 v[60:61], v[36:37], v[52:53], -v[24:25]
	ds_read_b128 v[24:27], v35 offset:2048
	v_mul_f64 v[36:37], v[36:37], v[54:55]
	v_fmac_f64_e32 v[36:37], v[38:39], v[52:53]
	v_add_f64 v[38:39], v[20:21], v[60:61]
	v_add_f64 v[36:37], v[36:37], v[22:23]
	ds_read_b128 v[20:23], v35 offset:2064
	s_waitcnt lgkmcnt(1)
	v_mul_f64 v[60:61], v[26:27], v[6:7]
	v_mul_f64 v[6:7], v[24:25], v[6:7]
	v_fma_f64 v[60:61], v[24:25], v[4:5], -v[60:61]
	v_fmac_f64_e32 v[6:7], v[26:27], v[4:5]
	v_mul_f64 v[4:5], v[26:27], v[54:55]
	v_add_f64 v[16:17], v[16:17], v[60:61]
	v_add_f64 v[18:19], v[6:7], v[18:19]
	v_fma_f64 v[60:61], v[24:25], v[52:53], -v[4:5]
	v_mul_f64 v[24:25], v[24:25], v[54:55]
	ds_read_b128 v[4:7], v34 offset:512
	v_fmac_f64_e32 v[24:25], v[26:27], v[52:53]
	v_add_f64 v[26:27], v[14:15], v[60:61]
	v_add_f64 v[24:25], v[24:25], v[12:13]
	ds_read_b128 v[12:15], v34 offset:768
	s_waitcnt lgkmcnt(1)
	v_mul_f64 v[52:53], v[42:43], v[6:7]
	v_fma_f64 v[52:53], v[40:41], v[4:5], -v[52:53]
	v_add_f64 v[52:53], v[56:57], v[52:53]
	v_mul_f64 v[54:55], v[40:41], v[6:7]
	s_waitcnt lgkmcnt(0)
	v_mul_f64 v[56:57], v[42:43], v[14:15]
	v_fma_f64 v[56:57], v[40:41], v[12:13], -v[56:57]
	v_mul_f64 v[40:41], v[40:41], v[14:15]
	v_fmac_f64_e32 v[40:41], v[42:43], v[12:13]
	v_add_f64 v[36:37], v[40:41], v[36:37]
	v_mul_f64 v[40:41], v[22:23], v[6:7]
	v_mul_f64 v[6:7], v[20:21], v[6:7]
	v_fmac_f64_e32 v[54:55], v[42:43], v[4:5]
	v_fma_f64 v[40:41], v[20:21], v[4:5], -v[40:41]
	v_fmac_f64_e32 v[6:7], v[22:23], v[4:5]
	v_mul_f64 v[4:5], v[22:23], v[14:15]
	v_add_f64 v[40:41], v[16:17], v[40:41]
	v_add_f64 v[42:43], v[6:7], v[18:19]
	v_fma_f64 v[16:17], v[20:21], v[12:13], -v[4:5]
	v_mul_f64 v[14:15], v[20:21], v[14:15]
	ds_read_b128 v[4:7], v34 offset:1024
	v_fmac_f64_e32 v[14:15], v[22:23], v[12:13]
	v_add_f64 v[24:25], v[14:15], v[24:25]
	ds_read_b128 v[12:15], v34 offset:1280
	v_add_f64 v[26:27], v[26:27], v[16:17]
	s_waitcnt lgkmcnt(1)
	v_mul_f64 v[16:17], v[46:47], v[6:7]
	v_fma_f64 v[16:17], v[44:45], v[4:5], -v[16:17]
	v_mul_f64 v[18:19], v[44:45], v[6:7]
	v_add_f64 v[54:55], v[54:55], v[58:59]
	v_fmac_f64_e32 v[18:19], v[46:47], v[4:5]
	v_add_f64 v[52:53], v[52:53], v[16:17]
	s_waitcnt lgkmcnt(0)
	v_mul_f64 v[16:17], v[46:47], v[14:15]
	v_add_f64 v[54:55], v[18:19], v[54:55]
	v_fma_f64 v[20:21], v[44:45], v[12:13], -v[16:17]
	ds_read_b128 v[16:19], v35 offset:2080
	v_mul_f64 v[22:23], v[44:45], v[14:15]
	v_add_f64 v[38:39], v[38:39], v[56:57]
	v_fmac_f64_e32 v[22:23], v[46:47], v[12:13]
	v_add_f64 v[38:39], v[38:39], v[20:21]
	v_add_f64 v[36:37], v[22:23], v[36:37]
	ds_read_b128 v[20:23], v35 offset:2096
	s_waitcnt lgkmcnt(1)
	v_mul_f64 v[44:45], v[18:19], v[6:7]
	v_mul_f64 v[6:7], v[16:17], v[6:7]
	v_fma_f64 v[44:45], v[16:17], v[4:5], -v[44:45]
	v_fmac_f64_e32 v[6:7], v[18:19], v[4:5]
	v_mul_f64 v[4:5], v[18:19], v[14:15]
	v_mul_f64 v[14:15], v[16:17], v[14:15]
	v_fmac_f64_e32 v[14:15], v[18:19], v[12:13]
	v_add_f64 v[40:41], v[40:41], v[44:45]
	v_add_f64 v[42:43], v[6:7], v[42:43]
	v_fma_f64 v[44:45], v[16:17], v[12:13], -v[4:5]
	ds_read_b128 v[4:7], v34 offset:1536
	v_add_f64 v[18:19], v[14:15], v[24:25]
	ds_read_b128 v[12:15], v34 offset:1792
	v_add_f64 v[16:17], v[26:27], v[44:45]
	s_add_i32 s29, s29, 8
	s_waitcnt lgkmcnt(1)
	v_mul_f64 v[24:25], v[50:51], v[6:7]
	v_mul_f64 v[26:27], v[48:49], v[6:7]
	s_waitcnt lgkmcnt(0)
	v_mul_f64 v[44:45], v[50:51], v[14:15]
	v_fma_f64 v[44:45], v[48:49], v[12:13], -v[44:45]
	v_add_f64 v[38:39], v[38:39], v[44:45]
	v_mul_f64 v[44:45], v[22:23], v[6:7]
	v_mul_f64 v[6:7], v[20:21], v[6:7]
	v_fma_f64 v[24:25], v[48:49], v[4:5], -v[24:25]
	v_fmac_f64_e32 v[26:27], v[50:51], v[4:5]
	v_fma_f64 v[44:45], v[20:21], v[4:5], -v[44:45]
	v_fmac_f64_e32 v[6:7], v[22:23], v[4:5]
	v_mul_f64 v[4:5], v[22:23], v[14:15]
	v_mul_f64 v[46:47], v[48:49], v[14:15]
	v_add_f64 v[40:41], v[40:41], v[44:45]
	v_fma_f64 v[44:45], v[20:21], v[12:13], -v[4:5]
	v_mul_f64 v[20:21], v[20:21], v[14:15]
	v_fmac_f64_e32 v[46:47], v[50:51], v[12:13]
	v_add_f64 v[42:43], v[6:7], v[42:43]
	v_fmac_f64_e32 v[20:21], v[22:23], v[12:13]
	ds_read_b128 v[4:7], v35 offset:64
	ds_read_b128 v[12:15], v34 offset:2048
	v_add_f64 v[36:37], v[46:47], v[36:37]
	v_add_f64 v[44:45], v[16:17], v[44:45]
	;; [unrolled: 1-line block ×3, first 2 shown]
	ds_read_b128 v[16:19], v34 offset:2304
	ds_read_b128 v[20:23], v35 offset:80
	s_waitcnt lgkmcnt(2)
	v_mul_f64 v[48:49], v[6:7], v[14:15]
	v_add_f64 v[24:25], v[52:53], v[24:25]
	v_fma_f64 v[48:49], v[4:5], v[12:13], -v[48:49]
	v_mul_f64 v[50:51], v[4:5], v[14:15]
	v_add_f64 v[26:27], v[26:27], v[54:55]
	v_fmac_f64_e32 v[50:51], v[6:7], v[12:13]
	v_add_f64 v[48:49], v[24:25], v[48:49]
	s_waitcnt lgkmcnt(1)
	v_mul_f64 v[24:25], v[6:7], v[18:19]
	v_add_f64 v[50:51], v[50:51], v[26:27]
	v_fma_f64 v[52:53], v[4:5], v[16:17], -v[24:25]
	ds_read_b128 v[24:27], v35 offset:2112
	v_mul_f64 v[4:5], v[4:5], v[18:19]
	v_fmac_f64_e32 v[4:5], v[6:7], v[16:17]
	v_add_f64 v[38:39], v[38:39], v[52:53]
	v_add_f64 v[36:37], v[4:5], v[36:37]
	ds_read_b128 v[4:7], v35 offset:2128
	s_waitcnt lgkmcnt(1)
	v_mul_f64 v[52:53], v[26:27], v[14:15]
	v_mul_f64 v[14:15], v[24:25], v[14:15]
	v_fma_f64 v[52:53], v[24:25], v[12:13], -v[52:53]
	v_fmac_f64_e32 v[14:15], v[26:27], v[12:13]
	v_mul_f64 v[12:13], v[26:27], v[18:19]
	v_add_f64 v[40:41], v[40:41], v[52:53]
	v_add_f64 v[42:43], v[14:15], v[42:43]
	v_fma_f64 v[52:53], v[24:25], v[16:17], -v[12:13]
	v_mul_f64 v[18:19], v[24:25], v[18:19]
	ds_read_b128 v[12:15], v34 offset:2560
	v_fmac_f64_e32 v[18:19], v[26:27], v[16:17]
	v_add_f64 v[26:27], v[18:19], v[46:47]
	ds_read_b128 v[16:19], v34 offset:2816
	v_add_f64 v[24:25], v[44:45], v[52:53]
	s_waitcnt lgkmcnt(1)
	v_mul_f64 v[44:45], v[22:23], v[14:15]
	v_fma_f64 v[44:45], v[20:21], v[12:13], -v[44:45]
	v_add_f64 v[44:45], v[48:49], v[44:45]
	s_waitcnt lgkmcnt(0)
	v_mul_f64 v[48:49], v[22:23], v[18:19]
	v_mul_f64 v[46:47], v[20:21], v[14:15]
	v_fma_f64 v[48:49], v[20:21], v[16:17], -v[48:49]
	v_mul_f64 v[20:21], v[20:21], v[18:19]
	v_fmac_f64_e32 v[20:21], v[22:23], v[16:17]
	v_add_f64 v[36:37], v[20:21], v[36:37]
	v_mul_f64 v[20:21], v[6:7], v[14:15]
	v_mul_f64 v[14:15], v[4:5], v[14:15]
	v_fmac_f64_e32 v[46:47], v[22:23], v[12:13]
	v_fma_f64 v[20:21], v[4:5], v[12:13], -v[20:21]
	v_fmac_f64_e32 v[14:15], v[6:7], v[12:13]
	v_mul_f64 v[12:13], v[6:7], v[18:19]
	v_mul_f64 v[18:19], v[4:5], v[18:19]
	v_add_f64 v[40:41], v[40:41], v[20:21]
	v_add_f64 v[42:43], v[14:15], v[42:43]
	v_fma_f64 v[20:21], v[4:5], v[16:17], -v[12:13]
	v_fmac_f64_e32 v[18:19], v[6:7], v[16:17]
	ds_read_b128 v[4:7], v35 offset:96
	ds_read_b128 v[12:15], v34 offset:3072
	v_add_f64 v[46:47], v[46:47], v[50:51]
	v_add_f64 v[38:39], v[38:39], v[48:49]
	;; [unrolled: 1-line block ×4, first 2 shown]
	ds_read_b128 v[16:19], v34 offset:3328
	ds_read_b128 v[20:23], v35 offset:112
	s_waitcnt lgkmcnt(2)
	v_mul_f64 v[24:25], v[6:7], v[14:15]
	v_fma_f64 v[24:25], v[4:5], v[12:13], -v[24:25]
	v_mul_f64 v[26:27], v[4:5], v[14:15]
	v_fmac_f64_e32 v[26:27], v[6:7], v[12:13]
	v_add_f64 v[44:45], v[44:45], v[24:25]
	s_waitcnt lgkmcnt(1)
	v_mul_f64 v[24:25], v[6:7], v[18:19]
	v_add_f64 v[46:47], v[26:27], v[46:47]
	v_fma_f64 v[52:53], v[4:5], v[16:17], -v[24:25]
	ds_read_b128 v[24:27], v35 offset:2144
	v_mul_f64 v[4:5], v[4:5], v[18:19]
	v_fmac_f64_e32 v[4:5], v[6:7], v[16:17]
	v_add_f64 v[54:55], v[4:5], v[36:37]
	ds_read_b128 v[4:7], v35 offset:2160
	s_waitcnt lgkmcnt(1)
	v_mul_f64 v[36:37], v[26:27], v[14:15]
	v_mul_f64 v[14:15], v[24:25], v[14:15]
	v_fma_f64 v[36:37], v[24:25], v[12:13], -v[36:37]
	v_fmac_f64_e32 v[14:15], v[26:27], v[12:13]
	v_mul_f64 v[12:13], v[26:27], v[18:19]
	v_add_f64 v[40:41], v[40:41], v[36:37]
	v_add_f64 v[42:43], v[14:15], v[42:43]
	v_fma_f64 v[36:37], v[24:25], v[16:17], -v[12:13]
	ds_read_b128 v[12:15], v34 offset:3584
	v_add_f64 v[52:53], v[38:39], v[52:53]
	v_add_f64 v[48:49], v[48:49], v[36:37]
	ds_read_b128 v[36:39], v34 offset:3840
	v_mul_f64 v[18:19], v[24:25], v[18:19]
	v_fmac_f64_e32 v[18:19], v[26:27], v[16:17]
	s_waitcnt lgkmcnt(1)
	v_mul_f64 v[16:17], v[22:23], v[14:15]
	v_fma_f64 v[16:17], v[20:21], v[12:13], -v[16:17]
	v_add_f64 v[50:51], v[18:19], v[50:51]
	v_mul_f64 v[18:19], v[20:21], v[14:15]
	v_add_f64 v[24:25], v[44:45], v[16:17]
	s_waitcnt lgkmcnt(0)
	v_mul_f64 v[16:17], v[22:23], v[38:39]
	v_fmac_f64_e32 v[18:19], v[22:23], v[12:13]
	v_fma_f64 v[16:17], v[20:21], v[36:37], -v[16:17]
	v_add_f64 v[26:27], v[18:19], v[46:47]
	v_mul_f64 v[18:19], v[20:21], v[38:39]
	v_add_f64 v[20:21], v[52:53], v[16:17]
	v_mul_f64 v[16:17], v[6:7], v[14:15]
	v_mul_f64 v[14:15], v[4:5], v[14:15]
	v_fma_f64 v[16:17], v[4:5], v[12:13], -v[16:17]
	v_fmac_f64_e32 v[14:15], v[6:7], v[12:13]
	v_mul_f64 v[12:13], v[6:7], v[38:39]
	v_fma_f64 v[12:13], v[4:5], v[36:37], -v[12:13]
	v_mul_f64 v[4:5], v[4:5], v[38:39]
	v_fmac_f64_e32 v[18:19], v[22:23], v[36:37]
	v_fmac_f64_e32 v[4:5], v[6:7], v[36:37]
	v_add_f64 v[22:23], v[18:19], v[54:55]
	v_add_f64 v[16:17], v[40:41], v[16:17]
	;; [unrolled: 1-line block ×5, first 2 shown]
	v_lshl_add_u64 v[8:9], v[8:9], 0, s[24:25]
	s_cmp_lt_i32 s29, s7
	v_lshl_add_u64 v[10:11], v[10:11], 0, s[16:17]
	s_barrier
	s_cbranch_scc0 .LBB124_14
.LBB124_8:                              ; =>This Inner Loop Header: Depth=1
	v_add_u32_e32 v4, s29, v31
	v_cmp_gt_i32_e64 s[2:3], s7, v4
	s_and_b64 s[26:27], vcc, s[2:3]
	v_mov_b64_e32 v[4:5], 0
	v_mov_b64_e32 v[6:7], 0
	s_and_saveexec_b64 s[2:3], s[26:27]
	s_cbranch_execz .LBB124_10
; %bb.9:                                ;   in Loop: Header=BB124_8 Depth=1
	global_load_dwordx4 v[4:7], v[8:9], off offset:-8
	s_waitcnt vmcnt(0)
	v_xor_b32_e32 v7, 0x80000000, v7
.LBB124_10:                             ;   in Loop: Header=BB124_8 Depth=1
	s_or_b64 exec, exec, s[2:3]
	ds_write_b128 v32, v[4:7]
	v_add_u32_e32 v4, s29, v30
	v_cmp_le_i32_e64 s[2:3], s7, v4
	s_or_b64 s[2:3], s[2:3], s[22:23]
	s_and_saveexec_b64 s[26:27], s[2:3]
	s_xor_b64 s[2:3], exec, s[26:27]
; %bb.11:                               ;   in Loop: Header=BB124_8 Depth=1
	ds_write_b128 v33, v[0:3]
; %bb.12:                               ;   in Loop: Header=BB124_8 Depth=1
	s_andn2_saveexec_b64 s[2:3], s[2:3]
	s_cbranch_execz .LBB124_7
; %bb.13:                               ;   in Loop: Header=BB124_8 Depth=1
	global_load_dwordx4 v[4:7], v[10:11], off
	s_waitcnt vmcnt(0)
	ds_write2_b64 v33, v[4:5], v[6:7] offset1:1
	s_branch .LBB124_7
.LBB124_14:
	s_load_dwordx2 s[2:3], s[0:1], 0x58
	s_load_dword s22, s[0:1], 0x50
	v_add_u32_e32 v10, s5, v28
	v_add_u32_e32 v4, s28, v29
	v_cmp_le_i32_e32 vcc, v10, v4
	s_waitcnt lgkmcnt(0)
	s_mul_i32 s1, s3, s4
	s_mul_hi_u32 s3, s2, s4
	s_mul_i32 s0, s2, s4
	s_add_i32 s1, s3, s1
	s_lshl_b64 s[0:1], s[0:1], 4
	s_add_u32 s16, s20, s0
	s_addc_u32 s17, s21, s1
	v_cmp_neq_f64_e64 s[0:1], s[8:9], 0
	s_xor_b64 s[4:5], s[18:19], -1
	v_mad_i64_i32 v[0:1], s[2:3], v10, s22, 0
	s_or_b64 s[0:1], s[0:1], s[4:5]
	v_lshl_add_u64 v[8:9], v[0:1], 4, s[16:17]
	v_cmp_gt_i32_e64 s[2:3], s6, v4
	v_cndmask_b32_e64 v0, 0, 1, s[0:1]
	s_and_b64 s[18:19], vcc, s[2:3]
	v_ashrrev_i32_e32 v5, 31, v4
	v_cmp_ne_u32_e64 s[0:1], 1, v0
	s_and_saveexec_b64 s[4:5], s[18:19]
	s_cbranch_execz .LBB124_18
; %bb.15:
	v_mul_f64 v[0:1], s[14:15], v[26:27]
	v_mul_f64 v[2:3], s[12:13], v[26:27]
	v_fma_f64 v[0:1], s[12:13], v[24:25], -v[0:1]
	v_fmac_f64_e32 v[2:3], s[14:15], v[24:25]
	s_and_b64 vcc, exec, s[0:1]
	v_lshl_add_u64 v[6:7], v[4:5], 4, v[8:9]
	s_cbranch_vccnz .LBB124_17
; %bb.16:
	global_load_dwordx4 v[24:27], v[6:7], off
	s_waitcnt vmcnt(0)
	v_mul_f64 v[28:29], s[10:11], v[26:27]
	v_mul_f64 v[26:27], s[8:9], v[26:27]
	v_fma_f64 v[28:29], s[8:9], v[24:25], -v[28:29]
	v_fmac_f64_e32 v[26:27], s[10:11], v[24:25]
	v_add_f64 v[0:1], v[0:1], v[28:29]
	v_add_f64 v[2:3], v[2:3], v[26:27]
.LBB124_17:
	global_store_dwordx4 v[6:7], v[0:3], off
.LBB124_18:
	s_or_b64 exec, exec, s[4:5]
	v_add_u32_e32 v6, 16, v4
	v_cmp_le_i32_e32 vcc, v10, v6
	v_cmp_gt_i32_e64 s[4:5], s6, v6
	s_and_b64 s[18:19], vcc, s[4:5]
	v_ashrrev_i32_e32 v7, 31, v6
	s_and_saveexec_b64 s[6:7], s[18:19]
	s_cbranch_execz .LBB124_22
; %bb.19:
	v_mul_f64 v[0:1], s[14:15], v[22:23]
	v_mul_f64 v[2:3], s[12:13], v[22:23]
	v_fma_f64 v[0:1], s[12:13], v[20:21], -v[0:1]
	v_fmac_f64_e32 v[2:3], s[14:15], v[20:21]
	s_and_b64 vcc, exec, s[0:1]
	v_lshl_add_u64 v[8:9], v[6:7], 4, v[8:9]
	s_cbranch_vccnz .LBB124_21
; %bb.20:
	global_load_dwordx4 v[20:23], v[8:9], off
	s_waitcnt vmcnt(0)
	v_mul_f64 v[24:25], s[10:11], v[22:23]
	v_mul_f64 v[22:23], s[8:9], v[22:23]
	v_fma_f64 v[24:25], s[8:9], v[20:21], -v[24:25]
	v_fmac_f64_e32 v[22:23], s[10:11], v[20:21]
	v_add_f64 v[0:1], v[0:1], v[24:25]
	v_add_f64 v[2:3], v[2:3], v[22:23]
.LBB124_21:
	global_store_dwordx4 v[8:9], v[0:3], off
.LBB124_22:
	s_or_b64 exec, exec, s[6:7]
	v_add_u32_e32 v10, 16, v10
	v_mad_i64_i32 v[0:1], s[6:7], v10, s22, 0
	v_cmp_le_i32_e32 vcc, v10, v4
	v_lshl_add_u64 v[8:9], v[0:1], 4, s[16:17]
	s_and_b64 s[6:7], vcc, s[2:3]
	s_and_saveexec_b64 s[2:3], s[6:7]
	s_cbranch_execz .LBB124_26
; %bb.23:
	v_mul_f64 v[0:1], s[14:15], v[18:19]
	v_mul_f64 v[2:3], s[12:13], v[18:19]
	v_fma_f64 v[0:1], s[12:13], v[16:17], -v[0:1]
	v_fmac_f64_e32 v[2:3], s[14:15], v[16:17]
	s_and_b64 vcc, exec, s[0:1]
	v_lshl_add_u64 v[4:5], v[4:5], 4, v[8:9]
	s_cbranch_vccnz .LBB124_25
; %bb.24:
	global_load_dwordx4 v[16:19], v[4:5], off
	s_waitcnt vmcnt(0)
	v_mul_f64 v[20:21], s[10:11], v[18:19]
	v_mul_f64 v[18:19], s[8:9], v[18:19]
	v_fma_f64 v[20:21], s[8:9], v[16:17], -v[20:21]
	v_fmac_f64_e32 v[18:19], s[10:11], v[16:17]
	v_add_f64 v[0:1], v[0:1], v[20:21]
	v_add_f64 v[2:3], v[2:3], v[18:19]
.LBB124_25:
	global_store_dwordx4 v[4:5], v[0:3], off
.LBB124_26:
	s_or_b64 exec, exec, s[2:3]
	v_cmp_le_i32_e32 vcc, v10, v6
	s_and_b64 s[2:3], vcc, s[4:5]
	s_and_saveexec_b64 s[4:5], s[2:3]
	s_cbranch_execz .LBB124_30
; %bb.27:
	v_mul_f64 v[0:1], s[14:15], v[12:13]
	v_mul_f64 v[2:3], s[12:13], v[12:13]
	v_fma_f64 v[0:1], s[12:13], v[14:15], -v[0:1]
	v_fmac_f64_e32 v[2:3], s[14:15], v[14:15]
	s_and_b64 vcc, exec, s[0:1]
	v_lshl_add_u64 v[4:5], v[6:7], 4, v[8:9]
	s_cbranch_vccnz .LBB124_29
; %bb.28:
	global_load_dwordx4 v[6:9], v[4:5], off
	s_waitcnt vmcnt(0)
	v_mul_f64 v[10:11], s[10:11], v[8:9]
	v_mul_f64 v[8:9], s[8:9], v[8:9]
	v_fma_f64 v[10:11], s[8:9], v[6:7], -v[10:11]
	v_fmac_f64_e32 v[8:9], s[10:11], v[6:7]
	v_add_f64 v[0:1], v[0:1], v[10:11]
	v_add_f64 v[2:3], v[2:3], v[8:9]
.LBB124_29:
	global_store_dwordx4 v[4:5], v[0:3], off
.LBB124_30:
	s_endpgm
	.section	.rodata,"a",@progbits
	.p2align	6, 0x0
	.amdhsa_kernel _ZL29rocblas_internal_gemmt_kernelIiLi16ELi32ELi8ELc67ELc84ELc76ELb1ELb0E19rocblas_complex_numIdEPKS1_S3_PS1_EviT_T9_T10_S5_lS7_S5_lS6_T11_S5_li
		.amdhsa_group_segment_fixed_size 8192
		.amdhsa_private_segment_fixed_size 0
		.amdhsa_kernarg_size 100
		.amdhsa_user_sgpr_count 2
		.amdhsa_user_sgpr_dispatch_ptr 0
		.amdhsa_user_sgpr_queue_ptr 0
		.amdhsa_user_sgpr_kernarg_segment_ptr 1
		.amdhsa_user_sgpr_dispatch_id 0
		.amdhsa_user_sgpr_kernarg_preload_length 0
		.amdhsa_user_sgpr_kernarg_preload_offset 0
		.amdhsa_user_sgpr_private_segment_size 0
		.amdhsa_uses_dynamic_stack 0
		.amdhsa_enable_private_segment 0
		.amdhsa_system_sgpr_workgroup_id_x 1
		.amdhsa_system_sgpr_workgroup_id_y 1
		.amdhsa_system_sgpr_workgroup_id_z 1
		.amdhsa_system_sgpr_workgroup_info 0
		.amdhsa_system_vgpr_workitem_id 1
		.amdhsa_next_free_vgpr 62
		.amdhsa_next_free_sgpr 36
		.amdhsa_accum_offset 64
		.amdhsa_reserve_vcc 1
		.amdhsa_float_round_mode_32 0
		.amdhsa_float_round_mode_16_64 0
		.amdhsa_float_denorm_mode_32 3
		.amdhsa_float_denorm_mode_16_64 3
		.amdhsa_dx10_clamp 1
		.amdhsa_ieee_mode 1
		.amdhsa_fp16_overflow 0
		.amdhsa_tg_split 0
		.amdhsa_exception_fp_ieee_invalid_op 0
		.amdhsa_exception_fp_denorm_src 0
		.amdhsa_exception_fp_ieee_div_zero 0
		.amdhsa_exception_fp_ieee_overflow 0
		.amdhsa_exception_fp_ieee_underflow 0
		.amdhsa_exception_fp_ieee_inexact 0
		.amdhsa_exception_int_div_zero 0
	.end_amdhsa_kernel
	.section	.text._ZL29rocblas_internal_gemmt_kernelIiLi16ELi32ELi8ELc67ELc84ELc76ELb1ELb0E19rocblas_complex_numIdEPKS1_S3_PS1_EviT_T9_T10_S5_lS7_S5_lS6_T11_S5_li,"axG",@progbits,_ZL29rocblas_internal_gemmt_kernelIiLi16ELi32ELi8ELc67ELc84ELc76ELb1ELb0E19rocblas_complex_numIdEPKS1_S3_PS1_EviT_T9_T10_S5_lS7_S5_lS6_T11_S5_li,comdat
.Lfunc_end124:
	.size	_ZL29rocblas_internal_gemmt_kernelIiLi16ELi32ELi8ELc67ELc84ELc76ELb1ELb0E19rocblas_complex_numIdEPKS1_S3_PS1_EviT_T9_T10_S5_lS7_S5_lS6_T11_S5_li, .Lfunc_end124-_ZL29rocblas_internal_gemmt_kernelIiLi16ELi32ELi8ELc67ELc84ELc76ELb1ELb0E19rocblas_complex_numIdEPKS1_S3_PS1_EviT_T9_T10_S5_lS7_S5_lS6_T11_S5_li
                                        ; -- End function
	.set _ZL29rocblas_internal_gemmt_kernelIiLi16ELi32ELi8ELc67ELc84ELc76ELb1ELb0E19rocblas_complex_numIdEPKS1_S3_PS1_EviT_T9_T10_S5_lS7_S5_lS6_T11_S5_li.num_vgpr, 62
	.set _ZL29rocblas_internal_gemmt_kernelIiLi16ELi32ELi8ELc67ELc84ELc76ELb1ELb0E19rocblas_complex_numIdEPKS1_S3_PS1_EviT_T9_T10_S5_lS7_S5_lS6_T11_S5_li.num_agpr, 0
	.set _ZL29rocblas_internal_gemmt_kernelIiLi16ELi32ELi8ELc67ELc84ELc76ELb1ELb0E19rocblas_complex_numIdEPKS1_S3_PS1_EviT_T9_T10_S5_lS7_S5_lS6_T11_S5_li.numbered_sgpr, 36
	.set _ZL29rocblas_internal_gemmt_kernelIiLi16ELi32ELi8ELc67ELc84ELc76ELb1ELb0E19rocblas_complex_numIdEPKS1_S3_PS1_EviT_T9_T10_S5_lS7_S5_lS6_T11_S5_li.num_named_barrier, 0
	.set _ZL29rocblas_internal_gemmt_kernelIiLi16ELi32ELi8ELc67ELc84ELc76ELb1ELb0E19rocblas_complex_numIdEPKS1_S3_PS1_EviT_T9_T10_S5_lS7_S5_lS6_T11_S5_li.private_seg_size, 0
	.set _ZL29rocblas_internal_gemmt_kernelIiLi16ELi32ELi8ELc67ELc84ELc76ELb1ELb0E19rocblas_complex_numIdEPKS1_S3_PS1_EviT_T9_T10_S5_lS7_S5_lS6_T11_S5_li.uses_vcc, 1
	.set _ZL29rocblas_internal_gemmt_kernelIiLi16ELi32ELi8ELc67ELc84ELc76ELb1ELb0E19rocblas_complex_numIdEPKS1_S3_PS1_EviT_T9_T10_S5_lS7_S5_lS6_T11_S5_li.uses_flat_scratch, 0
	.set _ZL29rocblas_internal_gemmt_kernelIiLi16ELi32ELi8ELc67ELc84ELc76ELb1ELb0E19rocblas_complex_numIdEPKS1_S3_PS1_EviT_T9_T10_S5_lS7_S5_lS6_T11_S5_li.has_dyn_sized_stack, 0
	.set _ZL29rocblas_internal_gemmt_kernelIiLi16ELi32ELi8ELc67ELc84ELc76ELb1ELb0E19rocblas_complex_numIdEPKS1_S3_PS1_EviT_T9_T10_S5_lS7_S5_lS6_T11_S5_li.has_recursion, 0
	.set _ZL29rocblas_internal_gemmt_kernelIiLi16ELi32ELi8ELc67ELc84ELc76ELb1ELb0E19rocblas_complex_numIdEPKS1_S3_PS1_EviT_T9_T10_S5_lS7_S5_lS6_T11_S5_li.has_indirect_call, 0
	.section	.AMDGPU.csdata,"",@progbits
; Kernel info:
; codeLenInByte = 3136
; TotalNumSgprs: 42
; NumVgprs: 62
; NumAgprs: 0
; TotalNumVgprs: 62
; ScratchSize: 0
; MemoryBound: 1
; FloatMode: 240
; IeeeMode: 1
; LDSByteSize: 8192 bytes/workgroup (compile time only)
; SGPRBlocks: 5
; VGPRBlocks: 7
; NumSGPRsForWavesPerEU: 42
; NumVGPRsForWavesPerEU: 62
; AccumOffset: 64
; Occupancy: 8
; WaveLimiterHint : 0
; COMPUTE_PGM_RSRC2:SCRATCH_EN: 0
; COMPUTE_PGM_RSRC2:USER_SGPR: 2
; COMPUTE_PGM_RSRC2:TRAP_HANDLER: 0
; COMPUTE_PGM_RSRC2:TGID_X_EN: 1
; COMPUTE_PGM_RSRC2:TGID_Y_EN: 1
; COMPUTE_PGM_RSRC2:TGID_Z_EN: 1
; COMPUTE_PGM_RSRC2:TIDIG_COMP_CNT: 1
; COMPUTE_PGM_RSRC3_GFX90A:ACCUM_OFFSET: 15
; COMPUTE_PGM_RSRC3_GFX90A:TG_SPLIT: 0
	.section	.text._ZL29rocblas_internal_gemmt_kernelIiLi16ELi32ELi8ELc67ELc67ELc76ELb1ELb1E19rocblas_complex_numIdEPKS1_S3_PS1_EviT_T9_T10_S5_lS7_S5_lS6_T11_S5_li,"axG",@progbits,_ZL29rocblas_internal_gemmt_kernelIiLi16ELi32ELi8ELc67ELc67ELc76ELb1ELb1E19rocblas_complex_numIdEPKS1_S3_PS1_EviT_T9_T10_S5_lS7_S5_lS6_T11_S5_li,comdat
	.globl	_ZL29rocblas_internal_gemmt_kernelIiLi16ELi32ELi8ELc67ELc67ELc76ELb1ELb1E19rocblas_complex_numIdEPKS1_S3_PS1_EviT_T9_T10_S5_lS7_S5_lS6_T11_S5_li ; -- Begin function _ZL29rocblas_internal_gemmt_kernelIiLi16ELi32ELi8ELc67ELc67ELc76ELb1ELb1E19rocblas_complex_numIdEPKS1_S3_PS1_EviT_T9_T10_S5_lS7_S5_lS6_T11_S5_li
	.p2align	8
	.type	_ZL29rocblas_internal_gemmt_kernelIiLi16ELi32ELi8ELc67ELc67ELc76ELb1ELb1E19rocblas_complex_numIdEPKS1_S3_PS1_EviT_T9_T10_S5_lS7_S5_lS6_T11_S5_li,@function
_ZL29rocblas_internal_gemmt_kernelIiLi16ELi32ELi8ELc67ELc67ELc76ELb1ELb1E19rocblas_complex_numIdEPKS1_S3_PS1_EviT_T9_T10_S5_lS7_S5_lS6_T11_S5_li: ; @_ZL29rocblas_internal_gemmt_kernelIiLi16ELi32ELi8ELc67ELc67ELc76ELb1ELb1E19rocblas_complex_numIdEPKS1_S3_PS1_EviT_T9_T10_S5_lS7_S5_lS6_T11_S5_li
; %bb.0:
	s_load_dwordx4 s[16:19], s[0:1], 0x38
	s_load_dwordx4 s[20:23], s[0:1], 0x8
	s_mov_b64 s[6:7], 0
	s_waitcnt lgkmcnt(0)
	s_load_dwordx4 s[8:11], s[18:19], 0x0
	s_load_dwordx2 s[28:29], s[0:1], 0x0
	s_load_dwordx4 s[12:15], s[20:21], 0x0
	s_waitcnt lgkmcnt(0)
	v_cmp_eq_f64_e64 s[20:21], s[8:9], 1.0
	v_cmp_eq_f64_e64 s[18:19], s[10:11], 0
	s_and_b64 s[20:21], s[20:21], s[18:19]
	s_andn2_b64 vcc, exec, s[20:21]
	s_mov_b64 s[20:21], -1
	s_cbranch_vccnz .LBB125_4
; %bb.1:
	s_cmp_lg_u32 s29, 0
	s_cbranch_scc0 .LBB125_3
; %bb.2:
	v_cmp_neq_f64_e64 s[6:7], s[12:13], 0
	v_cmp_neq_f64_e64 s[20:21], s[14:15], 0
	s_or_b64 s[6:7], s[6:7], s[20:21]
.LBB125_3:
	s_mov_b64 s[20:21], s[6:7]
.LBB125_4:
	s_and_b64 vcc, exec, s[20:21]
	s_cbranch_vccz .LBB125_28
; %bb.5:
	s_lshl_b32 s30, s2, 5
	s_lshl_b32 s5, s3, 5
	v_cmp_eq_f64_e64 s[2:3], s[12:13], 0
	v_cmp_eq_f64_e64 s[6:7], s[14:15], 0
	s_load_dwordx2 s[20:21], s[0:1], 0x48
	s_and_b64 s[2:3], s[2:3], s[6:7]
	s_cmp_lt_i32 s29, 1
	s_cselect_b64 s[6:7], -1, 0
	s_or_b64 s[2:3], s[2:3], s[6:7]
	v_and_b32_e32 v25, 0x3ff, v0
	v_bfe_u32 v24, v0, 10, 10
	s_mov_b32 s31, 0
	v_mov_b64_e32 v[20:21], 0
	s_and_b64 vcc, exec, s[2:3]
	v_mov_b64_e32 v[22:23], 0
	v_mov_b64_e32 v[16:17], 0
	;; [unrolled: 1-line block ×7, first 2 shown]
	s_cbranch_vccnz .LBB125_12
; %bb.6:
	v_lshl_add_u32 v1, v24, 4, v25
	v_and_b32_e32 v3, 31, v1
	s_load_dword s33, s[0:1], 0x18
	s_load_dword s6, s[0:1], 0x30
	s_load_dwordx4 s[24:27], s[0:1], 0x20
	v_lshrrev_b32_e32 v27, 5, v1
	v_lshrrev_b32_e32 v2, 3, v1
	v_or_b32_e32 v1, s30, v3
	v_and_b32_e32 v26, 7, v25
	v_cmp_gt_i32_e32 vcc, s28, v1
	v_lshlrev_b32_e32 v1, 4, v3
	v_lshl_or_b32 v28, v27, 9, v1
	v_lshlrev_b32_e32 v1, 4, v26
	v_add_u32_e32 v0, s5, v2
	v_lshl_or_b32 v1, v2, 7, v1
	v_mov_b32_e32 v2, 0x1000
	v_lshl_add_u32 v31, v24, 7, v2
	v_add_u32_e32 v2, s30, v3
	s_waitcnt lgkmcnt(0)
	v_mad_i64_i32 v[2:3], s[34:35], s33, v2, 0
	s_mul_i32 s25, s25, s4
	s_mul_hi_u32 s33, s24, s4
	s_add_i32 s25, s33, s25
	s_mul_i32 s24, s24, s4
	s_lshl_b64 s[24:25], s[24:25], 4
	v_lshl_add_u64 v[2:3], v[2:3], 4, s[24:25]
	v_lshlrev_b32_e32 v4, 4, v27
	v_mov_b32_e32 v5, 0
	v_lshl_add_u64 v[2:3], v[2:3], 0, v[4:5]
	v_lshl_add_u64 v[2:3], s[22:23], 0, v[2:3]
	s_mul_i32 s17, s17, s4
	s_mul_hi_u32 s22, s16, s4
	v_lshl_add_u64 v[4:5], v[2:3], 0, 8
	s_add_i32 s17, s22, s17
	v_mad_i64_i32 v[2:3], s[22:23], s6, v26, 0
	s_mul_i32 s16, s16, s4
	v_lshlrev_b64 v[2:3], 4, v[2:3]
	v_add_u32_e32 v29, 0x1000, v1
	v_ashrrev_i32_e32 v1, 31, v0
	v_lshl_add_u64 v[2:3], s[16:17], 4, v[2:3]
	v_cmp_gt_i32_e64 s[2:3], s28, v0
	v_lshl_add_u64 v[0:1], v[0:1], 4, v[2:3]
	s_ashr_i32 s7, s6, 31
	v_lshl_add_u64 v[0:1], s[26:27], 0, v[0:1]
	v_lshlrev_b32_e32 v30, 4, v25
	v_lshl_add_u64 v[6:7], v[0:1], 0, 8
	s_lshl_b64 s[16:17], s[6:7], 7
	v_mov_b64_e32 v[8:9], 0
	s_mov_b64 s[22:23], 0x80
	v_mov_b64_e32 v[10:11], 0
	v_mov_b64_e32 v[14:15], 0
	v_mov_b64_e32 v[12:13], 0
	v_mov_b64_e32 v[18:19], 0
	v_mov_b64_e32 v[16:17], 0
	v_mov_b64_e32 v[22:23], 0
	v_mov_b64_e32 v[20:21], 0
	s_branch .LBB125_8
.LBB125_7:                              ;   in Loop: Header=BB125_8 Depth=1
	s_or_b64 exec, exec, s[6:7]
	ds_write_b128 v29, v[0:3]
	s_waitcnt lgkmcnt(0)
	s_barrier
	ds_read_b128 v[0:3], v30
	ds_read_b128 v[32:35], v31
	ds_read_b128 v[36:39], v31 offset:16
	ds_read_b128 v[40:43], v31 offset:32
	ds_read_b128 v[44:47], v31 offset:48
	ds_read_b128 v[48:51], v30 offset:256
	s_waitcnt lgkmcnt(4)
	v_mul_f64 v[52:53], v[34:35], v[2:3]
	v_fma_f64 v[52:53], v[32:33], v[0:1], -v[52:53]
	v_mul_f64 v[54:55], v[32:33], v[2:3]
	v_fmac_f64_e32 v[54:55], v[34:35], v[0:1]
	v_add_f64 v[52:53], v[20:21], v[52:53]
	s_waitcnt lgkmcnt(0)
	v_mul_f64 v[20:21], v[34:35], v[50:51]
	v_add_f64 v[54:55], v[54:55], v[22:23]
	v_fma_f64 v[56:57], v[32:33], v[48:49], -v[20:21]
	ds_read_b128 v[20:23], v31 offset:2048
	v_mul_f64 v[32:33], v[32:33], v[50:51]
	v_fmac_f64_e32 v[32:33], v[34:35], v[48:49]
	v_add_f64 v[34:35], v[16:17], v[56:57]
	v_add_f64 v[32:33], v[32:33], v[18:19]
	ds_read_b128 v[16:19], v31 offset:2064
	s_waitcnt lgkmcnt(1)
	v_mul_f64 v[56:57], v[22:23], v[2:3]
	v_mul_f64 v[2:3], v[20:21], v[2:3]
	v_fma_f64 v[56:57], v[20:21], v[0:1], -v[56:57]
	v_fmac_f64_e32 v[2:3], v[22:23], v[0:1]
	v_mul_f64 v[0:1], v[22:23], v[50:51]
	v_add_f64 v[12:13], v[12:13], v[56:57]
	v_add_f64 v[14:15], v[2:3], v[14:15]
	v_fma_f64 v[56:57], v[20:21], v[48:49], -v[0:1]
	v_mul_f64 v[20:21], v[20:21], v[50:51]
	ds_read_b128 v[0:3], v30 offset:512
	v_fmac_f64_e32 v[20:21], v[22:23], v[48:49]
	v_add_f64 v[22:23], v[10:11], v[56:57]
	v_add_f64 v[20:21], v[20:21], v[8:9]
	ds_read_b128 v[8:11], v30 offset:768
	s_waitcnt lgkmcnt(1)
	v_mul_f64 v[48:49], v[38:39], v[2:3]
	v_fma_f64 v[48:49], v[36:37], v[0:1], -v[48:49]
	v_add_f64 v[48:49], v[52:53], v[48:49]
	v_mul_f64 v[50:51], v[36:37], v[2:3]
	s_waitcnt lgkmcnt(0)
	v_mul_f64 v[52:53], v[38:39], v[10:11]
	v_fma_f64 v[52:53], v[36:37], v[8:9], -v[52:53]
	v_mul_f64 v[36:37], v[36:37], v[10:11]
	v_fmac_f64_e32 v[36:37], v[38:39], v[8:9]
	v_add_f64 v[32:33], v[36:37], v[32:33]
	v_mul_f64 v[36:37], v[18:19], v[2:3]
	v_mul_f64 v[2:3], v[16:17], v[2:3]
	v_fmac_f64_e32 v[50:51], v[38:39], v[0:1]
	v_fma_f64 v[36:37], v[16:17], v[0:1], -v[36:37]
	v_fmac_f64_e32 v[2:3], v[18:19], v[0:1]
	v_mul_f64 v[0:1], v[18:19], v[10:11]
	v_add_f64 v[36:37], v[12:13], v[36:37]
	v_add_f64 v[38:39], v[2:3], v[14:15]
	v_fma_f64 v[12:13], v[16:17], v[8:9], -v[0:1]
	v_mul_f64 v[10:11], v[16:17], v[10:11]
	ds_read_b128 v[0:3], v30 offset:1024
	v_fmac_f64_e32 v[10:11], v[18:19], v[8:9]
	v_add_f64 v[20:21], v[10:11], v[20:21]
	ds_read_b128 v[8:11], v30 offset:1280
	v_add_f64 v[22:23], v[22:23], v[12:13]
	s_waitcnt lgkmcnt(1)
	v_mul_f64 v[12:13], v[42:43], v[2:3]
	v_fma_f64 v[12:13], v[40:41], v[0:1], -v[12:13]
	v_mul_f64 v[14:15], v[40:41], v[2:3]
	v_add_f64 v[50:51], v[50:51], v[54:55]
	v_fmac_f64_e32 v[14:15], v[42:43], v[0:1]
	v_add_f64 v[48:49], v[48:49], v[12:13]
	s_waitcnt lgkmcnt(0)
	v_mul_f64 v[12:13], v[42:43], v[10:11]
	v_add_f64 v[50:51], v[14:15], v[50:51]
	v_fma_f64 v[16:17], v[40:41], v[8:9], -v[12:13]
	ds_read_b128 v[12:15], v31 offset:2080
	v_mul_f64 v[18:19], v[40:41], v[10:11]
	v_add_f64 v[34:35], v[34:35], v[52:53]
	v_fmac_f64_e32 v[18:19], v[42:43], v[8:9]
	v_add_f64 v[34:35], v[34:35], v[16:17]
	v_add_f64 v[32:33], v[18:19], v[32:33]
	ds_read_b128 v[16:19], v31 offset:2096
	s_waitcnt lgkmcnt(1)
	v_mul_f64 v[40:41], v[14:15], v[2:3]
	v_mul_f64 v[2:3], v[12:13], v[2:3]
	v_fma_f64 v[40:41], v[12:13], v[0:1], -v[40:41]
	v_fmac_f64_e32 v[2:3], v[14:15], v[0:1]
	v_mul_f64 v[0:1], v[14:15], v[10:11]
	v_mul_f64 v[10:11], v[12:13], v[10:11]
	v_fmac_f64_e32 v[10:11], v[14:15], v[8:9]
	v_add_f64 v[36:37], v[36:37], v[40:41]
	v_add_f64 v[38:39], v[2:3], v[38:39]
	v_fma_f64 v[40:41], v[12:13], v[8:9], -v[0:1]
	ds_read_b128 v[0:3], v30 offset:1536
	v_add_f64 v[14:15], v[10:11], v[20:21]
	ds_read_b128 v[8:11], v30 offset:1792
	v_add_f64 v[12:13], v[22:23], v[40:41]
	s_add_i32 s31, s31, 8
	s_waitcnt lgkmcnt(1)
	v_mul_f64 v[20:21], v[46:47], v[2:3]
	v_mul_f64 v[22:23], v[44:45], v[2:3]
	s_waitcnt lgkmcnt(0)
	v_mul_f64 v[40:41], v[46:47], v[10:11]
	v_fma_f64 v[40:41], v[44:45], v[8:9], -v[40:41]
	v_add_f64 v[34:35], v[34:35], v[40:41]
	v_mul_f64 v[40:41], v[18:19], v[2:3]
	v_mul_f64 v[2:3], v[16:17], v[2:3]
	v_fma_f64 v[20:21], v[44:45], v[0:1], -v[20:21]
	v_fmac_f64_e32 v[22:23], v[46:47], v[0:1]
	v_fma_f64 v[40:41], v[16:17], v[0:1], -v[40:41]
	v_fmac_f64_e32 v[2:3], v[18:19], v[0:1]
	v_mul_f64 v[0:1], v[18:19], v[10:11]
	v_mul_f64 v[42:43], v[44:45], v[10:11]
	v_add_f64 v[36:37], v[36:37], v[40:41]
	v_fma_f64 v[40:41], v[16:17], v[8:9], -v[0:1]
	v_mul_f64 v[16:17], v[16:17], v[10:11]
	v_fmac_f64_e32 v[42:43], v[46:47], v[8:9]
	v_add_f64 v[38:39], v[2:3], v[38:39]
	v_fmac_f64_e32 v[16:17], v[18:19], v[8:9]
	ds_read_b128 v[0:3], v31 offset:64
	ds_read_b128 v[8:11], v30 offset:2048
	v_add_f64 v[32:33], v[42:43], v[32:33]
	v_add_f64 v[40:41], v[12:13], v[40:41]
	;; [unrolled: 1-line block ×3, first 2 shown]
	ds_read_b128 v[12:15], v30 offset:2304
	ds_read_b128 v[16:19], v31 offset:80
	s_waitcnt lgkmcnt(2)
	v_mul_f64 v[44:45], v[2:3], v[10:11]
	v_add_f64 v[20:21], v[48:49], v[20:21]
	v_fma_f64 v[44:45], v[0:1], v[8:9], -v[44:45]
	v_mul_f64 v[46:47], v[0:1], v[10:11]
	v_add_f64 v[22:23], v[22:23], v[50:51]
	v_fmac_f64_e32 v[46:47], v[2:3], v[8:9]
	v_add_f64 v[44:45], v[20:21], v[44:45]
	s_waitcnt lgkmcnt(1)
	v_mul_f64 v[20:21], v[2:3], v[14:15]
	v_add_f64 v[46:47], v[46:47], v[22:23]
	v_fma_f64 v[48:49], v[0:1], v[12:13], -v[20:21]
	ds_read_b128 v[20:23], v31 offset:2112
	v_mul_f64 v[0:1], v[0:1], v[14:15]
	v_fmac_f64_e32 v[0:1], v[2:3], v[12:13]
	v_add_f64 v[34:35], v[34:35], v[48:49]
	v_add_f64 v[32:33], v[0:1], v[32:33]
	ds_read_b128 v[0:3], v31 offset:2128
	s_waitcnt lgkmcnt(1)
	v_mul_f64 v[48:49], v[22:23], v[10:11]
	v_mul_f64 v[10:11], v[20:21], v[10:11]
	v_fma_f64 v[48:49], v[20:21], v[8:9], -v[48:49]
	v_fmac_f64_e32 v[10:11], v[22:23], v[8:9]
	v_mul_f64 v[8:9], v[22:23], v[14:15]
	v_add_f64 v[36:37], v[36:37], v[48:49]
	v_add_f64 v[38:39], v[10:11], v[38:39]
	v_fma_f64 v[48:49], v[20:21], v[12:13], -v[8:9]
	v_mul_f64 v[14:15], v[20:21], v[14:15]
	ds_read_b128 v[8:11], v30 offset:2560
	v_fmac_f64_e32 v[14:15], v[22:23], v[12:13]
	v_add_f64 v[22:23], v[14:15], v[42:43]
	ds_read_b128 v[12:15], v30 offset:2816
	v_add_f64 v[20:21], v[40:41], v[48:49]
	s_waitcnt lgkmcnt(1)
	v_mul_f64 v[40:41], v[18:19], v[10:11]
	v_fma_f64 v[40:41], v[16:17], v[8:9], -v[40:41]
	v_add_f64 v[40:41], v[44:45], v[40:41]
	s_waitcnt lgkmcnt(0)
	v_mul_f64 v[44:45], v[18:19], v[14:15]
	v_mul_f64 v[42:43], v[16:17], v[10:11]
	v_fma_f64 v[44:45], v[16:17], v[12:13], -v[44:45]
	v_mul_f64 v[16:17], v[16:17], v[14:15]
	v_fmac_f64_e32 v[16:17], v[18:19], v[12:13]
	v_add_f64 v[32:33], v[16:17], v[32:33]
	v_mul_f64 v[16:17], v[2:3], v[10:11]
	v_mul_f64 v[10:11], v[0:1], v[10:11]
	v_fmac_f64_e32 v[42:43], v[18:19], v[8:9]
	v_fma_f64 v[16:17], v[0:1], v[8:9], -v[16:17]
	v_fmac_f64_e32 v[10:11], v[2:3], v[8:9]
	v_mul_f64 v[8:9], v[2:3], v[14:15]
	v_mul_f64 v[14:15], v[0:1], v[14:15]
	v_add_f64 v[36:37], v[36:37], v[16:17]
	v_add_f64 v[38:39], v[10:11], v[38:39]
	v_fma_f64 v[16:17], v[0:1], v[12:13], -v[8:9]
	v_fmac_f64_e32 v[14:15], v[2:3], v[12:13]
	ds_read_b128 v[0:3], v31 offset:96
	ds_read_b128 v[8:11], v30 offset:3072
	v_add_f64 v[42:43], v[42:43], v[46:47]
	v_add_f64 v[34:35], v[34:35], v[44:45]
	;; [unrolled: 1-line block ×4, first 2 shown]
	ds_read_b128 v[12:15], v30 offset:3328
	ds_read_b128 v[16:19], v31 offset:112
	s_waitcnt lgkmcnt(2)
	v_mul_f64 v[20:21], v[2:3], v[10:11]
	v_fma_f64 v[20:21], v[0:1], v[8:9], -v[20:21]
	v_mul_f64 v[22:23], v[0:1], v[10:11]
	v_fmac_f64_e32 v[22:23], v[2:3], v[8:9]
	v_add_f64 v[40:41], v[40:41], v[20:21]
	s_waitcnt lgkmcnt(1)
	v_mul_f64 v[20:21], v[2:3], v[14:15]
	v_add_f64 v[42:43], v[22:23], v[42:43]
	v_fma_f64 v[48:49], v[0:1], v[12:13], -v[20:21]
	ds_read_b128 v[20:23], v31 offset:2144
	v_mul_f64 v[0:1], v[0:1], v[14:15]
	v_fmac_f64_e32 v[0:1], v[2:3], v[12:13]
	v_add_f64 v[50:51], v[0:1], v[32:33]
	ds_read_b128 v[0:3], v31 offset:2160
	s_waitcnt lgkmcnt(1)
	v_mul_f64 v[32:33], v[22:23], v[10:11]
	v_mul_f64 v[10:11], v[20:21], v[10:11]
	v_fma_f64 v[32:33], v[20:21], v[8:9], -v[32:33]
	v_fmac_f64_e32 v[10:11], v[22:23], v[8:9]
	v_mul_f64 v[8:9], v[22:23], v[14:15]
	v_add_f64 v[36:37], v[36:37], v[32:33]
	v_add_f64 v[38:39], v[10:11], v[38:39]
	v_fma_f64 v[32:33], v[20:21], v[12:13], -v[8:9]
	ds_read_b128 v[8:11], v30 offset:3584
	v_add_f64 v[48:49], v[34:35], v[48:49]
	v_add_f64 v[44:45], v[44:45], v[32:33]
	ds_read_b128 v[32:35], v30 offset:3840
	v_mul_f64 v[14:15], v[20:21], v[14:15]
	v_fmac_f64_e32 v[14:15], v[22:23], v[12:13]
	s_waitcnt lgkmcnt(1)
	v_mul_f64 v[12:13], v[18:19], v[10:11]
	v_fma_f64 v[12:13], v[16:17], v[8:9], -v[12:13]
	v_add_f64 v[46:47], v[14:15], v[46:47]
	v_mul_f64 v[14:15], v[16:17], v[10:11]
	v_add_f64 v[20:21], v[40:41], v[12:13]
	s_waitcnt lgkmcnt(0)
	v_mul_f64 v[12:13], v[18:19], v[34:35]
	v_fmac_f64_e32 v[14:15], v[18:19], v[8:9]
	v_fma_f64 v[12:13], v[16:17], v[32:33], -v[12:13]
	v_add_f64 v[22:23], v[14:15], v[42:43]
	v_mul_f64 v[14:15], v[16:17], v[34:35]
	v_add_f64 v[16:17], v[48:49], v[12:13]
	v_mul_f64 v[12:13], v[2:3], v[10:11]
	v_mul_f64 v[10:11], v[0:1], v[10:11]
	v_fma_f64 v[12:13], v[0:1], v[8:9], -v[12:13]
	v_fmac_f64_e32 v[10:11], v[2:3], v[8:9]
	v_mul_f64 v[8:9], v[2:3], v[34:35]
	v_fma_f64 v[8:9], v[0:1], v[32:33], -v[8:9]
	v_mul_f64 v[0:1], v[0:1], v[34:35]
	v_fmac_f64_e32 v[14:15], v[18:19], v[32:33]
	v_fmac_f64_e32 v[0:1], v[2:3], v[32:33]
	v_add_f64 v[18:19], v[14:15], v[50:51]
	v_add_f64 v[12:13], v[36:37], v[12:13]
	;; [unrolled: 1-line block ×5, first 2 shown]
	v_lshl_add_u64 v[4:5], v[4:5], 0, s[22:23]
	s_cmp_lt_i32 s31, s29
	v_lshl_add_u64 v[6:7], v[6:7], 0, s[16:17]
	s_barrier
	s_cbranch_scc0 .LBB125_12
.LBB125_8:                              ; =>This Inner Loop Header: Depth=1
	v_add_u32_e32 v0, s31, v27
	v_cmp_gt_i32_e64 s[6:7], s29, v0
	s_and_b64 s[24:25], vcc, s[6:7]
	v_mov_b64_e32 v[0:1], 0
	v_mov_b64_e32 v[2:3], 0
	s_and_saveexec_b64 s[6:7], s[24:25]
	s_cbranch_execz .LBB125_10
; %bb.9:                                ;   in Loop: Header=BB125_8 Depth=1
	global_load_dwordx4 v[0:3], v[4:5], off offset:-8
	s_waitcnt vmcnt(0)
	v_xor_b32_e32 v3, 0x80000000, v3
.LBB125_10:                             ;   in Loop: Header=BB125_8 Depth=1
	s_or_b64 exec, exec, s[6:7]
	ds_write_b128 v28, v[0:3]
	v_add_u32_e32 v0, s31, v26
	v_cmp_gt_i32_e64 s[6:7], s29, v0
	s_and_b64 s[24:25], s[6:7], s[2:3]
	v_mov_b64_e32 v[0:1], 0
	v_mov_b64_e32 v[2:3], 0
	s_and_saveexec_b64 s[6:7], s[24:25]
	s_cbranch_execz .LBB125_7
; %bb.11:                               ;   in Loop: Header=BB125_8 Depth=1
	global_load_dwordx4 v[0:3], v[6:7], off offset:-8
	s_waitcnt vmcnt(0)
	v_xor_b32_e32 v3, 0x80000000, v3
	s_branch .LBB125_7
.LBB125_12:
	s_load_dwordx2 s[2:3], s[0:1], 0x58
	s_load_dword s22, s[0:1], 0x50
	v_add_u32_e32 v26, s5, v24
	v_add_u32_e32 v4, s30, v25
	v_cmp_le_i32_e32 vcc, v26, v4
	s_waitcnt lgkmcnt(0)
	s_mul_i32 s1, s3, s4
	s_mul_hi_u32 s3, s2, s4
	s_mul_i32 s0, s2, s4
	s_add_i32 s1, s3, s1
	s_lshl_b64 s[0:1], s[0:1], 4
	s_add_u32 s6, s20, s0
	s_addc_u32 s7, s21, s1
	v_cmp_neq_f64_e64 s[0:1], s[8:9], 0
	s_xor_b64 s[4:5], s[18:19], -1
	v_mad_i64_i32 v[0:1], s[2:3], v26, s22, 0
	s_or_b64 s[0:1], s[0:1], s[4:5]
	v_lshl_add_u64 v[24:25], v[0:1], 4, s[6:7]
	v_cmp_gt_i32_e64 s[2:3], s28, v4
	v_cndmask_b32_e64 v0, 0, 1, s[0:1]
	s_and_b64 s[16:17], vcc, s[2:3]
	v_ashrrev_i32_e32 v5, 31, v4
	v_cmp_ne_u32_e64 s[0:1], 1, v0
	s_and_saveexec_b64 s[4:5], s[16:17]
	s_cbranch_execz .LBB125_16
; %bb.13:
	v_mul_f64 v[0:1], s[14:15], v[22:23]
	v_mul_f64 v[2:3], s[12:13], v[22:23]
	v_fma_f64 v[0:1], s[12:13], v[20:21], -v[0:1]
	v_fmac_f64_e32 v[2:3], s[14:15], v[20:21]
	s_and_b64 vcc, exec, s[0:1]
	v_lshl_add_u64 v[6:7], v[4:5], 4, v[24:25]
	s_cbranch_vccnz .LBB125_15
; %bb.14:
	global_load_dwordx4 v[20:23], v[6:7], off
	s_waitcnt vmcnt(0)
	v_mul_f64 v[28:29], s[10:11], v[22:23]
	v_mul_f64 v[22:23], s[8:9], v[22:23]
	v_fma_f64 v[28:29], s[8:9], v[20:21], -v[28:29]
	v_fmac_f64_e32 v[22:23], s[10:11], v[20:21]
	v_add_f64 v[0:1], v[0:1], v[28:29]
	v_add_f64 v[2:3], v[2:3], v[22:23]
.LBB125_15:
	global_store_dwordx4 v[6:7], v[0:3], off
.LBB125_16:
	s_or_b64 exec, exec, s[4:5]
	v_add_u32_e32 v6, 16, v4
	v_cmp_le_i32_e32 vcc, v26, v6
	v_cmp_gt_i32_e64 s[4:5], s28, v6
	s_and_b64 s[18:19], vcc, s[4:5]
	v_ashrrev_i32_e32 v7, 31, v6
	s_and_saveexec_b64 s[16:17], s[18:19]
	s_cbranch_execz .LBB125_20
; %bb.17:
	v_mul_f64 v[0:1], s[14:15], v[18:19]
	v_mul_f64 v[2:3], s[12:13], v[18:19]
	v_fma_f64 v[0:1], s[12:13], v[16:17], -v[0:1]
	v_fmac_f64_e32 v[2:3], s[14:15], v[16:17]
	s_and_b64 vcc, exec, s[0:1]
	v_lshl_add_u64 v[16:17], v[6:7], 4, v[24:25]
	s_cbranch_vccnz .LBB125_19
; %bb.18:
	global_load_dwordx4 v[18:21], v[16:17], off
	s_waitcnt vmcnt(0)
	v_mul_f64 v[22:23], s[10:11], v[20:21]
	v_mul_f64 v[20:21], s[8:9], v[20:21]
	v_fma_f64 v[22:23], s[8:9], v[18:19], -v[22:23]
	v_fmac_f64_e32 v[20:21], s[10:11], v[18:19]
	v_add_f64 v[0:1], v[0:1], v[22:23]
	v_add_f64 v[2:3], v[2:3], v[20:21]
.LBB125_19:
	global_store_dwordx4 v[16:17], v[0:3], off
.LBB125_20:
	s_or_b64 exec, exec, s[16:17]
	v_add_u32_e32 v18, 16, v26
	v_mad_i64_i32 v[0:1], s[16:17], v18, s22, 0
	v_cmp_le_i32_e32 vcc, v18, v4
	v_lshl_add_u64 v[16:17], v[0:1], 4, s[6:7]
	s_and_b64 s[6:7], vcc, s[2:3]
	s_and_saveexec_b64 s[2:3], s[6:7]
	s_cbranch_execz .LBB125_24
; %bb.21:
	v_mul_f64 v[0:1], s[14:15], v[14:15]
	v_mul_f64 v[2:3], s[12:13], v[14:15]
	v_fma_f64 v[0:1], s[12:13], v[12:13], -v[0:1]
	v_fmac_f64_e32 v[2:3], s[14:15], v[12:13]
	s_and_b64 vcc, exec, s[0:1]
	v_lshl_add_u64 v[4:5], v[4:5], 4, v[16:17]
	s_cbranch_vccnz .LBB125_23
; %bb.22:
	global_load_dwordx4 v[12:15], v[4:5], off
	s_waitcnt vmcnt(0)
	v_mul_f64 v[20:21], s[10:11], v[14:15]
	v_mul_f64 v[14:15], s[8:9], v[14:15]
	v_fma_f64 v[20:21], s[8:9], v[12:13], -v[20:21]
	v_fmac_f64_e32 v[14:15], s[10:11], v[12:13]
	v_add_f64 v[0:1], v[0:1], v[20:21]
	v_add_f64 v[2:3], v[2:3], v[14:15]
.LBB125_23:
	global_store_dwordx4 v[4:5], v[0:3], off
.LBB125_24:
	s_or_b64 exec, exec, s[2:3]
	v_cmp_le_i32_e32 vcc, v18, v6
	s_and_b64 s[2:3], vcc, s[4:5]
	s_and_saveexec_b64 s[4:5], s[2:3]
	s_cbranch_execz .LBB125_28
; %bb.25:
	v_mul_f64 v[0:1], s[14:15], v[8:9]
	v_mul_f64 v[2:3], s[12:13], v[8:9]
	v_fma_f64 v[0:1], s[12:13], v[10:11], -v[0:1]
	v_fmac_f64_e32 v[2:3], s[14:15], v[10:11]
	s_and_b64 vcc, exec, s[0:1]
	v_lshl_add_u64 v[4:5], v[6:7], 4, v[16:17]
	s_cbranch_vccnz .LBB125_27
; %bb.26:
	global_load_dwordx4 v[6:9], v[4:5], off
	s_waitcnt vmcnt(0)
	v_mul_f64 v[10:11], s[10:11], v[8:9]
	v_mul_f64 v[8:9], s[8:9], v[8:9]
	v_fma_f64 v[10:11], s[8:9], v[6:7], -v[10:11]
	v_fmac_f64_e32 v[8:9], s[10:11], v[6:7]
	v_add_f64 v[0:1], v[0:1], v[10:11]
	v_add_f64 v[2:3], v[2:3], v[8:9]
.LBB125_27:
	global_store_dwordx4 v[4:5], v[0:3], off
.LBB125_28:
	s_endpgm
	.section	.rodata,"a",@progbits
	.p2align	6, 0x0
	.amdhsa_kernel _ZL29rocblas_internal_gemmt_kernelIiLi16ELi32ELi8ELc67ELc67ELc76ELb1ELb1E19rocblas_complex_numIdEPKS1_S3_PS1_EviT_T9_T10_S5_lS7_S5_lS6_T11_S5_li
		.amdhsa_group_segment_fixed_size 8192
		.amdhsa_private_segment_fixed_size 0
		.amdhsa_kernarg_size 100
		.amdhsa_user_sgpr_count 2
		.amdhsa_user_sgpr_dispatch_ptr 0
		.amdhsa_user_sgpr_queue_ptr 0
		.amdhsa_user_sgpr_kernarg_segment_ptr 1
		.amdhsa_user_sgpr_dispatch_id 0
		.amdhsa_user_sgpr_kernarg_preload_length 0
		.amdhsa_user_sgpr_kernarg_preload_offset 0
		.amdhsa_user_sgpr_private_segment_size 0
		.amdhsa_uses_dynamic_stack 0
		.amdhsa_enable_private_segment 0
		.amdhsa_system_sgpr_workgroup_id_x 1
		.amdhsa_system_sgpr_workgroup_id_y 1
		.amdhsa_system_sgpr_workgroup_id_z 1
		.amdhsa_system_sgpr_workgroup_info 0
		.amdhsa_system_vgpr_workitem_id 1
		.amdhsa_next_free_vgpr 58
		.amdhsa_next_free_sgpr 36
		.amdhsa_accum_offset 60
		.amdhsa_reserve_vcc 1
		.amdhsa_float_round_mode_32 0
		.amdhsa_float_round_mode_16_64 0
		.amdhsa_float_denorm_mode_32 3
		.amdhsa_float_denorm_mode_16_64 3
		.amdhsa_dx10_clamp 1
		.amdhsa_ieee_mode 1
		.amdhsa_fp16_overflow 0
		.amdhsa_tg_split 0
		.amdhsa_exception_fp_ieee_invalid_op 0
		.amdhsa_exception_fp_denorm_src 0
		.amdhsa_exception_fp_ieee_div_zero 0
		.amdhsa_exception_fp_ieee_overflow 0
		.amdhsa_exception_fp_ieee_underflow 0
		.amdhsa_exception_fp_ieee_inexact 0
		.amdhsa_exception_int_div_zero 0
	.end_amdhsa_kernel
	.section	.text._ZL29rocblas_internal_gemmt_kernelIiLi16ELi32ELi8ELc67ELc67ELc76ELb1ELb1E19rocblas_complex_numIdEPKS1_S3_PS1_EviT_T9_T10_S5_lS7_S5_lS6_T11_S5_li,"axG",@progbits,_ZL29rocblas_internal_gemmt_kernelIiLi16ELi32ELi8ELc67ELc67ELc76ELb1ELb1E19rocblas_complex_numIdEPKS1_S3_PS1_EviT_T9_T10_S5_lS7_S5_lS6_T11_S5_li,comdat
.Lfunc_end125:
	.size	_ZL29rocblas_internal_gemmt_kernelIiLi16ELi32ELi8ELc67ELc67ELc76ELb1ELb1E19rocblas_complex_numIdEPKS1_S3_PS1_EviT_T9_T10_S5_lS7_S5_lS6_T11_S5_li, .Lfunc_end125-_ZL29rocblas_internal_gemmt_kernelIiLi16ELi32ELi8ELc67ELc67ELc76ELb1ELb1E19rocblas_complex_numIdEPKS1_S3_PS1_EviT_T9_T10_S5_lS7_S5_lS6_T11_S5_li
                                        ; -- End function
	.set _ZL29rocblas_internal_gemmt_kernelIiLi16ELi32ELi8ELc67ELc67ELc76ELb1ELb1E19rocblas_complex_numIdEPKS1_S3_PS1_EviT_T9_T10_S5_lS7_S5_lS6_T11_S5_li.num_vgpr, 58
	.set _ZL29rocblas_internal_gemmt_kernelIiLi16ELi32ELi8ELc67ELc67ELc76ELb1ELb1E19rocblas_complex_numIdEPKS1_S3_PS1_EviT_T9_T10_S5_lS7_S5_lS6_T11_S5_li.num_agpr, 0
	.set _ZL29rocblas_internal_gemmt_kernelIiLi16ELi32ELi8ELc67ELc67ELc76ELb1ELb1E19rocblas_complex_numIdEPKS1_S3_PS1_EviT_T9_T10_S5_lS7_S5_lS6_T11_S5_li.numbered_sgpr, 36
	.set _ZL29rocblas_internal_gemmt_kernelIiLi16ELi32ELi8ELc67ELc67ELc76ELb1ELb1E19rocblas_complex_numIdEPKS1_S3_PS1_EviT_T9_T10_S5_lS7_S5_lS6_T11_S5_li.num_named_barrier, 0
	.set _ZL29rocblas_internal_gemmt_kernelIiLi16ELi32ELi8ELc67ELc67ELc76ELb1ELb1E19rocblas_complex_numIdEPKS1_S3_PS1_EviT_T9_T10_S5_lS7_S5_lS6_T11_S5_li.private_seg_size, 0
	.set _ZL29rocblas_internal_gemmt_kernelIiLi16ELi32ELi8ELc67ELc67ELc76ELb1ELb1E19rocblas_complex_numIdEPKS1_S3_PS1_EviT_T9_T10_S5_lS7_S5_lS6_T11_S5_li.uses_vcc, 1
	.set _ZL29rocblas_internal_gemmt_kernelIiLi16ELi32ELi8ELc67ELc67ELc76ELb1ELb1E19rocblas_complex_numIdEPKS1_S3_PS1_EviT_T9_T10_S5_lS7_S5_lS6_T11_S5_li.uses_flat_scratch, 0
	.set _ZL29rocblas_internal_gemmt_kernelIiLi16ELi32ELi8ELc67ELc67ELc76ELb1ELb1E19rocblas_complex_numIdEPKS1_S3_PS1_EviT_T9_T10_S5_lS7_S5_lS6_T11_S5_li.has_dyn_sized_stack, 0
	.set _ZL29rocblas_internal_gemmt_kernelIiLi16ELi32ELi8ELc67ELc67ELc76ELb1ELb1E19rocblas_complex_numIdEPKS1_S3_PS1_EviT_T9_T10_S5_lS7_S5_lS6_T11_S5_li.has_recursion, 0
	.set _ZL29rocblas_internal_gemmt_kernelIiLi16ELi32ELi8ELc67ELc67ELc76ELb1ELb1E19rocblas_complex_numIdEPKS1_S3_PS1_EviT_T9_T10_S5_lS7_S5_lS6_T11_S5_li.has_indirect_call, 0
	.section	.AMDGPU.csdata,"",@progbits
; Kernel info:
; codeLenInByte = 3128
; TotalNumSgprs: 42
; NumVgprs: 58
; NumAgprs: 0
; TotalNumVgprs: 58
; ScratchSize: 0
; MemoryBound: 1
; FloatMode: 240
; IeeeMode: 1
; LDSByteSize: 8192 bytes/workgroup (compile time only)
; SGPRBlocks: 5
; VGPRBlocks: 7
; NumSGPRsForWavesPerEU: 42
; NumVGPRsForWavesPerEU: 58
; AccumOffset: 60
; Occupancy: 8
; WaveLimiterHint : 0
; COMPUTE_PGM_RSRC2:SCRATCH_EN: 0
; COMPUTE_PGM_RSRC2:USER_SGPR: 2
; COMPUTE_PGM_RSRC2:TRAP_HANDLER: 0
; COMPUTE_PGM_RSRC2:TGID_X_EN: 1
; COMPUTE_PGM_RSRC2:TGID_Y_EN: 1
; COMPUTE_PGM_RSRC2:TGID_Z_EN: 1
; COMPUTE_PGM_RSRC2:TIDIG_COMP_CNT: 1
; COMPUTE_PGM_RSRC3_GFX90A:ACCUM_OFFSET: 14
; COMPUTE_PGM_RSRC3_GFX90A:TG_SPLIT: 0
	.section	.text._ZL29rocblas_internal_gemmt_kernelIiLi16ELi32ELi8ELc78ELc78ELc85ELb0ELb0E19rocblas_complex_numIdES1_PKS1_PS1_EviT_T9_T10_S5_lS7_S5_lS6_T11_S5_li,"axG",@progbits,_ZL29rocblas_internal_gemmt_kernelIiLi16ELi32ELi8ELc78ELc78ELc85ELb0ELb0E19rocblas_complex_numIdES1_PKS1_PS1_EviT_T9_T10_S5_lS7_S5_lS6_T11_S5_li,comdat
	.globl	_ZL29rocblas_internal_gemmt_kernelIiLi16ELi32ELi8ELc78ELc78ELc85ELb0ELb0E19rocblas_complex_numIdES1_PKS1_PS1_EviT_T9_T10_S5_lS7_S5_lS6_T11_S5_li ; -- Begin function _ZL29rocblas_internal_gemmt_kernelIiLi16ELi32ELi8ELc78ELc78ELc85ELb0ELb0E19rocblas_complex_numIdES1_PKS1_PS1_EviT_T9_T10_S5_lS7_S5_lS6_T11_S5_li
	.p2align	8
	.type	_ZL29rocblas_internal_gemmt_kernelIiLi16ELi32ELi8ELc78ELc78ELc85ELb0ELb0E19rocblas_complex_numIdES1_PKS1_PS1_EviT_T9_T10_S5_lS7_S5_lS6_T11_S5_li,@function
_ZL29rocblas_internal_gemmt_kernelIiLi16ELi32ELi8ELc78ELc78ELc85ELb0ELb0E19rocblas_complex_numIdES1_PKS1_PS1_EviT_T9_T10_S5_lS7_S5_lS6_T11_S5_li: ; @_ZL29rocblas_internal_gemmt_kernelIiLi16ELi32ELi8ELc78ELc78ELc85ELb0ELb0E19rocblas_complex_numIdES1_PKS1_PS1_EviT_T9_T10_S5_lS7_S5_lS6_T11_S5_li
; %bb.0:
	s_load_dwordx8 s[8:15], s[0:1], 0x40
	s_load_dwordx2 s[6:7], s[0:1], 0x0
	s_load_dwordx4 s[16:19], s[0:1], 0x8
	s_mov_b64 s[20:21], 0
	s_waitcnt lgkmcnt(0)
	v_cmp_eq_f64_e64 s[22:23], s[10:11], 1.0
	v_cmp_eq_f64_e64 s[24:25], s[12:13], 0
	s_and_b64 s[22:23], s[22:23], s[24:25]
	s_andn2_b64 vcc, exec, s[22:23]
	s_mov_b64 s[22:23], -1
	s_cbranch_vccnz .LBB126_4
; %bb.1:
	s_cmp_lg_u32 s7, 0
	s_cbranch_scc0 .LBB126_3
; %bb.2:
	v_cmp_neq_f64_e64 s[20:21], s[16:17], 0
	v_cmp_neq_f64_e64 s[22:23], s[18:19], 0
	s_or_b64 s[20:21], s[20:21], s[22:23]
.LBB126_3:
	s_mov_b64 s[22:23], s[20:21]
.LBB126_4:
	s_and_b64 vcc, exec, s[22:23]
	s_cbranch_vccz .LBB126_32
; %bb.5:
	s_lshl_b32 s5, s2, 5
	s_lshl_b32 s28, s3, 5
	v_cmp_eq_f64_e64 s[2:3], s[16:17], 0
	v_cmp_eq_f64_e64 s[20:21], s[18:19], 0
	s_and_b64 s[2:3], s[2:3], s[20:21]
	s_cmp_lt_i32 s7, 1
	s_cselect_b64 s[20:21], -1, 0
	s_or_b64 s[2:3], s[2:3], s[20:21]
	v_and_b32_e32 v25, 0x3ff, v0
	v_bfe_u32 v24, v0, 10, 10
	s_mov_b32 s29, 0
	v_mov_b64_e32 v[20:21], 0
	s_and_b64 vcc, exec, s[2:3]
	v_mov_b64_e32 v[22:23], 0
	v_mov_b64_e32 v[16:17], 0
	;; [unrolled: 1-line block ×7, first 2 shown]
	s_cbranch_vccnz .LBB126_16
; %bb.6:
	s_load_dwordx2 s[26:27], s[0:1], 0x18
	s_load_dword s30, s[0:1], 0x20
	s_load_dwordx4 s[20:23], s[0:1], 0x28
	s_load_dword s33, s[0:1], 0x38
	v_lshl_add_u32 v0, v24, 4, v25
	v_lshrrev_b32_e32 v27, 5, v0
	v_and_b32_e32 v4, 31, v0
	s_waitcnt lgkmcnt(0)
	v_mad_i64_i32 v[2:3], s[34:35], v27, s30, 0
	s_mul_i32 s21, s21, s4
	s_mul_hi_u32 s34, s20, s4
	v_lshrrev_b32_e32 v1, 3, v0
	v_or_b32_e32 v0, s5, v4
	s_add_i32 s21, s34, s21
	s_mul_i32 s20, s20, s4
	v_cmp_gt_i32_e32 vcc, s6, v0
	v_lshlrev_b32_e32 v0, 4, v4
	s_lshl_b64 s[20:21], s[20:21], 4
	v_add_u32_e32 v4, s5, v4
	v_lshl_add_u64 v[2:3], v[2:3], 4, s[20:21]
	v_ashrrev_i32_e32 v5, 31, v4
	v_add_u32_e32 v6, s28, v1
	v_lshl_add_u64 v[2:3], v[4:5], 4, v[2:3]
	v_and_b32_e32 v26, 7, v25
	v_lshl_add_u64 v[4:5], s[26:27], 0, v[2:3]
	v_mad_i64_i32 v[2:3], s[26:27], s33, v6, 0
	v_lshl_or_b32 v28, v27, 9, v0
	v_lshlrev_b32_e32 v0, 4, v26
	s_mul_i32 s9, s9, s4
	s_mul_hi_u32 s26, s8, s4
	v_lshl_or_b32 v1, v1, 7, v0
	s_add_i32 s9, s26, s9
	s_mul_i32 s8, s8, s4
	v_add_u32_e32 v29, 0x1000, v1
	v_mov_b32_e32 v1, 0x1000
	s_lshl_b64 s[8:9], s[8:9], 4
	v_lshl_add_u32 v31, v24, 7, v1
	v_lshl_add_u64 v[2:3], v[2:3], 4, s[8:9]
	v_mov_b32_e32 v1, 0
	s_ashr_i32 s31, s30, 31
	v_cmp_gt_i32_e64 s[2:3], s6, v6
	v_lshl_add_u64 v[2:3], v[2:3], 0, v[0:1]
	v_lshlrev_b32_e32 v30, 4, v25
	s_lshl_b64 s[20:21], s[30:31], 7
	v_lshl_add_u64 v[6:7], s[22:23], 0, v[2:3]
	v_mov_b64_e32 v[8:9], 0
	s_xor_b64 s[8:9], vcc, -1
	s_xor_b64 s[2:3], s[2:3], -1
	s_mov_b64 s[22:23], 0x80
	v_mov_b32_e32 v0, v1
	v_mov_b32_e32 v2, v1
	;; [unrolled: 1-line block ×3, first 2 shown]
	v_mov_b64_e32 v[10:11], 0
	v_mov_b64_e32 v[14:15], 0
	;; [unrolled: 1-line block ×7, first 2 shown]
	s_branch .LBB126_8
.LBB126_7:                              ;   in Loop: Header=BB126_8 Depth=1
	s_or_b64 exec, exec, s[26:27]
	s_waitcnt lgkmcnt(0)
	s_barrier
	ds_read_b128 v[32:35], v30
	ds_read_b128 v[36:39], v31
	ds_read_b128 v[40:43], v31 offset:16
	ds_read_b128 v[44:47], v31 offset:32
	;; [unrolled: 1-line block ×4, first 2 shown]
	s_waitcnt lgkmcnt(4)
	v_mul_f64 v[56:57], v[38:39], v[34:35]
	v_fma_f64 v[56:57], v[36:37], v[32:33], -v[56:57]
	v_mul_f64 v[58:59], v[36:37], v[34:35]
	v_fmac_f64_e32 v[58:59], v[38:39], v[32:33]
	v_add_f64 v[56:57], v[20:21], v[56:57]
	s_waitcnt lgkmcnt(0)
	v_mul_f64 v[20:21], v[38:39], v[54:55]
	v_add_f64 v[58:59], v[58:59], v[22:23]
	v_fma_f64 v[60:61], v[36:37], v[52:53], -v[20:21]
	ds_read_b128 v[20:23], v31 offset:2048
	v_mul_f64 v[36:37], v[36:37], v[54:55]
	v_fmac_f64_e32 v[36:37], v[38:39], v[52:53]
	v_add_f64 v[38:39], v[16:17], v[60:61]
	v_add_f64 v[36:37], v[36:37], v[18:19]
	ds_read_b128 v[16:19], v31 offset:2064
	s_waitcnt lgkmcnt(1)
	v_mul_f64 v[60:61], v[22:23], v[34:35]
	v_fma_f64 v[60:61], v[20:21], v[32:33], -v[60:61]
	v_mul_f64 v[34:35], v[20:21], v[34:35]
	v_fmac_f64_e32 v[34:35], v[22:23], v[32:33]
	v_add_f64 v[32:33], v[12:13], v[60:61]
	v_mul_f64 v[12:13], v[22:23], v[54:55]
	v_add_f64 v[34:35], v[34:35], v[14:15]
	v_fma_f64 v[60:61], v[20:21], v[52:53], -v[12:13]
	v_mul_f64 v[20:21], v[20:21], v[54:55]
	ds_read_b128 v[12:15], v30 offset:512
	v_fmac_f64_e32 v[20:21], v[22:23], v[52:53]
	v_add_f64 v[22:23], v[10:11], v[60:61]
	v_add_f64 v[20:21], v[20:21], v[8:9]
	ds_read_b128 v[8:11], v30 offset:768
	s_waitcnt lgkmcnt(1)
	v_mul_f64 v[52:53], v[42:43], v[14:15]
	v_fma_f64 v[52:53], v[40:41], v[12:13], -v[52:53]
	v_add_f64 v[52:53], v[56:57], v[52:53]
	v_mul_f64 v[54:55], v[40:41], v[14:15]
	s_waitcnt lgkmcnt(0)
	v_mul_f64 v[56:57], v[42:43], v[10:11]
	v_fma_f64 v[56:57], v[40:41], v[8:9], -v[56:57]
	v_mul_f64 v[40:41], v[40:41], v[10:11]
	v_fmac_f64_e32 v[40:41], v[42:43], v[8:9]
	v_add_f64 v[36:37], v[40:41], v[36:37]
	v_mul_f64 v[40:41], v[18:19], v[14:15]
	v_mul_f64 v[14:15], v[16:17], v[14:15]
	v_fmac_f64_e32 v[54:55], v[42:43], v[12:13]
	v_fma_f64 v[40:41], v[16:17], v[12:13], -v[40:41]
	v_fmac_f64_e32 v[14:15], v[18:19], v[12:13]
	v_mul_f64 v[12:13], v[18:19], v[10:11]
	v_add_f64 v[42:43], v[14:15], v[34:35]
	v_fma_f64 v[14:15], v[16:17], v[8:9], -v[12:13]
	v_mul_f64 v[16:17], v[16:17], v[10:11]
	ds_read_b128 v[10:13], v30 offset:1024
	v_fmac_f64_e32 v[16:17], v[18:19], v[8:9]
	v_add_f64 v[38:39], v[38:39], v[56:57]
	v_add_f64 v[22:23], v[22:23], v[14:15]
	v_add_f64 v[56:57], v[16:17], v[20:21]
	ds_read_b128 v[14:17], v30 offset:1280
	s_waitcnt lgkmcnt(1)
	v_mul_f64 v[18:19], v[44:45], v[12:13]
	v_add_f64 v[54:55], v[54:55], v[58:59]
	v_fmac_f64_e32 v[18:19], v[46:47], v[10:11]
	v_add_f64 v[54:55], v[18:19], v[54:55]
	ds_read_b128 v[18:21], v31 offset:2080
	v_mul_f64 v[8:9], v[46:47], v[12:13]
	v_fma_f64 v[8:9], v[44:45], v[10:11], -v[8:9]
	v_add_f64 v[40:41], v[32:33], v[40:41]
	v_add_f64 v[52:53], v[52:53], v[8:9]
	s_waitcnt lgkmcnt(1)
	v_mul_f64 v[8:9], v[46:47], v[16:17]
	v_mul_f64 v[32:33], v[44:45], v[16:17]
	v_fma_f64 v[8:9], v[44:45], v[14:15], -v[8:9]
	v_fmac_f64_e32 v[32:33], v[46:47], v[14:15]
	v_add_f64 v[38:39], v[38:39], v[8:9]
	v_add_f64 v[36:37], v[32:33], v[36:37]
	ds_read_b128 v[32:35], v31 offset:2096
	s_waitcnt lgkmcnt(1)
	v_mul_f64 v[8:9], v[20:21], v[12:13]
	v_fma_f64 v[8:9], v[18:19], v[10:11], -v[8:9]
	v_mul_f64 v[12:13], v[18:19], v[12:13]
	v_fmac_f64_e32 v[12:13], v[20:21], v[10:11]
	v_add_f64 v[40:41], v[40:41], v[8:9]
	v_mul_f64 v[8:9], v[20:21], v[16:17]
	v_add_f64 v[42:43], v[12:13], v[42:43]
	v_fma_f64 v[12:13], v[18:19], v[14:15], -v[8:9]
	ds_read_b128 v[8:11], v30 offset:1536
	v_mul_f64 v[16:17], v[18:19], v[16:17]
	v_fmac_f64_e32 v[16:17], v[20:21], v[14:15]
	v_add_f64 v[18:19], v[22:23], v[12:13]
	ds_read_b128 v[12:15], v30 offset:1792
	s_waitcnt lgkmcnt(1)
	v_mul_f64 v[20:21], v[50:51], v[10:11]
	v_fma_f64 v[20:21], v[48:49], v[8:9], -v[20:21]
	v_mul_f64 v[22:23], v[48:49], v[10:11]
	v_fmac_f64_e32 v[22:23], v[50:51], v[8:9]
	v_add_f64 v[44:45], v[52:53], v[20:21]
	s_waitcnt lgkmcnt(0)
	v_mul_f64 v[20:21], v[50:51], v[14:15]
	v_add_f64 v[46:47], v[22:23], v[54:55]
	v_fma_f64 v[20:21], v[48:49], v[12:13], -v[20:21]
	v_mul_f64 v[22:23], v[48:49], v[14:15]
	v_fmac_f64_e32 v[22:23], v[50:51], v[12:13]
	v_add_f64 v[38:39], v[38:39], v[20:21]
	v_mul_f64 v[20:21], v[34:35], v[10:11]
	v_mul_f64 v[10:11], v[32:33], v[10:11]
	v_add_f64 v[36:37], v[22:23], v[36:37]
	v_fma_f64 v[20:21], v[32:33], v[8:9], -v[20:21]
	v_fmac_f64_e32 v[10:11], v[34:35], v[8:9]
	v_mul_f64 v[8:9], v[34:35], v[14:15]
	v_mul_f64 v[22:23], v[32:33], v[14:15]
	v_add_f64 v[40:41], v[40:41], v[20:21]
	v_add_f64 v[42:43], v[10:11], v[42:43]
	v_fma_f64 v[20:21], v[32:33], v[12:13], -v[8:9]
	v_fmac_f64_e32 v[22:23], v[34:35], v[12:13]
	ds_read_b128 v[8:11], v31 offset:64
	ds_read_b128 v[12:15], v30 offset:2048
	v_add_f64 v[16:17], v[16:17], v[56:57]
	v_add_f64 v[48:49], v[18:19], v[20:21]
	;; [unrolled: 1-line block ×3, first 2 shown]
	ds_read_b128 v[16:19], v30 offset:2304
	ds_read_b128 v[20:23], v31 offset:80
	s_waitcnt lgkmcnt(2)
	v_mul_f64 v[32:33], v[10:11], v[14:15]
	v_fma_f64 v[32:33], v[8:9], v[12:13], -v[32:33]
	v_mul_f64 v[34:35], v[8:9], v[14:15]
	v_fmac_f64_e32 v[34:35], v[10:11], v[12:13]
	v_add_f64 v[44:45], v[44:45], v[32:33]
	s_waitcnt lgkmcnt(1)
	v_mul_f64 v[32:33], v[10:11], v[18:19]
	v_add_f64 v[46:47], v[34:35], v[46:47]
	v_fma_f64 v[52:53], v[8:9], v[16:17], -v[32:33]
	ds_read_b128 v[32:35], v31 offset:2112
	v_mul_f64 v[8:9], v[8:9], v[18:19]
	v_fmac_f64_e32 v[8:9], v[10:11], v[16:17]
	v_add_f64 v[38:39], v[38:39], v[52:53]
	v_add_f64 v[36:37], v[8:9], v[36:37]
	ds_read_b128 v[8:11], v31 offset:2128
	s_waitcnt lgkmcnt(1)
	v_mul_f64 v[52:53], v[34:35], v[14:15]
	v_mul_f64 v[14:15], v[32:33], v[14:15]
	v_fma_f64 v[52:53], v[32:33], v[12:13], -v[52:53]
	v_fmac_f64_e32 v[14:15], v[34:35], v[12:13]
	v_mul_f64 v[12:13], v[34:35], v[18:19]
	v_add_f64 v[40:41], v[40:41], v[52:53]
	v_add_f64 v[42:43], v[14:15], v[42:43]
	v_fma_f64 v[52:53], v[32:33], v[16:17], -v[12:13]
	v_mul_f64 v[18:19], v[32:33], v[18:19]
	ds_read_b128 v[12:15], v30 offset:2560
	v_fmac_f64_e32 v[18:19], v[34:35], v[16:17]
	v_add_f64 v[34:35], v[18:19], v[50:51]
	ds_read_b128 v[16:19], v30 offset:2816
	v_add_f64 v[32:33], v[48:49], v[52:53]
	s_waitcnt lgkmcnt(1)
	v_mul_f64 v[48:49], v[22:23], v[14:15]
	v_fma_f64 v[48:49], v[20:21], v[12:13], -v[48:49]
	v_add_f64 v[44:45], v[44:45], v[48:49]
	s_waitcnt lgkmcnt(0)
	v_mul_f64 v[48:49], v[22:23], v[18:19]
	v_mul_f64 v[50:51], v[20:21], v[14:15]
	v_fma_f64 v[48:49], v[20:21], v[16:17], -v[48:49]
	v_mul_f64 v[20:21], v[20:21], v[18:19]
	v_fmac_f64_e32 v[20:21], v[22:23], v[16:17]
	v_add_f64 v[36:37], v[20:21], v[36:37]
	v_mul_f64 v[20:21], v[10:11], v[14:15]
	v_mul_f64 v[14:15], v[8:9], v[14:15]
	v_fmac_f64_e32 v[50:51], v[22:23], v[12:13]
	v_fma_f64 v[20:21], v[8:9], v[12:13], -v[20:21]
	v_fmac_f64_e32 v[14:15], v[10:11], v[12:13]
	v_mul_f64 v[12:13], v[10:11], v[18:19]
	v_mul_f64 v[18:19], v[8:9], v[18:19]
	v_add_f64 v[40:41], v[40:41], v[20:21]
	v_add_f64 v[42:43], v[14:15], v[42:43]
	v_fma_f64 v[20:21], v[8:9], v[16:17], -v[12:13]
	v_fmac_f64_e32 v[18:19], v[10:11], v[16:17]
	ds_read_b128 v[8:11], v31 offset:96
	ds_read_b128 v[12:15], v30 offset:3072
	v_add_f64 v[46:47], v[50:51], v[46:47]
	v_add_f64 v[38:39], v[38:39], v[48:49]
	;; [unrolled: 1-line block ×4, first 2 shown]
	ds_read_b128 v[16:19], v30 offset:3328
	ds_read_b128 v[32:35], v31 offset:112
	s_waitcnt lgkmcnt(2)
	v_mul_f64 v[20:21], v[10:11], v[14:15]
	v_fma_f64 v[20:21], v[8:9], v[12:13], -v[20:21]
	v_mul_f64 v[22:23], v[8:9], v[14:15]
	v_fmac_f64_e32 v[22:23], v[10:11], v[12:13]
	v_add_f64 v[44:45], v[44:45], v[20:21]
	s_waitcnt lgkmcnt(1)
	v_mul_f64 v[20:21], v[10:11], v[18:19]
	v_add_f64 v[46:47], v[22:23], v[46:47]
	v_fma_f64 v[52:53], v[8:9], v[16:17], -v[20:21]
	ds_read_b128 v[20:23], v31 offset:2144
	v_mul_f64 v[8:9], v[8:9], v[18:19]
	v_fmac_f64_e32 v[8:9], v[10:11], v[16:17]
	v_add_f64 v[54:55], v[8:9], v[36:37]
	ds_read_b128 v[8:11], v31 offset:2160
	s_waitcnt lgkmcnt(1)
	v_mul_f64 v[36:37], v[22:23], v[14:15]
	v_mul_f64 v[14:15], v[20:21], v[14:15]
	v_fma_f64 v[36:37], v[20:21], v[12:13], -v[36:37]
	v_fmac_f64_e32 v[14:15], v[22:23], v[12:13]
	v_mul_f64 v[12:13], v[22:23], v[18:19]
	v_add_f64 v[40:41], v[40:41], v[36:37]
	v_add_f64 v[42:43], v[14:15], v[42:43]
	v_fma_f64 v[36:37], v[20:21], v[16:17], -v[12:13]
	ds_read_b128 v[12:15], v30 offset:3584
	v_add_f64 v[52:53], v[38:39], v[52:53]
	v_add_f64 v[48:49], v[48:49], v[36:37]
	ds_read_b128 v[36:39], v30 offset:3840
	v_mul_f64 v[18:19], v[20:21], v[18:19]
	v_fmac_f64_e32 v[18:19], v[22:23], v[16:17]
	s_waitcnt lgkmcnt(1)
	v_mul_f64 v[16:17], v[34:35], v[14:15]
	v_add_f64 v[50:51], v[18:19], v[50:51]
	v_fma_f64 v[16:17], v[32:33], v[12:13], -v[16:17]
	v_mul_f64 v[18:19], v[32:33], v[14:15]
	v_fmac_f64_e32 v[18:19], v[34:35], v[12:13]
	v_add_f64 v[20:21], v[44:45], v[16:17]
	s_waitcnt lgkmcnt(0)
	v_mul_f64 v[16:17], v[34:35], v[38:39]
	v_add_f64 v[22:23], v[18:19], v[46:47]
	v_fma_f64 v[16:17], v[32:33], v[36:37], -v[16:17]
	v_mul_f64 v[18:19], v[32:33], v[38:39]
	v_mul_f64 v[32:33], v[10:11], v[14:15]
	v_fma_f64 v[32:33], v[8:9], v[12:13], -v[32:33]
	v_mul_f64 v[14:15], v[8:9], v[14:15]
	v_fmac_f64_e32 v[14:15], v[10:11], v[12:13]
	v_add_f64 v[12:13], v[40:41], v[32:33]
	v_mul_f64 v[32:33], v[10:11], v[38:39]
	v_fma_f64 v[32:33], v[8:9], v[36:37], -v[32:33]
	v_mul_f64 v[8:9], v[8:9], v[38:39]
	v_fmac_f64_e32 v[18:19], v[34:35], v[36:37]
	v_fmac_f64_e32 v[8:9], v[10:11], v[36:37]
	s_add_i32 s29, s29, 8
	v_add_f64 v[16:17], v[52:53], v[16:17]
	v_add_f64 v[18:19], v[18:19], v[54:55]
	;; [unrolled: 1-line block ×5, first 2 shown]
	v_lshl_add_u64 v[4:5], v[4:5], 0, s[20:21]
	s_cmp_lt_i32 s29, s7
	v_lshl_add_u64 v[6:7], v[6:7], 0, s[22:23]
	s_barrier
	s_cbranch_scc0 .LBB126_16
.LBB126_8:                              ; =>This Inner Loop Header: Depth=1
	v_add_u32_e32 v32, s29, v27
	v_cmp_le_i32_e32 vcc, s7, v32
	s_or_b64 s[26:27], s[8:9], vcc
	s_and_saveexec_b64 s[30:31], s[26:27]
	s_xor_b64 s[26:27], exec, s[30:31]
; %bb.9:                                ;   in Loop: Header=BB126_8 Depth=1
	ds_write_b128 v28, v[0:3]
; %bb.10:                               ;   in Loop: Header=BB126_8 Depth=1
	s_andn2_saveexec_b64 s[26:27], s[26:27]
	s_cbranch_execz .LBB126_12
; %bb.11:                               ;   in Loop: Header=BB126_8 Depth=1
	global_load_dwordx4 v[32:35], v[4:5], off
	s_waitcnt vmcnt(0)
	ds_write2_b64 v28, v[32:33], v[34:35] offset1:1
.LBB126_12:                             ;   in Loop: Header=BB126_8 Depth=1
	s_or_b64 exec, exec, s[26:27]
	v_add_u32_e32 v32, s29, v26
	v_cmp_le_i32_e32 vcc, s7, v32
	s_or_b64 s[26:27], vcc, s[2:3]
	s_and_saveexec_b64 s[30:31], s[26:27]
	s_xor_b64 s[26:27], exec, s[30:31]
; %bb.13:                               ;   in Loop: Header=BB126_8 Depth=1
	ds_write_b128 v29, v[0:3]
; %bb.14:                               ;   in Loop: Header=BB126_8 Depth=1
	s_andn2_saveexec_b64 s[26:27], s[26:27]
	s_cbranch_execz .LBB126_7
; %bb.15:                               ;   in Loop: Header=BB126_8 Depth=1
	global_load_dwordx4 v[32:35], v[6:7], off
	s_waitcnt vmcnt(0)
	ds_write2_b64 v29, v[32:33], v[34:35] offset1:1
	s_branch .LBB126_7
.LBB126_16:
	s_load_dwordx2 s[2:3], s[0:1], 0x68
	s_load_dword s7, s[0:1], 0x60
	v_add_u32_e32 v4, s5, v25
	v_add_u32_e32 v26, s28, v24
	v_cmp_le_i32_e32 vcc, v4, v26
	s_waitcnt lgkmcnt(0)
	s_mul_i32 s1, s3, s4
	s_mul_hi_u32 s3, s2, s4
	s_mul_i32 s0, s2, s4
	s_add_i32 s1, s3, s1
	s_lshl_b64 s[0:1], s[0:1], 4
	s_add_u32 s4, s14, s0
	s_addc_u32 s5, s15, s1
	v_cmp_neq_f64_e64 s[0:1], s[10:11], 0
	s_xor_b64 s[8:9], s[24:25], -1
	v_mad_i64_i32 v[0:1], s[14:15], v26, s7, 0
	s_or_b64 s[0:1], s[0:1], s[8:9]
	v_cmp_gt_i32_e64 s[2:3], s6, v26
	v_lshl_add_u64 v[24:25], v[0:1], 4, s[4:5]
	v_cndmask_b32_e64 v0, 0, 1, s[0:1]
	s_and_b64 s[14:15], s[2:3], vcc
	v_ashrrev_i32_e32 v5, 31, v4
	v_cmp_ne_u32_e64 s[0:1], 1, v0
	s_and_saveexec_b64 s[8:9], s[14:15]
	s_cbranch_execz .LBB126_20
; %bb.17:
	v_mul_f64 v[0:1], s[18:19], v[22:23]
	v_mul_f64 v[2:3], s[16:17], v[22:23]
	v_fma_f64 v[0:1], s[16:17], v[20:21], -v[0:1]
	v_fmac_f64_e32 v[2:3], s[18:19], v[20:21]
	s_and_b64 vcc, exec, s[0:1]
	v_lshl_add_u64 v[6:7], v[4:5], 4, v[24:25]
	s_cbranch_vccnz .LBB126_19
; %bb.18:
	global_load_dwordx4 v[20:23], v[6:7], off
	s_waitcnt vmcnt(0)
	v_mul_f64 v[28:29], s[12:13], v[22:23]
	v_mul_f64 v[22:23], s[10:11], v[22:23]
	v_fma_f64 v[28:29], s[10:11], v[20:21], -v[28:29]
	v_fmac_f64_e32 v[22:23], s[12:13], v[20:21]
	v_add_f64 v[0:1], v[0:1], v[28:29]
	v_add_f64 v[2:3], v[2:3], v[22:23]
.LBB126_19:
	global_store_dwordx4 v[6:7], v[0:3], off
.LBB126_20:
	s_or_b64 exec, exec, s[8:9]
	v_add_u32_e32 v6, 16, v4
	v_cmp_le_i32_e32 vcc, v6, v26
	s_and_b64 s[8:9], s[2:3], vcc
	v_ashrrev_i32_e32 v7, 31, v6
	s_and_saveexec_b64 s[2:3], s[8:9]
	s_cbranch_execz .LBB126_24
; %bb.21:
	v_mul_f64 v[0:1], s[18:19], v[18:19]
	v_mul_f64 v[2:3], s[16:17], v[18:19]
	v_fma_f64 v[0:1], s[16:17], v[16:17], -v[0:1]
	v_fmac_f64_e32 v[2:3], s[18:19], v[16:17]
	s_and_b64 vcc, exec, s[0:1]
	v_lshl_add_u64 v[16:17], v[6:7], 4, v[24:25]
	s_cbranch_vccnz .LBB126_23
; %bb.22:
	global_load_dwordx4 v[18:21], v[16:17], off
	s_waitcnt vmcnt(0)
	v_mul_f64 v[22:23], s[12:13], v[20:21]
	v_mul_f64 v[20:21], s[10:11], v[20:21]
	v_fma_f64 v[22:23], s[10:11], v[18:19], -v[22:23]
	v_fmac_f64_e32 v[20:21], s[12:13], v[18:19]
	v_add_f64 v[0:1], v[0:1], v[22:23]
	v_add_f64 v[2:3], v[2:3], v[20:21]
.LBB126_23:
	global_store_dwordx4 v[16:17], v[0:3], off
.LBB126_24:
	s_or_b64 exec, exec, s[2:3]
	v_add_u32_e32 v18, 16, v26
	v_cmp_gt_i32_e64 s[2:3], s6, v18
	v_mad_i64_i32 v[0:1], s[6:7], v18, s7, 0
	v_cmp_le_i32_e32 vcc, v4, v18
	v_lshl_add_u64 v[16:17], v[0:1], 4, s[4:5]
	s_and_b64 s[6:7], s[2:3], vcc
	s_and_saveexec_b64 s[4:5], s[6:7]
	s_cbranch_execz .LBB126_28
; %bb.25:
	v_mul_f64 v[0:1], s[18:19], v[14:15]
	v_mul_f64 v[2:3], s[16:17], v[14:15]
	v_fma_f64 v[0:1], s[16:17], v[12:13], -v[0:1]
	v_fmac_f64_e32 v[2:3], s[18:19], v[12:13]
	s_and_b64 vcc, exec, s[0:1]
	v_lshl_add_u64 v[4:5], v[4:5], 4, v[16:17]
	s_cbranch_vccnz .LBB126_27
; %bb.26:
	global_load_dwordx4 v[12:15], v[4:5], off
	s_waitcnt vmcnt(0)
	v_mul_f64 v[20:21], s[12:13], v[14:15]
	v_mul_f64 v[14:15], s[10:11], v[14:15]
	v_fma_f64 v[20:21], s[10:11], v[12:13], -v[20:21]
	v_fmac_f64_e32 v[14:15], s[12:13], v[12:13]
	v_add_f64 v[0:1], v[0:1], v[20:21]
	v_add_f64 v[2:3], v[2:3], v[14:15]
.LBB126_27:
	global_store_dwordx4 v[4:5], v[0:3], off
.LBB126_28:
	s_or_b64 exec, exec, s[4:5]
	v_cmp_le_i32_e32 vcc, v6, v18
	s_and_b64 s[2:3], s[2:3], vcc
	s_and_saveexec_b64 s[4:5], s[2:3]
	s_cbranch_execz .LBB126_32
; %bb.29:
	v_mul_f64 v[0:1], s[18:19], v[8:9]
	v_mul_f64 v[2:3], s[16:17], v[8:9]
	v_fma_f64 v[0:1], s[16:17], v[10:11], -v[0:1]
	v_fmac_f64_e32 v[2:3], s[18:19], v[10:11]
	s_and_b64 vcc, exec, s[0:1]
	v_lshl_add_u64 v[4:5], v[6:7], 4, v[16:17]
	s_cbranch_vccnz .LBB126_31
; %bb.30:
	global_load_dwordx4 v[6:9], v[4:5], off
	s_waitcnt vmcnt(0)
	v_mul_f64 v[10:11], s[12:13], v[8:9]
	v_mul_f64 v[8:9], s[10:11], v[8:9]
	v_fma_f64 v[10:11], s[10:11], v[6:7], -v[10:11]
	v_fmac_f64_e32 v[8:9], s[12:13], v[6:7]
	v_add_f64 v[0:1], v[0:1], v[10:11]
	v_add_f64 v[2:3], v[2:3], v[8:9]
.LBB126_31:
	global_store_dwordx4 v[4:5], v[0:3], off
.LBB126_32:
	s_endpgm
	.section	.rodata,"a",@progbits
	.p2align	6, 0x0
	.amdhsa_kernel _ZL29rocblas_internal_gemmt_kernelIiLi16ELi32ELi8ELc78ELc78ELc85ELb0ELb0E19rocblas_complex_numIdES1_PKS1_PS1_EviT_T9_T10_S5_lS7_S5_lS6_T11_S5_li
		.amdhsa_group_segment_fixed_size 8192
		.amdhsa_private_segment_fixed_size 0
		.amdhsa_kernarg_size 116
		.amdhsa_user_sgpr_count 2
		.amdhsa_user_sgpr_dispatch_ptr 0
		.amdhsa_user_sgpr_queue_ptr 0
		.amdhsa_user_sgpr_kernarg_segment_ptr 1
		.amdhsa_user_sgpr_dispatch_id 0
		.amdhsa_user_sgpr_kernarg_preload_length 0
		.amdhsa_user_sgpr_kernarg_preload_offset 0
		.amdhsa_user_sgpr_private_segment_size 0
		.amdhsa_uses_dynamic_stack 0
		.amdhsa_enable_private_segment 0
		.amdhsa_system_sgpr_workgroup_id_x 1
		.amdhsa_system_sgpr_workgroup_id_y 1
		.amdhsa_system_sgpr_workgroup_id_z 1
		.amdhsa_system_sgpr_workgroup_info 0
		.amdhsa_system_vgpr_workitem_id 1
		.amdhsa_next_free_vgpr 62
		.amdhsa_next_free_sgpr 36
		.amdhsa_accum_offset 64
		.amdhsa_reserve_vcc 1
		.amdhsa_float_round_mode_32 0
		.amdhsa_float_round_mode_16_64 0
		.amdhsa_float_denorm_mode_32 3
		.amdhsa_float_denorm_mode_16_64 3
		.amdhsa_dx10_clamp 1
		.amdhsa_ieee_mode 1
		.amdhsa_fp16_overflow 0
		.amdhsa_tg_split 0
		.amdhsa_exception_fp_ieee_invalid_op 0
		.amdhsa_exception_fp_denorm_src 0
		.amdhsa_exception_fp_ieee_div_zero 0
		.amdhsa_exception_fp_ieee_overflow 0
		.amdhsa_exception_fp_ieee_underflow 0
		.amdhsa_exception_fp_ieee_inexact 0
		.amdhsa_exception_int_div_zero 0
	.end_amdhsa_kernel
	.section	.text._ZL29rocblas_internal_gemmt_kernelIiLi16ELi32ELi8ELc78ELc78ELc85ELb0ELb0E19rocblas_complex_numIdES1_PKS1_PS1_EviT_T9_T10_S5_lS7_S5_lS6_T11_S5_li,"axG",@progbits,_ZL29rocblas_internal_gemmt_kernelIiLi16ELi32ELi8ELc78ELc78ELc85ELb0ELb0E19rocblas_complex_numIdES1_PKS1_PS1_EviT_T9_T10_S5_lS7_S5_lS6_T11_S5_li,comdat
.Lfunc_end126:
	.size	_ZL29rocblas_internal_gemmt_kernelIiLi16ELi32ELi8ELc78ELc78ELc85ELb0ELb0E19rocblas_complex_numIdES1_PKS1_PS1_EviT_T9_T10_S5_lS7_S5_lS6_T11_S5_li, .Lfunc_end126-_ZL29rocblas_internal_gemmt_kernelIiLi16ELi32ELi8ELc78ELc78ELc85ELb0ELb0E19rocblas_complex_numIdES1_PKS1_PS1_EviT_T9_T10_S5_lS7_S5_lS6_T11_S5_li
                                        ; -- End function
	.set _ZL29rocblas_internal_gemmt_kernelIiLi16ELi32ELi8ELc78ELc78ELc85ELb0ELb0E19rocblas_complex_numIdES1_PKS1_PS1_EviT_T9_T10_S5_lS7_S5_lS6_T11_S5_li.num_vgpr, 62
	.set _ZL29rocblas_internal_gemmt_kernelIiLi16ELi32ELi8ELc78ELc78ELc85ELb0ELb0E19rocblas_complex_numIdES1_PKS1_PS1_EviT_T9_T10_S5_lS7_S5_lS6_T11_S5_li.num_agpr, 0
	.set _ZL29rocblas_internal_gemmt_kernelIiLi16ELi32ELi8ELc78ELc78ELc85ELb0ELb0E19rocblas_complex_numIdES1_PKS1_PS1_EviT_T9_T10_S5_lS7_S5_lS6_T11_S5_li.numbered_sgpr, 36
	.set _ZL29rocblas_internal_gemmt_kernelIiLi16ELi32ELi8ELc78ELc78ELc85ELb0ELb0E19rocblas_complex_numIdES1_PKS1_PS1_EviT_T9_T10_S5_lS7_S5_lS6_T11_S5_li.num_named_barrier, 0
	.set _ZL29rocblas_internal_gemmt_kernelIiLi16ELi32ELi8ELc78ELc78ELc85ELb0ELb0E19rocblas_complex_numIdES1_PKS1_PS1_EviT_T9_T10_S5_lS7_S5_lS6_T11_S5_li.private_seg_size, 0
	.set _ZL29rocblas_internal_gemmt_kernelIiLi16ELi32ELi8ELc78ELc78ELc85ELb0ELb0E19rocblas_complex_numIdES1_PKS1_PS1_EviT_T9_T10_S5_lS7_S5_lS6_T11_S5_li.uses_vcc, 1
	.set _ZL29rocblas_internal_gemmt_kernelIiLi16ELi32ELi8ELc78ELc78ELc85ELb0ELb0E19rocblas_complex_numIdES1_PKS1_PS1_EviT_T9_T10_S5_lS7_S5_lS6_T11_S5_li.uses_flat_scratch, 0
	.set _ZL29rocblas_internal_gemmt_kernelIiLi16ELi32ELi8ELc78ELc78ELc85ELb0ELb0E19rocblas_complex_numIdES1_PKS1_PS1_EviT_T9_T10_S5_lS7_S5_lS6_T11_S5_li.has_dyn_sized_stack, 0
	.set _ZL29rocblas_internal_gemmt_kernelIiLi16ELi32ELi8ELc78ELc78ELc85ELb0ELb0E19rocblas_complex_numIdES1_PKS1_PS1_EviT_T9_T10_S5_lS7_S5_lS6_T11_S5_li.has_recursion, 0
	.set _ZL29rocblas_internal_gemmt_kernelIiLi16ELi32ELi8ELc78ELc78ELc85ELb0ELb0E19rocblas_complex_numIdES1_PKS1_PS1_EviT_T9_T10_S5_lS7_S5_lS6_T11_S5_li.has_indirect_call, 0
	.section	.AMDGPU.csdata,"",@progbits
; Kernel info:
; codeLenInByte = 3096
; TotalNumSgprs: 42
; NumVgprs: 62
; NumAgprs: 0
; TotalNumVgprs: 62
; ScratchSize: 0
; MemoryBound: 0
; FloatMode: 240
; IeeeMode: 1
; LDSByteSize: 8192 bytes/workgroup (compile time only)
; SGPRBlocks: 5
; VGPRBlocks: 7
; NumSGPRsForWavesPerEU: 42
; NumVGPRsForWavesPerEU: 62
; AccumOffset: 64
; Occupancy: 8
; WaveLimiterHint : 0
; COMPUTE_PGM_RSRC2:SCRATCH_EN: 0
; COMPUTE_PGM_RSRC2:USER_SGPR: 2
; COMPUTE_PGM_RSRC2:TRAP_HANDLER: 0
; COMPUTE_PGM_RSRC2:TGID_X_EN: 1
; COMPUTE_PGM_RSRC2:TGID_Y_EN: 1
; COMPUTE_PGM_RSRC2:TGID_Z_EN: 1
; COMPUTE_PGM_RSRC2:TIDIG_COMP_CNT: 1
; COMPUTE_PGM_RSRC3_GFX90A:ACCUM_OFFSET: 15
; COMPUTE_PGM_RSRC3_GFX90A:TG_SPLIT: 0
	.section	.text._ZL29rocblas_internal_gemmt_kernelIiLi16ELi32ELi8ELc78ELc84ELc85ELb0ELb0E19rocblas_complex_numIdES1_PKS1_PS1_EviT_T9_T10_S5_lS7_S5_lS6_T11_S5_li,"axG",@progbits,_ZL29rocblas_internal_gemmt_kernelIiLi16ELi32ELi8ELc78ELc84ELc85ELb0ELb0E19rocblas_complex_numIdES1_PKS1_PS1_EviT_T9_T10_S5_lS7_S5_lS6_T11_S5_li,comdat
	.globl	_ZL29rocblas_internal_gemmt_kernelIiLi16ELi32ELi8ELc78ELc84ELc85ELb0ELb0E19rocblas_complex_numIdES1_PKS1_PS1_EviT_T9_T10_S5_lS7_S5_lS6_T11_S5_li ; -- Begin function _ZL29rocblas_internal_gemmt_kernelIiLi16ELi32ELi8ELc78ELc84ELc85ELb0ELb0E19rocblas_complex_numIdES1_PKS1_PS1_EviT_T9_T10_S5_lS7_S5_lS6_T11_S5_li
	.p2align	8
	.type	_ZL29rocblas_internal_gemmt_kernelIiLi16ELi32ELi8ELc78ELc84ELc85ELb0ELb0E19rocblas_complex_numIdES1_PKS1_PS1_EviT_T9_T10_S5_lS7_S5_lS6_T11_S5_li,@function
_ZL29rocblas_internal_gemmt_kernelIiLi16ELi32ELi8ELc78ELc84ELc85ELb0ELb0E19rocblas_complex_numIdES1_PKS1_PS1_EviT_T9_T10_S5_lS7_S5_lS6_T11_S5_li: ; @_ZL29rocblas_internal_gemmt_kernelIiLi16ELi32ELi8ELc78ELc84ELc85ELb0ELb0E19rocblas_complex_numIdES1_PKS1_PS1_EviT_T9_T10_S5_lS7_S5_lS6_T11_S5_li
; %bb.0:
	s_load_dwordx8 s[8:15], s[0:1], 0x40
	s_load_dwordx2 s[6:7], s[0:1], 0x0
	s_load_dwordx4 s[16:19], s[0:1], 0x8
	s_mov_b64 s[20:21], 0
	s_waitcnt lgkmcnt(0)
	v_cmp_eq_f64_e64 s[22:23], s[10:11], 1.0
	v_cmp_eq_f64_e64 s[24:25], s[12:13], 0
	s_and_b64 s[22:23], s[22:23], s[24:25]
	s_andn2_b64 vcc, exec, s[22:23]
	s_mov_b64 s[22:23], -1
	s_cbranch_vccnz .LBB127_4
; %bb.1:
	s_cmp_lg_u32 s7, 0
	s_cbranch_scc0 .LBB127_3
; %bb.2:
	v_cmp_neq_f64_e64 s[20:21], s[16:17], 0
	v_cmp_neq_f64_e64 s[22:23], s[18:19], 0
	s_or_b64 s[20:21], s[20:21], s[22:23]
.LBB127_3:
	s_mov_b64 s[22:23], s[20:21]
.LBB127_4:
	s_and_b64 vcc, exec, s[22:23]
	s_cbranch_vccz .LBB127_32
; %bb.5:
	s_lshl_b32 s5, s2, 5
	s_lshl_b32 s28, s3, 5
	v_cmp_eq_f64_e64 s[2:3], s[16:17], 0
	v_cmp_eq_f64_e64 s[20:21], s[18:19], 0
	s_and_b64 s[2:3], s[2:3], s[20:21]
	s_cmp_lt_i32 s7, 1
	s_cselect_b64 s[20:21], -1, 0
	s_or_b64 s[2:3], s[2:3], s[20:21]
	v_and_b32_e32 v20, 0x3ff, v0
	v_bfe_u32 v21, v0, 10, 10
	s_mov_b32 s29, 0
	v_mov_b64_e32 v[16:17], 0
	s_and_b64 vcc, exec, s[2:3]
	v_mov_b64_e32 v[18:19], 0
	v_mov_b64_e32 v[12:13], 0
	;; [unrolled: 1-line block ×7, first 2 shown]
	s_cbranch_vccnz .LBB127_16
; %bb.6:
	v_lshl_add_u32 v0, v21, 4, v20
	s_load_dwordx2 s[26:27], s[0:1], 0x18
	s_load_dword s30, s[0:1], 0x20
	s_load_dwordx4 s[20:23], s[0:1], 0x28
	s_load_dword s34, s[0:1], 0x38
	v_and_b32_e32 v4, 31, v0
	v_lshrrev_b32_e32 v23, 5, v0
	v_lshrrev_b32_e32 v1, 3, v0
	v_or_b32_e32 v0, s5, v4
	v_and_b32_e32 v22, 7, v20
	v_cmp_gt_i32_e32 vcc, s6, v0
	v_lshlrev_b32_e32 v0, 4, v4
	v_lshl_or_b32 v24, v23, 9, v0
	v_lshlrev_b32_e32 v0, 4, v22
	v_lshl_or_b32 v0, v1, 7, v0
	s_waitcnt lgkmcnt(0)
	s_mul_i32 s21, s21, s4
	s_mul_hi_u32 s33, s20, s4
	v_add_u32_e32 v25, 0x1000, v0
	v_mov_b32_e32 v0, 0x1000
	s_add_i32 s21, s33, s21
	s_mul_i32 s20, s20, s4
	v_add_u32_e32 v2, s28, v1
	v_lshl_add_u32 v27, v21, 7, v0
	v_mad_i64_i32 v[0:1], s[36:37], v23, s30, 0
	s_lshl_b64 s[20:21], s[20:21], 4
	v_add_u32_e32 v4, s5, v4
	v_lshl_add_u64 v[0:1], v[0:1], 4, s[20:21]
	v_ashrrev_i32_e32 v5, 31, v4
	v_lshl_add_u64 v[0:1], v[4:5], 4, v[0:1]
	v_lshl_add_u64 v[0:1], s[26:27], 0, v[0:1]
	s_mul_i32 s9, s9, s4
	s_mul_hi_u32 s26, s8, s4
	s_add_i32 s9, s26, s9
	v_mad_i64_i32 v[4:5], s[26:27], s34, v22, 0
	s_mul_i32 s8, s8, s4
	v_lshlrev_b64 v[4:5], 4, v[4:5]
	v_ashrrev_i32_e32 v3, 31, v2
	v_lshl_add_u64 v[4:5], s[8:9], 4, v[4:5]
	s_ashr_i32 s31, s30, 31
	s_ashr_i32 s35, s34, 31
	v_cmp_gt_i32_e64 s[2:3], s6, v2
	v_lshl_add_u64 v[2:3], v[2:3], 4, v[4:5]
	v_mov_b32_e32 v28, 0
	v_lshlrev_b32_e32 v26, 4, v20
	s_lshl_b64 s[20:21], s[30:31], 7
	v_lshl_add_u64 v[2:3], s[22:23], 0, v[2:3]
	s_lshl_b64 s[8:9], s[34:35], 7
	v_mov_b64_e32 v[4:5], 0
	s_xor_b64 s[22:23], vcc, -1
	s_xor_b64 s[2:3], s[2:3], -1
	v_mov_b32_e32 v29, v28
	v_mov_b32_e32 v30, v28
	;; [unrolled: 1-line block ×3, first 2 shown]
	v_mov_b64_e32 v[6:7], 0
	v_mov_b64_e32 v[10:11], 0
	v_mov_b64_e32 v[8:9], 0
	v_mov_b64_e32 v[14:15], 0
	v_mov_b64_e32 v[12:13], 0
	v_mov_b64_e32 v[18:19], 0
	v_mov_b64_e32 v[16:17], 0
	s_branch .LBB127_8
.LBB127_7:                              ;   in Loop: Header=BB127_8 Depth=1
	s_or_b64 exec, exec, s[26:27]
	s_waitcnt lgkmcnt(0)
	s_barrier
	ds_read_b128 v[32:35], v26
	ds_read_b128 v[36:39], v27
	ds_read_b128 v[40:43], v27 offset:16
	ds_read_b128 v[44:47], v27 offset:32
	;; [unrolled: 1-line block ×4, first 2 shown]
	s_waitcnt lgkmcnt(4)
	v_mul_f64 v[56:57], v[38:39], v[34:35]
	v_fma_f64 v[56:57], v[36:37], v[32:33], -v[56:57]
	v_mul_f64 v[58:59], v[36:37], v[34:35]
	v_fmac_f64_e32 v[58:59], v[38:39], v[32:33]
	v_add_f64 v[56:57], v[16:17], v[56:57]
	s_waitcnt lgkmcnt(0)
	v_mul_f64 v[16:17], v[38:39], v[54:55]
	v_add_f64 v[58:59], v[58:59], v[18:19]
	v_fma_f64 v[60:61], v[36:37], v[52:53], -v[16:17]
	ds_read_b128 v[16:19], v27 offset:2048
	v_mul_f64 v[36:37], v[36:37], v[54:55]
	v_fmac_f64_e32 v[36:37], v[38:39], v[52:53]
	v_add_f64 v[38:39], v[12:13], v[60:61]
	v_add_f64 v[36:37], v[36:37], v[14:15]
	ds_read_b128 v[12:15], v27 offset:2064
	s_waitcnt lgkmcnt(1)
	v_mul_f64 v[60:61], v[18:19], v[34:35]
	v_fma_f64 v[60:61], v[16:17], v[32:33], -v[60:61]
	v_mul_f64 v[34:35], v[16:17], v[34:35]
	v_fmac_f64_e32 v[34:35], v[18:19], v[32:33]
	v_add_f64 v[32:33], v[8:9], v[60:61]
	v_mul_f64 v[8:9], v[18:19], v[54:55]
	v_add_f64 v[34:35], v[34:35], v[10:11]
	v_fma_f64 v[60:61], v[16:17], v[52:53], -v[8:9]
	v_mul_f64 v[16:17], v[16:17], v[54:55]
	ds_read_b128 v[8:11], v26 offset:512
	v_fmac_f64_e32 v[16:17], v[18:19], v[52:53]
	v_add_f64 v[18:19], v[6:7], v[60:61]
	v_add_f64 v[16:17], v[16:17], v[4:5]
	ds_read_b128 v[4:7], v26 offset:768
	s_waitcnt lgkmcnt(1)
	v_mul_f64 v[52:53], v[42:43], v[10:11]
	v_fma_f64 v[52:53], v[40:41], v[8:9], -v[52:53]
	v_add_f64 v[52:53], v[56:57], v[52:53]
	v_mul_f64 v[54:55], v[40:41], v[10:11]
	s_waitcnt lgkmcnt(0)
	v_mul_f64 v[56:57], v[42:43], v[6:7]
	v_fma_f64 v[56:57], v[40:41], v[4:5], -v[56:57]
	v_mul_f64 v[40:41], v[40:41], v[6:7]
	v_fmac_f64_e32 v[40:41], v[42:43], v[4:5]
	v_add_f64 v[36:37], v[40:41], v[36:37]
	v_mul_f64 v[40:41], v[14:15], v[10:11]
	v_mul_f64 v[10:11], v[12:13], v[10:11]
	v_fmac_f64_e32 v[54:55], v[42:43], v[8:9]
	v_fma_f64 v[40:41], v[12:13], v[8:9], -v[40:41]
	v_fmac_f64_e32 v[10:11], v[14:15], v[8:9]
	v_mul_f64 v[8:9], v[14:15], v[6:7]
	v_add_f64 v[42:43], v[10:11], v[34:35]
	v_fma_f64 v[10:11], v[12:13], v[4:5], -v[8:9]
	v_mul_f64 v[12:13], v[12:13], v[6:7]
	ds_read_b128 v[6:9], v26 offset:1024
	v_fmac_f64_e32 v[12:13], v[14:15], v[4:5]
	v_add_f64 v[38:39], v[38:39], v[56:57]
	v_add_f64 v[18:19], v[18:19], v[10:11]
	;; [unrolled: 1-line block ×3, first 2 shown]
	ds_read_b128 v[10:13], v26 offset:1280
	s_waitcnt lgkmcnt(1)
	v_mul_f64 v[14:15], v[44:45], v[8:9]
	v_add_f64 v[54:55], v[54:55], v[58:59]
	v_fmac_f64_e32 v[14:15], v[46:47], v[6:7]
	v_add_f64 v[54:55], v[14:15], v[54:55]
	ds_read_b128 v[14:17], v27 offset:2080
	v_mul_f64 v[4:5], v[46:47], v[8:9]
	v_fma_f64 v[4:5], v[44:45], v[6:7], -v[4:5]
	v_add_f64 v[40:41], v[32:33], v[40:41]
	v_add_f64 v[52:53], v[52:53], v[4:5]
	s_waitcnt lgkmcnt(1)
	v_mul_f64 v[4:5], v[46:47], v[12:13]
	v_mul_f64 v[32:33], v[44:45], v[12:13]
	v_fma_f64 v[4:5], v[44:45], v[10:11], -v[4:5]
	v_fmac_f64_e32 v[32:33], v[46:47], v[10:11]
	v_add_f64 v[38:39], v[38:39], v[4:5]
	v_add_f64 v[36:37], v[32:33], v[36:37]
	ds_read_b128 v[32:35], v27 offset:2096
	s_waitcnt lgkmcnt(1)
	v_mul_f64 v[4:5], v[16:17], v[8:9]
	v_fma_f64 v[4:5], v[14:15], v[6:7], -v[4:5]
	v_mul_f64 v[8:9], v[14:15], v[8:9]
	v_fmac_f64_e32 v[8:9], v[16:17], v[6:7]
	v_add_f64 v[40:41], v[40:41], v[4:5]
	v_mul_f64 v[4:5], v[16:17], v[12:13]
	v_add_f64 v[42:43], v[8:9], v[42:43]
	v_fma_f64 v[8:9], v[14:15], v[10:11], -v[4:5]
	ds_read_b128 v[4:7], v26 offset:1536
	v_mul_f64 v[12:13], v[14:15], v[12:13]
	v_fmac_f64_e32 v[12:13], v[16:17], v[10:11]
	v_add_f64 v[14:15], v[18:19], v[8:9]
	ds_read_b128 v[8:11], v26 offset:1792
	s_waitcnt lgkmcnt(1)
	v_mul_f64 v[16:17], v[50:51], v[6:7]
	v_fma_f64 v[16:17], v[48:49], v[4:5], -v[16:17]
	v_mul_f64 v[18:19], v[48:49], v[6:7]
	v_fmac_f64_e32 v[18:19], v[50:51], v[4:5]
	v_add_f64 v[44:45], v[52:53], v[16:17]
	s_waitcnt lgkmcnt(0)
	v_mul_f64 v[16:17], v[50:51], v[10:11]
	v_add_f64 v[46:47], v[18:19], v[54:55]
	v_fma_f64 v[16:17], v[48:49], v[8:9], -v[16:17]
	v_mul_f64 v[18:19], v[48:49], v[10:11]
	v_fmac_f64_e32 v[18:19], v[50:51], v[8:9]
	v_add_f64 v[38:39], v[38:39], v[16:17]
	v_mul_f64 v[16:17], v[34:35], v[6:7]
	v_mul_f64 v[6:7], v[32:33], v[6:7]
	v_add_f64 v[36:37], v[18:19], v[36:37]
	v_fma_f64 v[16:17], v[32:33], v[4:5], -v[16:17]
	v_fmac_f64_e32 v[6:7], v[34:35], v[4:5]
	v_mul_f64 v[4:5], v[34:35], v[10:11]
	v_mul_f64 v[18:19], v[32:33], v[10:11]
	v_add_f64 v[40:41], v[40:41], v[16:17]
	v_add_f64 v[42:43], v[6:7], v[42:43]
	v_fma_f64 v[16:17], v[32:33], v[8:9], -v[4:5]
	v_fmac_f64_e32 v[18:19], v[34:35], v[8:9]
	ds_read_b128 v[4:7], v27 offset:64
	ds_read_b128 v[8:11], v26 offset:2048
	v_add_f64 v[12:13], v[12:13], v[56:57]
	v_add_f64 v[48:49], v[14:15], v[16:17]
	;; [unrolled: 1-line block ×3, first 2 shown]
	ds_read_b128 v[12:15], v26 offset:2304
	ds_read_b128 v[16:19], v27 offset:80
	s_waitcnt lgkmcnt(2)
	v_mul_f64 v[32:33], v[6:7], v[10:11]
	v_fma_f64 v[32:33], v[4:5], v[8:9], -v[32:33]
	v_mul_f64 v[34:35], v[4:5], v[10:11]
	v_fmac_f64_e32 v[34:35], v[6:7], v[8:9]
	v_add_f64 v[44:45], v[44:45], v[32:33]
	s_waitcnt lgkmcnt(1)
	v_mul_f64 v[32:33], v[6:7], v[14:15]
	v_add_f64 v[46:47], v[34:35], v[46:47]
	v_fma_f64 v[52:53], v[4:5], v[12:13], -v[32:33]
	ds_read_b128 v[32:35], v27 offset:2112
	v_mul_f64 v[4:5], v[4:5], v[14:15]
	v_fmac_f64_e32 v[4:5], v[6:7], v[12:13]
	v_add_f64 v[38:39], v[38:39], v[52:53]
	v_add_f64 v[36:37], v[4:5], v[36:37]
	ds_read_b128 v[4:7], v27 offset:2128
	s_waitcnt lgkmcnt(1)
	v_mul_f64 v[52:53], v[34:35], v[10:11]
	v_mul_f64 v[10:11], v[32:33], v[10:11]
	v_fma_f64 v[52:53], v[32:33], v[8:9], -v[52:53]
	v_fmac_f64_e32 v[10:11], v[34:35], v[8:9]
	v_mul_f64 v[8:9], v[34:35], v[14:15]
	v_add_f64 v[40:41], v[40:41], v[52:53]
	v_add_f64 v[42:43], v[10:11], v[42:43]
	v_fma_f64 v[52:53], v[32:33], v[12:13], -v[8:9]
	v_mul_f64 v[14:15], v[32:33], v[14:15]
	ds_read_b128 v[8:11], v26 offset:2560
	v_fmac_f64_e32 v[14:15], v[34:35], v[12:13]
	v_add_f64 v[34:35], v[14:15], v[50:51]
	ds_read_b128 v[12:15], v26 offset:2816
	v_add_f64 v[32:33], v[48:49], v[52:53]
	s_waitcnt lgkmcnt(1)
	v_mul_f64 v[48:49], v[18:19], v[10:11]
	v_fma_f64 v[48:49], v[16:17], v[8:9], -v[48:49]
	v_add_f64 v[44:45], v[44:45], v[48:49]
	s_waitcnt lgkmcnt(0)
	v_mul_f64 v[48:49], v[18:19], v[14:15]
	v_mul_f64 v[50:51], v[16:17], v[10:11]
	v_fma_f64 v[48:49], v[16:17], v[12:13], -v[48:49]
	v_mul_f64 v[16:17], v[16:17], v[14:15]
	v_fmac_f64_e32 v[16:17], v[18:19], v[12:13]
	v_add_f64 v[36:37], v[16:17], v[36:37]
	v_mul_f64 v[16:17], v[6:7], v[10:11]
	v_mul_f64 v[10:11], v[4:5], v[10:11]
	v_fmac_f64_e32 v[50:51], v[18:19], v[8:9]
	v_fma_f64 v[16:17], v[4:5], v[8:9], -v[16:17]
	v_fmac_f64_e32 v[10:11], v[6:7], v[8:9]
	v_mul_f64 v[8:9], v[6:7], v[14:15]
	v_mul_f64 v[14:15], v[4:5], v[14:15]
	v_add_f64 v[40:41], v[40:41], v[16:17]
	v_add_f64 v[42:43], v[10:11], v[42:43]
	v_fma_f64 v[16:17], v[4:5], v[12:13], -v[8:9]
	v_fmac_f64_e32 v[14:15], v[6:7], v[12:13]
	ds_read_b128 v[4:7], v27 offset:96
	ds_read_b128 v[8:11], v26 offset:3072
	v_add_f64 v[46:47], v[50:51], v[46:47]
	v_add_f64 v[38:39], v[38:39], v[48:49]
	;; [unrolled: 1-line block ×4, first 2 shown]
	ds_read_b128 v[12:15], v26 offset:3328
	ds_read_b128 v[32:35], v27 offset:112
	s_waitcnt lgkmcnt(2)
	v_mul_f64 v[16:17], v[6:7], v[10:11]
	v_fma_f64 v[16:17], v[4:5], v[8:9], -v[16:17]
	v_mul_f64 v[18:19], v[4:5], v[10:11]
	v_fmac_f64_e32 v[18:19], v[6:7], v[8:9]
	v_add_f64 v[44:45], v[44:45], v[16:17]
	s_waitcnt lgkmcnt(1)
	v_mul_f64 v[16:17], v[6:7], v[14:15]
	v_add_f64 v[46:47], v[18:19], v[46:47]
	v_fma_f64 v[52:53], v[4:5], v[12:13], -v[16:17]
	ds_read_b128 v[16:19], v27 offset:2144
	v_mul_f64 v[4:5], v[4:5], v[14:15]
	v_fmac_f64_e32 v[4:5], v[6:7], v[12:13]
	v_add_f64 v[54:55], v[4:5], v[36:37]
	ds_read_b128 v[4:7], v27 offset:2160
	s_waitcnt lgkmcnt(1)
	v_mul_f64 v[36:37], v[18:19], v[10:11]
	v_mul_f64 v[10:11], v[16:17], v[10:11]
	v_fma_f64 v[36:37], v[16:17], v[8:9], -v[36:37]
	v_fmac_f64_e32 v[10:11], v[18:19], v[8:9]
	v_mul_f64 v[8:9], v[18:19], v[14:15]
	v_add_f64 v[40:41], v[40:41], v[36:37]
	v_add_f64 v[42:43], v[10:11], v[42:43]
	v_fma_f64 v[36:37], v[16:17], v[12:13], -v[8:9]
	ds_read_b128 v[8:11], v26 offset:3584
	v_add_f64 v[52:53], v[38:39], v[52:53]
	v_add_f64 v[48:49], v[48:49], v[36:37]
	ds_read_b128 v[36:39], v26 offset:3840
	v_mul_f64 v[14:15], v[16:17], v[14:15]
	v_fmac_f64_e32 v[14:15], v[18:19], v[12:13]
	s_waitcnt lgkmcnt(1)
	v_mul_f64 v[12:13], v[34:35], v[10:11]
	v_add_f64 v[50:51], v[14:15], v[50:51]
	v_fma_f64 v[12:13], v[32:33], v[8:9], -v[12:13]
	v_mul_f64 v[14:15], v[32:33], v[10:11]
	v_fmac_f64_e32 v[14:15], v[34:35], v[8:9]
	v_add_f64 v[16:17], v[44:45], v[12:13]
	s_waitcnt lgkmcnt(0)
	v_mul_f64 v[12:13], v[34:35], v[38:39]
	v_add_f64 v[18:19], v[14:15], v[46:47]
	v_fma_f64 v[12:13], v[32:33], v[36:37], -v[12:13]
	v_mul_f64 v[14:15], v[32:33], v[38:39]
	v_mul_f64 v[32:33], v[6:7], v[10:11]
	v_fma_f64 v[32:33], v[4:5], v[8:9], -v[32:33]
	v_mul_f64 v[10:11], v[4:5], v[10:11]
	v_fmac_f64_e32 v[10:11], v[6:7], v[8:9]
	v_add_f64 v[8:9], v[40:41], v[32:33]
	v_mul_f64 v[32:33], v[6:7], v[38:39]
	v_fma_f64 v[32:33], v[4:5], v[36:37], -v[32:33]
	v_mul_f64 v[4:5], v[4:5], v[38:39]
	v_fmac_f64_e32 v[14:15], v[34:35], v[36:37]
	v_fmac_f64_e32 v[4:5], v[6:7], v[36:37]
	s_add_i32 s29, s29, 8
	v_add_f64 v[12:13], v[52:53], v[12:13]
	v_add_f64 v[14:15], v[14:15], v[54:55]
	;; [unrolled: 1-line block ×5, first 2 shown]
	v_lshl_add_u64 v[0:1], v[0:1], 0, s[20:21]
	s_cmp_lt_i32 s29, s7
	v_lshl_add_u64 v[2:3], v[2:3], 0, s[8:9]
	s_barrier
	s_cbranch_scc0 .LBB127_16
.LBB127_8:                              ; =>This Inner Loop Header: Depth=1
	v_add_u32_e32 v32, s29, v23
	v_cmp_le_i32_e32 vcc, s7, v32
	s_or_b64 s[26:27], s[22:23], vcc
	s_and_saveexec_b64 s[30:31], s[26:27]
	s_xor_b64 s[26:27], exec, s[30:31]
; %bb.9:                                ;   in Loop: Header=BB127_8 Depth=1
	ds_write_b128 v24, v[28:31]
; %bb.10:                               ;   in Loop: Header=BB127_8 Depth=1
	s_andn2_saveexec_b64 s[26:27], s[26:27]
	s_cbranch_execz .LBB127_12
; %bb.11:                               ;   in Loop: Header=BB127_8 Depth=1
	global_load_dwordx4 v[32:35], v[0:1], off
	s_waitcnt vmcnt(0)
	ds_write2_b64 v24, v[32:33], v[34:35] offset1:1
.LBB127_12:                             ;   in Loop: Header=BB127_8 Depth=1
	s_or_b64 exec, exec, s[26:27]
	v_add_u32_e32 v32, s29, v22
	v_cmp_le_i32_e32 vcc, s7, v32
	s_or_b64 s[26:27], vcc, s[2:3]
	s_and_saveexec_b64 s[30:31], s[26:27]
	s_xor_b64 s[26:27], exec, s[30:31]
; %bb.13:                               ;   in Loop: Header=BB127_8 Depth=1
	ds_write_b128 v25, v[28:31]
; %bb.14:                               ;   in Loop: Header=BB127_8 Depth=1
	s_andn2_saveexec_b64 s[26:27], s[26:27]
	s_cbranch_execz .LBB127_7
; %bb.15:                               ;   in Loop: Header=BB127_8 Depth=1
	global_load_dwordx4 v[32:35], v[2:3], off
	s_waitcnt vmcnt(0)
	ds_write2_b64 v25, v[32:33], v[34:35] offset1:1
	s_branch .LBB127_7
.LBB127_16:
	s_load_dwordx2 s[2:3], s[0:1], 0x68
	s_load_dword s7, s[0:1], 0x60
	v_add_u32_e32 v20, s5, v20
	v_add_u32_e32 v24, s28, v21
	v_cmp_le_i32_e32 vcc, v20, v24
	s_waitcnt lgkmcnt(0)
	s_mul_i32 s1, s3, s4
	s_mul_hi_u32 s3, s2, s4
	s_mul_i32 s0, s2, s4
	s_add_i32 s1, s3, s1
	s_lshl_b64 s[0:1], s[0:1], 4
	s_add_u32 s4, s14, s0
	s_addc_u32 s5, s15, s1
	v_cmp_neq_f64_e64 s[0:1], s[10:11], 0
	s_xor_b64 s[8:9], s[24:25], -1
	v_mad_i64_i32 v[0:1], s[14:15], v24, s7, 0
	s_or_b64 s[0:1], s[0:1], s[8:9]
	v_cmp_gt_i32_e64 s[2:3], s6, v24
	v_lshl_add_u64 v[22:23], v[0:1], 4, s[4:5]
	v_cndmask_b32_e64 v0, 0, 1, s[0:1]
	s_and_b64 s[14:15], s[2:3], vcc
	v_ashrrev_i32_e32 v21, 31, v20
	v_cmp_ne_u32_e64 s[0:1], 1, v0
	s_and_saveexec_b64 s[8:9], s[14:15]
	s_cbranch_execz .LBB127_20
; %bb.17:
	v_mul_f64 v[0:1], s[18:19], v[18:19]
	v_mul_f64 v[2:3], s[16:17], v[18:19]
	v_fma_f64 v[0:1], s[16:17], v[16:17], -v[0:1]
	v_fmac_f64_e32 v[2:3], s[18:19], v[16:17]
	s_and_b64 vcc, exec, s[0:1]
	v_lshl_add_u64 v[16:17], v[20:21], 4, v[22:23]
	s_cbranch_vccnz .LBB127_19
; %bb.18:
	global_load_dwordx4 v[26:29], v[16:17], off
	s_waitcnt vmcnt(0)
	v_mul_f64 v[18:19], s[12:13], v[28:29]
	v_mul_f64 v[28:29], s[10:11], v[28:29]
	v_fma_f64 v[18:19], s[10:11], v[26:27], -v[18:19]
	v_fmac_f64_e32 v[28:29], s[12:13], v[26:27]
	v_add_f64 v[0:1], v[0:1], v[18:19]
	v_add_f64 v[2:3], v[2:3], v[28:29]
.LBB127_19:
	global_store_dwordx4 v[16:17], v[0:3], off
.LBB127_20:
	s_or_b64 exec, exec, s[8:9]
	v_add_u32_e32 v16, 16, v20
	v_cmp_le_i32_e32 vcc, v16, v24
	s_and_b64 s[8:9], s[2:3], vcc
	v_ashrrev_i32_e32 v17, 31, v16
	s_and_saveexec_b64 s[2:3], s[8:9]
	s_cbranch_execz .LBB127_24
; %bb.21:
	v_mul_f64 v[0:1], s[18:19], v[14:15]
	v_mul_f64 v[2:3], s[16:17], v[14:15]
	v_fma_f64 v[0:1], s[16:17], v[12:13], -v[0:1]
	v_fmac_f64_e32 v[2:3], s[18:19], v[12:13]
	s_and_b64 vcc, exec, s[0:1]
	v_lshl_add_u64 v[12:13], v[16:17], 4, v[22:23]
	s_cbranch_vccnz .LBB127_23
; %bb.22:
	global_load_dwordx4 v[26:29], v[12:13], off
	s_waitcnt vmcnt(0)
	v_mul_f64 v[14:15], s[12:13], v[28:29]
	v_mul_f64 v[18:19], s[10:11], v[28:29]
	v_fma_f64 v[14:15], s[10:11], v[26:27], -v[14:15]
	v_fmac_f64_e32 v[18:19], s[12:13], v[26:27]
	v_add_f64 v[0:1], v[0:1], v[14:15]
	v_add_f64 v[2:3], v[2:3], v[18:19]
.LBB127_23:
	global_store_dwordx4 v[12:13], v[0:3], off
.LBB127_24:
	s_or_b64 exec, exec, s[2:3]
	v_add_u32_e32 v14, 16, v24
	v_cmp_gt_i32_e64 s[2:3], s6, v14
	v_mad_i64_i32 v[0:1], s[6:7], v14, s7, 0
	v_cmp_le_i32_e32 vcc, v20, v14
	v_lshl_add_u64 v[12:13], v[0:1], 4, s[4:5]
	s_and_b64 s[6:7], s[2:3], vcc
	s_and_saveexec_b64 s[4:5], s[6:7]
	s_cbranch_execz .LBB127_28
; %bb.25:
	v_mul_f64 v[0:1], s[18:19], v[10:11]
	v_mul_f64 v[2:3], s[16:17], v[10:11]
	v_fma_f64 v[0:1], s[16:17], v[8:9], -v[0:1]
	v_fmac_f64_e32 v[2:3], s[18:19], v[8:9]
	s_and_b64 vcc, exec, s[0:1]
	v_lshl_add_u64 v[8:9], v[20:21], 4, v[12:13]
	s_cbranch_vccnz .LBB127_27
; %bb.26:
	global_load_dwordx4 v[18:21], v[8:9], off
	s_waitcnt vmcnt(0)
	v_mul_f64 v[10:11], s[12:13], v[20:21]
	v_mul_f64 v[20:21], s[10:11], v[20:21]
	v_fma_f64 v[10:11], s[10:11], v[18:19], -v[10:11]
	v_fmac_f64_e32 v[20:21], s[12:13], v[18:19]
	v_add_f64 v[0:1], v[0:1], v[10:11]
	v_add_f64 v[2:3], v[2:3], v[20:21]
.LBB127_27:
	global_store_dwordx4 v[8:9], v[0:3], off
.LBB127_28:
	s_or_b64 exec, exec, s[4:5]
	v_cmp_le_i32_e32 vcc, v16, v14
	s_and_b64 s[2:3], s[2:3], vcc
	s_and_saveexec_b64 s[4:5], s[2:3]
	s_cbranch_execz .LBB127_32
; %bb.29:
	v_mul_f64 v[0:1], s[18:19], v[4:5]
	v_mul_f64 v[2:3], s[16:17], v[4:5]
	v_fma_f64 v[0:1], s[16:17], v[6:7], -v[0:1]
	v_fmac_f64_e32 v[2:3], s[18:19], v[6:7]
	s_and_b64 vcc, exec, s[0:1]
	v_lshl_add_u64 v[4:5], v[16:17], 4, v[12:13]
	s_cbranch_vccnz .LBB127_31
; %bb.30:
	global_load_dwordx4 v[6:9], v[4:5], off
	s_waitcnt vmcnt(0)
	v_mul_f64 v[10:11], s[12:13], v[8:9]
	v_mul_f64 v[8:9], s[10:11], v[8:9]
	v_fma_f64 v[10:11], s[10:11], v[6:7], -v[10:11]
	v_fmac_f64_e32 v[8:9], s[12:13], v[6:7]
	v_add_f64 v[0:1], v[0:1], v[10:11]
	v_add_f64 v[2:3], v[2:3], v[8:9]
.LBB127_31:
	global_store_dwordx4 v[4:5], v[0:3], off
.LBB127_32:
	s_endpgm
	.section	.rodata,"a",@progbits
	.p2align	6, 0x0
	.amdhsa_kernel _ZL29rocblas_internal_gemmt_kernelIiLi16ELi32ELi8ELc78ELc84ELc85ELb0ELb0E19rocblas_complex_numIdES1_PKS1_PS1_EviT_T9_T10_S5_lS7_S5_lS6_T11_S5_li
		.amdhsa_group_segment_fixed_size 8192
		.amdhsa_private_segment_fixed_size 0
		.amdhsa_kernarg_size 116
		.amdhsa_user_sgpr_count 2
		.amdhsa_user_sgpr_dispatch_ptr 0
		.amdhsa_user_sgpr_queue_ptr 0
		.amdhsa_user_sgpr_kernarg_segment_ptr 1
		.amdhsa_user_sgpr_dispatch_id 0
		.amdhsa_user_sgpr_kernarg_preload_length 0
		.amdhsa_user_sgpr_kernarg_preload_offset 0
		.amdhsa_user_sgpr_private_segment_size 0
		.amdhsa_uses_dynamic_stack 0
		.amdhsa_enable_private_segment 0
		.amdhsa_system_sgpr_workgroup_id_x 1
		.amdhsa_system_sgpr_workgroup_id_y 1
		.amdhsa_system_sgpr_workgroup_id_z 1
		.amdhsa_system_sgpr_workgroup_info 0
		.amdhsa_system_vgpr_workitem_id 1
		.amdhsa_next_free_vgpr 62
		.amdhsa_next_free_sgpr 38
		.amdhsa_accum_offset 64
		.amdhsa_reserve_vcc 1
		.amdhsa_float_round_mode_32 0
		.amdhsa_float_round_mode_16_64 0
		.amdhsa_float_denorm_mode_32 3
		.amdhsa_float_denorm_mode_16_64 3
		.amdhsa_dx10_clamp 1
		.amdhsa_ieee_mode 1
		.amdhsa_fp16_overflow 0
		.amdhsa_tg_split 0
		.amdhsa_exception_fp_ieee_invalid_op 0
		.amdhsa_exception_fp_denorm_src 0
		.amdhsa_exception_fp_ieee_div_zero 0
		.amdhsa_exception_fp_ieee_overflow 0
		.amdhsa_exception_fp_ieee_underflow 0
		.amdhsa_exception_fp_ieee_inexact 0
		.amdhsa_exception_int_div_zero 0
	.end_amdhsa_kernel
	.section	.text._ZL29rocblas_internal_gemmt_kernelIiLi16ELi32ELi8ELc78ELc84ELc85ELb0ELb0E19rocblas_complex_numIdES1_PKS1_PS1_EviT_T9_T10_S5_lS7_S5_lS6_T11_S5_li,"axG",@progbits,_ZL29rocblas_internal_gemmt_kernelIiLi16ELi32ELi8ELc78ELc84ELc85ELb0ELb0E19rocblas_complex_numIdES1_PKS1_PS1_EviT_T9_T10_S5_lS7_S5_lS6_T11_S5_li,comdat
.Lfunc_end127:
	.size	_ZL29rocblas_internal_gemmt_kernelIiLi16ELi32ELi8ELc78ELc84ELc85ELb0ELb0E19rocblas_complex_numIdES1_PKS1_PS1_EviT_T9_T10_S5_lS7_S5_lS6_T11_S5_li, .Lfunc_end127-_ZL29rocblas_internal_gemmt_kernelIiLi16ELi32ELi8ELc78ELc84ELc85ELb0ELb0E19rocblas_complex_numIdES1_PKS1_PS1_EviT_T9_T10_S5_lS7_S5_lS6_T11_S5_li
                                        ; -- End function
	.set _ZL29rocblas_internal_gemmt_kernelIiLi16ELi32ELi8ELc78ELc84ELc85ELb0ELb0E19rocblas_complex_numIdES1_PKS1_PS1_EviT_T9_T10_S5_lS7_S5_lS6_T11_S5_li.num_vgpr, 62
	.set _ZL29rocblas_internal_gemmt_kernelIiLi16ELi32ELi8ELc78ELc84ELc85ELb0ELb0E19rocblas_complex_numIdES1_PKS1_PS1_EviT_T9_T10_S5_lS7_S5_lS6_T11_S5_li.num_agpr, 0
	.set _ZL29rocblas_internal_gemmt_kernelIiLi16ELi32ELi8ELc78ELc84ELc85ELb0ELb0E19rocblas_complex_numIdES1_PKS1_PS1_EviT_T9_T10_S5_lS7_S5_lS6_T11_S5_li.numbered_sgpr, 38
	.set _ZL29rocblas_internal_gemmt_kernelIiLi16ELi32ELi8ELc78ELc84ELc85ELb0ELb0E19rocblas_complex_numIdES1_PKS1_PS1_EviT_T9_T10_S5_lS7_S5_lS6_T11_S5_li.num_named_barrier, 0
	.set _ZL29rocblas_internal_gemmt_kernelIiLi16ELi32ELi8ELc78ELc84ELc85ELb0ELb0E19rocblas_complex_numIdES1_PKS1_PS1_EviT_T9_T10_S5_lS7_S5_lS6_T11_S5_li.private_seg_size, 0
	.set _ZL29rocblas_internal_gemmt_kernelIiLi16ELi32ELi8ELc78ELc84ELc85ELb0ELb0E19rocblas_complex_numIdES1_PKS1_PS1_EviT_T9_T10_S5_lS7_S5_lS6_T11_S5_li.uses_vcc, 1
	.set _ZL29rocblas_internal_gemmt_kernelIiLi16ELi32ELi8ELc78ELc84ELc85ELb0ELb0E19rocblas_complex_numIdES1_PKS1_PS1_EviT_T9_T10_S5_lS7_S5_lS6_T11_S5_li.uses_flat_scratch, 0
	.set _ZL29rocblas_internal_gemmt_kernelIiLi16ELi32ELi8ELc78ELc84ELc85ELb0ELb0E19rocblas_complex_numIdES1_PKS1_PS1_EviT_T9_T10_S5_lS7_S5_lS6_T11_S5_li.has_dyn_sized_stack, 0
	.set _ZL29rocblas_internal_gemmt_kernelIiLi16ELi32ELi8ELc78ELc84ELc85ELb0ELb0E19rocblas_complex_numIdES1_PKS1_PS1_EviT_T9_T10_S5_lS7_S5_lS6_T11_S5_li.has_recursion, 0
	.set _ZL29rocblas_internal_gemmt_kernelIiLi16ELi32ELi8ELc78ELc84ELc85ELb0ELb0E19rocblas_complex_numIdES1_PKS1_PS1_EviT_T9_T10_S5_lS7_S5_lS6_T11_S5_li.has_indirect_call, 0
	.section	.AMDGPU.csdata,"",@progbits
; Kernel info:
; codeLenInByte = 3104
; TotalNumSgprs: 44
; NumVgprs: 62
; NumAgprs: 0
; TotalNumVgprs: 62
; ScratchSize: 0
; MemoryBound: 0
; FloatMode: 240
; IeeeMode: 1
; LDSByteSize: 8192 bytes/workgroup (compile time only)
; SGPRBlocks: 5
; VGPRBlocks: 7
; NumSGPRsForWavesPerEU: 44
; NumVGPRsForWavesPerEU: 62
; AccumOffset: 64
; Occupancy: 8
; WaveLimiterHint : 0
; COMPUTE_PGM_RSRC2:SCRATCH_EN: 0
; COMPUTE_PGM_RSRC2:USER_SGPR: 2
; COMPUTE_PGM_RSRC2:TRAP_HANDLER: 0
; COMPUTE_PGM_RSRC2:TGID_X_EN: 1
; COMPUTE_PGM_RSRC2:TGID_Y_EN: 1
; COMPUTE_PGM_RSRC2:TGID_Z_EN: 1
; COMPUTE_PGM_RSRC2:TIDIG_COMP_CNT: 1
; COMPUTE_PGM_RSRC3_GFX90A:ACCUM_OFFSET: 15
; COMPUTE_PGM_RSRC3_GFX90A:TG_SPLIT: 0
	.section	.text._ZL29rocblas_internal_gemmt_kernelIiLi16ELi32ELi8ELc78ELc67ELc85ELb0ELb1E19rocblas_complex_numIdES1_PKS1_PS1_EviT_T9_T10_S5_lS7_S5_lS6_T11_S5_li,"axG",@progbits,_ZL29rocblas_internal_gemmt_kernelIiLi16ELi32ELi8ELc78ELc67ELc85ELb0ELb1E19rocblas_complex_numIdES1_PKS1_PS1_EviT_T9_T10_S5_lS7_S5_lS6_T11_S5_li,comdat
	.globl	_ZL29rocblas_internal_gemmt_kernelIiLi16ELi32ELi8ELc78ELc67ELc85ELb0ELb1E19rocblas_complex_numIdES1_PKS1_PS1_EviT_T9_T10_S5_lS7_S5_lS6_T11_S5_li ; -- Begin function _ZL29rocblas_internal_gemmt_kernelIiLi16ELi32ELi8ELc78ELc67ELc85ELb0ELb1E19rocblas_complex_numIdES1_PKS1_PS1_EviT_T9_T10_S5_lS7_S5_lS6_T11_S5_li
	.p2align	8
	.type	_ZL29rocblas_internal_gemmt_kernelIiLi16ELi32ELi8ELc78ELc67ELc85ELb0ELb1E19rocblas_complex_numIdES1_PKS1_PS1_EviT_T9_T10_S5_lS7_S5_lS6_T11_S5_li,@function
_ZL29rocblas_internal_gemmt_kernelIiLi16ELi32ELi8ELc78ELc67ELc85ELb0ELb1E19rocblas_complex_numIdES1_PKS1_PS1_EviT_T9_T10_S5_lS7_S5_lS6_T11_S5_li: ; @_ZL29rocblas_internal_gemmt_kernelIiLi16ELi32ELi8ELc78ELc67ELc85ELb0ELb1E19rocblas_complex_numIdES1_PKS1_PS1_EviT_T9_T10_S5_lS7_S5_lS6_T11_S5_li
; %bb.0:
	s_load_dwordx8 s[8:15], s[0:1], 0x40
	s_load_dwordx2 s[6:7], s[0:1], 0x0
	s_load_dwordx4 s[16:19], s[0:1], 0x8
	s_mov_b64 s[20:21], 0
	s_waitcnt lgkmcnt(0)
	v_cmp_eq_f64_e64 s[22:23], s[10:11], 1.0
	v_cmp_eq_f64_e64 s[24:25], s[12:13], 0
	s_and_b64 s[22:23], s[22:23], s[24:25]
	s_andn2_b64 vcc, exec, s[22:23]
	s_mov_b64 s[22:23], -1
	s_cbranch_vccnz .LBB128_4
; %bb.1:
	s_cmp_lg_u32 s7, 0
	s_cbranch_scc0 .LBB128_3
; %bb.2:
	v_cmp_neq_f64_e64 s[20:21], s[16:17], 0
	v_cmp_neq_f64_e64 s[22:23], s[18:19], 0
	s_or_b64 s[20:21], s[20:21], s[22:23]
.LBB128_3:
	s_mov_b64 s[22:23], s[20:21]
.LBB128_4:
	s_and_b64 vcc, exec, s[22:23]
	s_cbranch_vccz .LBB128_30
; %bb.5:
	s_lshl_b32 s5, s2, 5
	s_lshl_b32 s26, s3, 5
	v_cmp_eq_f64_e64 s[2:3], s[16:17], 0
	v_cmp_eq_f64_e64 s[20:21], s[18:19], 0
	s_and_b64 s[2:3], s[2:3], s[20:21]
	s_cmp_lt_i32 s7, 1
	s_cselect_b64 s[20:21], -1, 0
	s_or_b64 s[2:3], s[2:3], s[20:21]
	v_and_b32_e32 v25, 0x3ff, v0
	v_bfe_u32 v24, v0, 10, 10
	s_mov_b32 s27, 0
	v_mov_b64_e32 v[20:21], 0
	s_and_b64 vcc, exec, s[2:3]
	v_mov_b64_e32 v[22:23], 0
	v_mov_b64_e32 v[16:17], 0
	;; [unrolled: 1-line block ×7, first 2 shown]
	s_cbranch_vccnz .LBB128_14
; %bb.6:
	s_load_dwordx2 s[28:29], s[0:1], 0x18
	s_load_dword s30, s[0:1], 0x20
	s_load_dwordx4 s[20:23], s[0:1], 0x28
	s_load_dword s34, s[0:1], 0x38
	v_lshl_add_u32 v1, v24, 4, v25
	v_and_b32_e32 v4, 31, v1
	v_lshrrev_b32_e32 v27, 5, v1
	v_lshrrev_b32_e32 v2, 3, v1
	v_or_b32_e32 v1, s5, v4
	v_and_b32_e32 v26, 7, v25
	v_cmp_gt_i32_e64 s[2:3], s6, v1
	v_lshlrev_b32_e32 v1, 4, v4
	v_lshl_or_b32 v28, v27, 9, v1
	v_lshlrev_b32_e32 v1, 4, v26
	s_waitcnt lgkmcnt(0)
	s_mul_i32 s21, s21, s4
	s_mul_hi_u32 s33, s20, s4
	v_add_u32_e32 v0, s26, v2
	v_lshl_or_b32 v1, v2, 7, v1
	v_mov_b32_e32 v2, 0x1000
	s_add_i32 s21, s33, s21
	s_mul_i32 s20, s20, s4
	v_lshl_add_u32 v31, v24, 7, v2
	v_mad_i64_i32 v[2:3], s[36:37], v27, s30, 0
	s_lshl_b64 s[20:21], s[20:21], 4
	v_add_u32_e32 v4, s5, v4
	v_lshl_add_u64 v[2:3], v[2:3], 4, s[20:21]
	v_ashrrev_i32_e32 v5, 31, v4
	v_lshl_add_u64 v[2:3], v[4:5], 4, v[2:3]
	v_lshl_add_u64 v[4:5], s[28:29], 0, v[2:3]
	s_mul_i32 s9, s9, s4
	s_mul_hi_u32 s28, s8, s4
	s_add_i32 s9, s28, s9
	v_mad_i64_i32 v[2:3], s[28:29], s34, v26, 0
	s_mul_i32 s8, s8, s4
	v_lshlrev_b64 v[2:3], 4, v[2:3]
	v_add_u32_e32 v29, 0x1000, v1
	v_ashrrev_i32_e32 v1, 31, v0
	v_lshl_add_u64 v[2:3], s[8:9], 4, v[2:3]
	v_cmp_gt_i32_e32 vcc, s6, v0
	v_lshl_add_u64 v[0:1], v[0:1], 4, v[2:3]
	s_ashr_i32 s31, s30, 31
	s_ashr_i32 s35, s34, 31
	v_lshl_add_u64 v[0:1], s[22:23], 0, v[0:1]
	v_mov_b32_e32 v32, 0
	v_lshlrev_b32_e32 v30, 4, v25
	s_lshl_b64 s[20:21], s[30:31], 7
	v_lshl_add_u64 v[6:7], v[0:1], 0, 8
	s_lshl_b64 s[8:9], s[34:35], 7
	v_mov_b64_e32 v[8:9], 0
	s_xor_b64 s[22:23], s[2:3], -1
	v_mov_b32_e32 v33, v32
	v_mov_b32_e32 v34, v32
	;; [unrolled: 1-line block ×3, first 2 shown]
	v_mov_b64_e32 v[10:11], 0
	v_mov_b64_e32 v[14:15], 0
	;; [unrolled: 1-line block ×7, first 2 shown]
	s_branch .LBB128_8
.LBB128_7:                              ;   in Loop: Header=BB128_8 Depth=1
	s_or_b64 exec, exec, s[2:3]
	ds_write_b128 v29, v[0:3]
	s_waitcnt lgkmcnt(0)
	s_barrier
	ds_read_b128 v[0:3], v30
	ds_read_b128 v[36:39], v31
	ds_read_b128 v[40:43], v31 offset:16
	ds_read_b128 v[44:47], v31 offset:32
	;; [unrolled: 1-line block ×4, first 2 shown]
	s_waitcnt lgkmcnt(4)
	v_mul_f64 v[56:57], v[38:39], v[2:3]
	v_fma_f64 v[56:57], v[36:37], v[0:1], -v[56:57]
	v_mul_f64 v[58:59], v[36:37], v[2:3]
	v_fmac_f64_e32 v[58:59], v[38:39], v[0:1]
	v_add_f64 v[56:57], v[20:21], v[56:57]
	s_waitcnt lgkmcnt(0)
	v_mul_f64 v[20:21], v[38:39], v[54:55]
	v_add_f64 v[58:59], v[58:59], v[22:23]
	v_fma_f64 v[60:61], v[36:37], v[52:53], -v[20:21]
	ds_read_b128 v[20:23], v31 offset:2048
	v_mul_f64 v[36:37], v[36:37], v[54:55]
	v_fmac_f64_e32 v[36:37], v[38:39], v[52:53]
	v_add_f64 v[38:39], v[16:17], v[60:61]
	v_add_f64 v[36:37], v[36:37], v[18:19]
	ds_read_b128 v[16:19], v31 offset:2064
	s_waitcnt lgkmcnt(1)
	v_mul_f64 v[60:61], v[22:23], v[2:3]
	v_mul_f64 v[2:3], v[20:21], v[2:3]
	v_fma_f64 v[60:61], v[20:21], v[0:1], -v[60:61]
	v_fmac_f64_e32 v[2:3], v[22:23], v[0:1]
	v_mul_f64 v[0:1], v[22:23], v[54:55]
	v_add_f64 v[12:13], v[12:13], v[60:61]
	v_add_f64 v[14:15], v[2:3], v[14:15]
	v_fma_f64 v[60:61], v[20:21], v[52:53], -v[0:1]
	v_mul_f64 v[20:21], v[20:21], v[54:55]
	ds_read_b128 v[0:3], v30 offset:512
	v_fmac_f64_e32 v[20:21], v[22:23], v[52:53]
	v_add_f64 v[22:23], v[10:11], v[60:61]
	v_add_f64 v[20:21], v[20:21], v[8:9]
	ds_read_b128 v[8:11], v30 offset:768
	s_waitcnt lgkmcnt(1)
	v_mul_f64 v[52:53], v[42:43], v[2:3]
	v_fma_f64 v[52:53], v[40:41], v[0:1], -v[52:53]
	v_add_f64 v[52:53], v[56:57], v[52:53]
	v_mul_f64 v[54:55], v[40:41], v[2:3]
	s_waitcnt lgkmcnt(0)
	v_mul_f64 v[56:57], v[42:43], v[10:11]
	v_fma_f64 v[56:57], v[40:41], v[8:9], -v[56:57]
	v_mul_f64 v[40:41], v[40:41], v[10:11]
	v_fmac_f64_e32 v[40:41], v[42:43], v[8:9]
	v_add_f64 v[36:37], v[40:41], v[36:37]
	v_mul_f64 v[40:41], v[18:19], v[2:3]
	v_mul_f64 v[2:3], v[16:17], v[2:3]
	v_fmac_f64_e32 v[54:55], v[42:43], v[0:1]
	v_fma_f64 v[40:41], v[16:17], v[0:1], -v[40:41]
	v_fmac_f64_e32 v[2:3], v[18:19], v[0:1]
	v_mul_f64 v[0:1], v[18:19], v[10:11]
	v_add_f64 v[40:41], v[12:13], v[40:41]
	v_add_f64 v[42:43], v[2:3], v[14:15]
	v_fma_f64 v[12:13], v[16:17], v[8:9], -v[0:1]
	v_mul_f64 v[10:11], v[16:17], v[10:11]
	ds_read_b128 v[0:3], v30 offset:1024
	v_fmac_f64_e32 v[10:11], v[18:19], v[8:9]
	v_add_f64 v[20:21], v[10:11], v[20:21]
	ds_read_b128 v[8:11], v30 offset:1280
	v_add_f64 v[22:23], v[22:23], v[12:13]
	s_waitcnt lgkmcnt(1)
	v_mul_f64 v[12:13], v[46:47], v[2:3]
	v_fma_f64 v[12:13], v[44:45], v[0:1], -v[12:13]
	v_mul_f64 v[14:15], v[44:45], v[2:3]
	v_add_f64 v[54:55], v[54:55], v[58:59]
	v_fmac_f64_e32 v[14:15], v[46:47], v[0:1]
	v_add_f64 v[52:53], v[52:53], v[12:13]
	s_waitcnt lgkmcnt(0)
	v_mul_f64 v[12:13], v[46:47], v[10:11]
	v_add_f64 v[54:55], v[14:15], v[54:55]
	v_fma_f64 v[16:17], v[44:45], v[8:9], -v[12:13]
	ds_read_b128 v[12:15], v31 offset:2080
	v_mul_f64 v[18:19], v[44:45], v[10:11]
	v_add_f64 v[38:39], v[38:39], v[56:57]
	v_fmac_f64_e32 v[18:19], v[46:47], v[8:9]
	v_add_f64 v[38:39], v[38:39], v[16:17]
	v_add_f64 v[36:37], v[18:19], v[36:37]
	ds_read_b128 v[16:19], v31 offset:2096
	s_waitcnt lgkmcnt(1)
	v_mul_f64 v[44:45], v[14:15], v[2:3]
	v_mul_f64 v[2:3], v[12:13], v[2:3]
	v_fma_f64 v[44:45], v[12:13], v[0:1], -v[44:45]
	v_fmac_f64_e32 v[2:3], v[14:15], v[0:1]
	v_mul_f64 v[0:1], v[14:15], v[10:11]
	v_mul_f64 v[10:11], v[12:13], v[10:11]
	v_fmac_f64_e32 v[10:11], v[14:15], v[8:9]
	v_add_f64 v[40:41], v[40:41], v[44:45]
	v_add_f64 v[42:43], v[2:3], v[42:43]
	v_fma_f64 v[44:45], v[12:13], v[8:9], -v[0:1]
	ds_read_b128 v[0:3], v30 offset:1536
	v_add_f64 v[14:15], v[10:11], v[20:21]
	ds_read_b128 v[8:11], v30 offset:1792
	v_add_f64 v[12:13], v[22:23], v[44:45]
	s_add_i32 s27, s27, 8
	s_waitcnt lgkmcnt(1)
	v_mul_f64 v[20:21], v[50:51], v[2:3]
	v_mul_f64 v[22:23], v[48:49], v[2:3]
	s_waitcnt lgkmcnt(0)
	v_mul_f64 v[44:45], v[50:51], v[10:11]
	v_fma_f64 v[44:45], v[48:49], v[8:9], -v[44:45]
	v_add_f64 v[38:39], v[38:39], v[44:45]
	v_mul_f64 v[44:45], v[18:19], v[2:3]
	v_mul_f64 v[2:3], v[16:17], v[2:3]
	v_fma_f64 v[20:21], v[48:49], v[0:1], -v[20:21]
	v_fmac_f64_e32 v[22:23], v[50:51], v[0:1]
	v_fma_f64 v[44:45], v[16:17], v[0:1], -v[44:45]
	v_fmac_f64_e32 v[2:3], v[18:19], v[0:1]
	v_mul_f64 v[0:1], v[18:19], v[10:11]
	v_mul_f64 v[46:47], v[48:49], v[10:11]
	v_add_f64 v[40:41], v[40:41], v[44:45]
	v_fma_f64 v[44:45], v[16:17], v[8:9], -v[0:1]
	v_mul_f64 v[16:17], v[16:17], v[10:11]
	v_fmac_f64_e32 v[46:47], v[50:51], v[8:9]
	v_add_f64 v[42:43], v[2:3], v[42:43]
	v_fmac_f64_e32 v[16:17], v[18:19], v[8:9]
	ds_read_b128 v[0:3], v31 offset:64
	ds_read_b128 v[8:11], v30 offset:2048
	v_add_f64 v[36:37], v[46:47], v[36:37]
	v_add_f64 v[44:45], v[12:13], v[44:45]
	;; [unrolled: 1-line block ×3, first 2 shown]
	ds_read_b128 v[12:15], v30 offset:2304
	ds_read_b128 v[16:19], v31 offset:80
	s_waitcnt lgkmcnt(2)
	v_mul_f64 v[48:49], v[2:3], v[10:11]
	v_add_f64 v[20:21], v[52:53], v[20:21]
	v_fma_f64 v[48:49], v[0:1], v[8:9], -v[48:49]
	v_mul_f64 v[50:51], v[0:1], v[10:11]
	v_add_f64 v[22:23], v[22:23], v[54:55]
	v_fmac_f64_e32 v[50:51], v[2:3], v[8:9]
	v_add_f64 v[48:49], v[20:21], v[48:49]
	s_waitcnt lgkmcnt(1)
	v_mul_f64 v[20:21], v[2:3], v[14:15]
	v_add_f64 v[50:51], v[50:51], v[22:23]
	v_fma_f64 v[52:53], v[0:1], v[12:13], -v[20:21]
	ds_read_b128 v[20:23], v31 offset:2112
	v_mul_f64 v[0:1], v[0:1], v[14:15]
	v_fmac_f64_e32 v[0:1], v[2:3], v[12:13]
	v_add_f64 v[38:39], v[38:39], v[52:53]
	v_add_f64 v[36:37], v[0:1], v[36:37]
	ds_read_b128 v[0:3], v31 offset:2128
	s_waitcnt lgkmcnt(1)
	v_mul_f64 v[52:53], v[22:23], v[10:11]
	v_mul_f64 v[10:11], v[20:21], v[10:11]
	v_fma_f64 v[52:53], v[20:21], v[8:9], -v[52:53]
	v_fmac_f64_e32 v[10:11], v[22:23], v[8:9]
	v_mul_f64 v[8:9], v[22:23], v[14:15]
	v_add_f64 v[40:41], v[40:41], v[52:53]
	v_add_f64 v[42:43], v[10:11], v[42:43]
	v_fma_f64 v[52:53], v[20:21], v[12:13], -v[8:9]
	v_mul_f64 v[14:15], v[20:21], v[14:15]
	ds_read_b128 v[8:11], v30 offset:2560
	v_fmac_f64_e32 v[14:15], v[22:23], v[12:13]
	v_add_f64 v[22:23], v[14:15], v[46:47]
	ds_read_b128 v[12:15], v30 offset:2816
	v_add_f64 v[20:21], v[44:45], v[52:53]
	s_waitcnt lgkmcnt(1)
	v_mul_f64 v[44:45], v[18:19], v[10:11]
	v_fma_f64 v[44:45], v[16:17], v[8:9], -v[44:45]
	v_add_f64 v[44:45], v[48:49], v[44:45]
	s_waitcnt lgkmcnt(0)
	v_mul_f64 v[48:49], v[18:19], v[14:15]
	v_mul_f64 v[46:47], v[16:17], v[10:11]
	v_fma_f64 v[48:49], v[16:17], v[12:13], -v[48:49]
	v_mul_f64 v[16:17], v[16:17], v[14:15]
	v_fmac_f64_e32 v[16:17], v[18:19], v[12:13]
	v_add_f64 v[36:37], v[16:17], v[36:37]
	v_mul_f64 v[16:17], v[2:3], v[10:11]
	v_mul_f64 v[10:11], v[0:1], v[10:11]
	v_fmac_f64_e32 v[46:47], v[18:19], v[8:9]
	v_fma_f64 v[16:17], v[0:1], v[8:9], -v[16:17]
	v_fmac_f64_e32 v[10:11], v[2:3], v[8:9]
	v_mul_f64 v[8:9], v[2:3], v[14:15]
	v_mul_f64 v[14:15], v[0:1], v[14:15]
	v_add_f64 v[40:41], v[40:41], v[16:17]
	v_add_f64 v[42:43], v[10:11], v[42:43]
	v_fma_f64 v[16:17], v[0:1], v[12:13], -v[8:9]
	v_fmac_f64_e32 v[14:15], v[2:3], v[12:13]
	ds_read_b128 v[0:3], v31 offset:96
	ds_read_b128 v[8:11], v30 offset:3072
	v_add_f64 v[46:47], v[46:47], v[50:51]
	v_add_f64 v[38:39], v[38:39], v[48:49]
	;; [unrolled: 1-line block ×4, first 2 shown]
	ds_read_b128 v[12:15], v30 offset:3328
	ds_read_b128 v[16:19], v31 offset:112
	s_waitcnt lgkmcnt(2)
	v_mul_f64 v[20:21], v[2:3], v[10:11]
	v_fma_f64 v[20:21], v[0:1], v[8:9], -v[20:21]
	v_mul_f64 v[22:23], v[0:1], v[10:11]
	v_fmac_f64_e32 v[22:23], v[2:3], v[8:9]
	v_add_f64 v[44:45], v[44:45], v[20:21]
	s_waitcnt lgkmcnt(1)
	v_mul_f64 v[20:21], v[2:3], v[14:15]
	v_add_f64 v[46:47], v[22:23], v[46:47]
	v_fma_f64 v[52:53], v[0:1], v[12:13], -v[20:21]
	ds_read_b128 v[20:23], v31 offset:2144
	v_mul_f64 v[0:1], v[0:1], v[14:15]
	v_fmac_f64_e32 v[0:1], v[2:3], v[12:13]
	v_add_f64 v[54:55], v[0:1], v[36:37]
	ds_read_b128 v[0:3], v31 offset:2160
	s_waitcnt lgkmcnt(1)
	v_mul_f64 v[36:37], v[22:23], v[10:11]
	v_mul_f64 v[10:11], v[20:21], v[10:11]
	v_fma_f64 v[36:37], v[20:21], v[8:9], -v[36:37]
	v_fmac_f64_e32 v[10:11], v[22:23], v[8:9]
	v_mul_f64 v[8:9], v[22:23], v[14:15]
	v_add_f64 v[40:41], v[40:41], v[36:37]
	v_add_f64 v[42:43], v[10:11], v[42:43]
	v_fma_f64 v[36:37], v[20:21], v[12:13], -v[8:9]
	ds_read_b128 v[8:11], v30 offset:3584
	v_add_f64 v[52:53], v[38:39], v[52:53]
	v_add_f64 v[48:49], v[48:49], v[36:37]
	ds_read_b128 v[36:39], v30 offset:3840
	v_mul_f64 v[14:15], v[20:21], v[14:15]
	v_fmac_f64_e32 v[14:15], v[22:23], v[12:13]
	s_waitcnt lgkmcnt(1)
	v_mul_f64 v[12:13], v[18:19], v[10:11]
	v_fma_f64 v[12:13], v[16:17], v[8:9], -v[12:13]
	v_add_f64 v[50:51], v[14:15], v[50:51]
	v_mul_f64 v[14:15], v[16:17], v[10:11]
	v_add_f64 v[20:21], v[44:45], v[12:13]
	s_waitcnt lgkmcnt(0)
	v_mul_f64 v[12:13], v[18:19], v[38:39]
	v_fmac_f64_e32 v[14:15], v[18:19], v[8:9]
	v_fma_f64 v[12:13], v[16:17], v[36:37], -v[12:13]
	v_add_f64 v[22:23], v[14:15], v[46:47]
	v_mul_f64 v[14:15], v[16:17], v[38:39]
	v_add_f64 v[16:17], v[52:53], v[12:13]
	v_mul_f64 v[12:13], v[2:3], v[10:11]
	v_mul_f64 v[10:11], v[0:1], v[10:11]
	v_fma_f64 v[12:13], v[0:1], v[8:9], -v[12:13]
	v_fmac_f64_e32 v[10:11], v[2:3], v[8:9]
	v_mul_f64 v[8:9], v[2:3], v[38:39]
	v_fma_f64 v[8:9], v[0:1], v[36:37], -v[8:9]
	v_mul_f64 v[0:1], v[0:1], v[38:39]
	v_fmac_f64_e32 v[14:15], v[18:19], v[36:37]
	v_fmac_f64_e32 v[0:1], v[2:3], v[36:37]
	v_add_f64 v[18:19], v[14:15], v[54:55]
	v_add_f64 v[12:13], v[40:41], v[12:13]
	;; [unrolled: 1-line block ×5, first 2 shown]
	v_lshl_add_u64 v[4:5], v[4:5], 0, s[20:21]
	s_cmp_lt_i32 s27, s7
	v_lshl_add_u64 v[6:7], v[6:7], 0, s[8:9]
	s_barrier
	s_cbranch_scc0 .LBB128_14
.LBB128_8:                              ; =>This Inner Loop Header: Depth=1
	v_add_u32_e32 v0, s27, v27
	v_cmp_le_i32_e64 s[2:3], s7, v0
	s_or_b64 s[2:3], s[22:23], s[2:3]
	s_and_saveexec_b64 s[28:29], s[2:3]
	s_xor_b64 s[2:3], exec, s[28:29]
; %bb.9:                                ;   in Loop: Header=BB128_8 Depth=1
	ds_write_b128 v28, v[32:35]
; %bb.10:                               ;   in Loop: Header=BB128_8 Depth=1
	s_andn2_saveexec_b64 s[2:3], s[2:3]
	s_cbranch_execz .LBB128_12
; %bb.11:                               ;   in Loop: Header=BB128_8 Depth=1
	global_load_dwordx4 v[0:3], v[4:5], off
	s_waitcnt vmcnt(0)
	ds_write2_b64 v28, v[0:1], v[2:3] offset1:1
.LBB128_12:                             ;   in Loop: Header=BB128_8 Depth=1
	s_or_b64 exec, exec, s[2:3]
	v_add_u32_e32 v0, s27, v26
	v_cmp_gt_i32_e64 s[2:3], s7, v0
	s_and_b64 s[28:29], s[2:3], vcc
	v_mov_b64_e32 v[0:1], 0
	v_mov_b64_e32 v[2:3], 0
	s_and_saveexec_b64 s[2:3], s[28:29]
	s_cbranch_execz .LBB128_7
; %bb.13:                               ;   in Loop: Header=BB128_8 Depth=1
	global_load_dwordx4 v[0:3], v[6:7], off offset:-8
	s_waitcnt vmcnt(0)
	v_xor_b32_e32 v3, 0x80000000, v3
	s_branch .LBB128_7
.LBB128_14:
	s_load_dwordx2 s[2:3], s[0:1], 0x68
	s_load_dword s7, s[0:1], 0x60
	v_add_u32_e32 v4, s5, v25
	v_add_u32_e32 v26, s26, v24
	v_cmp_le_i32_e32 vcc, v4, v26
	s_waitcnt lgkmcnt(0)
	s_mul_i32 s1, s3, s4
	s_mul_hi_u32 s3, s2, s4
	s_mul_i32 s0, s2, s4
	s_add_i32 s1, s3, s1
	s_lshl_b64 s[0:1], s[0:1], 4
	s_add_u32 s4, s14, s0
	s_addc_u32 s5, s15, s1
	v_cmp_neq_f64_e64 s[0:1], s[10:11], 0
	s_xor_b64 s[8:9], s[24:25], -1
	v_mad_i64_i32 v[0:1], s[14:15], v26, s7, 0
	s_or_b64 s[0:1], s[0:1], s[8:9]
	v_cmp_gt_i32_e64 s[2:3], s6, v26
	v_lshl_add_u64 v[24:25], v[0:1], 4, s[4:5]
	v_cndmask_b32_e64 v0, 0, 1, s[0:1]
	s_and_b64 s[14:15], s[2:3], vcc
	v_ashrrev_i32_e32 v5, 31, v4
	v_cmp_ne_u32_e64 s[0:1], 1, v0
	s_and_saveexec_b64 s[8:9], s[14:15]
	s_cbranch_execz .LBB128_18
; %bb.15:
	v_mul_f64 v[0:1], s[18:19], v[22:23]
	v_mul_f64 v[2:3], s[16:17], v[22:23]
	v_fma_f64 v[0:1], s[16:17], v[20:21], -v[0:1]
	v_fmac_f64_e32 v[2:3], s[18:19], v[20:21]
	s_and_b64 vcc, exec, s[0:1]
	v_lshl_add_u64 v[6:7], v[4:5], 4, v[24:25]
	s_cbranch_vccnz .LBB128_17
; %bb.16:
	global_load_dwordx4 v[20:23], v[6:7], off
	s_waitcnt vmcnt(0)
	v_mul_f64 v[28:29], s[12:13], v[22:23]
	v_mul_f64 v[22:23], s[10:11], v[22:23]
	v_fma_f64 v[28:29], s[10:11], v[20:21], -v[28:29]
	v_fmac_f64_e32 v[22:23], s[12:13], v[20:21]
	v_add_f64 v[0:1], v[0:1], v[28:29]
	v_add_f64 v[2:3], v[2:3], v[22:23]
.LBB128_17:
	global_store_dwordx4 v[6:7], v[0:3], off
.LBB128_18:
	s_or_b64 exec, exec, s[8:9]
	v_add_u32_e32 v6, 16, v4
	v_cmp_le_i32_e32 vcc, v6, v26
	s_and_b64 s[8:9], s[2:3], vcc
	v_ashrrev_i32_e32 v7, 31, v6
	s_and_saveexec_b64 s[2:3], s[8:9]
	s_cbranch_execz .LBB128_22
; %bb.19:
	v_mul_f64 v[0:1], s[18:19], v[18:19]
	v_mul_f64 v[2:3], s[16:17], v[18:19]
	v_fma_f64 v[0:1], s[16:17], v[16:17], -v[0:1]
	v_fmac_f64_e32 v[2:3], s[18:19], v[16:17]
	s_and_b64 vcc, exec, s[0:1]
	v_lshl_add_u64 v[16:17], v[6:7], 4, v[24:25]
	s_cbranch_vccnz .LBB128_21
; %bb.20:
	global_load_dwordx4 v[18:21], v[16:17], off
	s_waitcnt vmcnt(0)
	v_mul_f64 v[22:23], s[12:13], v[20:21]
	v_mul_f64 v[20:21], s[10:11], v[20:21]
	v_fma_f64 v[22:23], s[10:11], v[18:19], -v[22:23]
	v_fmac_f64_e32 v[20:21], s[12:13], v[18:19]
	v_add_f64 v[0:1], v[0:1], v[22:23]
	v_add_f64 v[2:3], v[2:3], v[20:21]
.LBB128_21:
	global_store_dwordx4 v[16:17], v[0:3], off
.LBB128_22:
	s_or_b64 exec, exec, s[2:3]
	v_add_u32_e32 v18, 16, v26
	v_cmp_gt_i32_e64 s[2:3], s6, v18
	v_mad_i64_i32 v[0:1], s[6:7], v18, s7, 0
	v_cmp_le_i32_e32 vcc, v4, v18
	v_lshl_add_u64 v[16:17], v[0:1], 4, s[4:5]
	s_and_b64 s[6:7], s[2:3], vcc
	s_and_saveexec_b64 s[4:5], s[6:7]
	s_cbranch_execz .LBB128_26
; %bb.23:
	v_mul_f64 v[0:1], s[18:19], v[14:15]
	v_mul_f64 v[2:3], s[16:17], v[14:15]
	v_fma_f64 v[0:1], s[16:17], v[12:13], -v[0:1]
	v_fmac_f64_e32 v[2:3], s[18:19], v[12:13]
	s_and_b64 vcc, exec, s[0:1]
	v_lshl_add_u64 v[4:5], v[4:5], 4, v[16:17]
	s_cbranch_vccnz .LBB128_25
; %bb.24:
	global_load_dwordx4 v[12:15], v[4:5], off
	s_waitcnt vmcnt(0)
	v_mul_f64 v[20:21], s[12:13], v[14:15]
	v_mul_f64 v[14:15], s[10:11], v[14:15]
	v_fma_f64 v[20:21], s[10:11], v[12:13], -v[20:21]
	v_fmac_f64_e32 v[14:15], s[12:13], v[12:13]
	v_add_f64 v[0:1], v[0:1], v[20:21]
	v_add_f64 v[2:3], v[2:3], v[14:15]
.LBB128_25:
	global_store_dwordx4 v[4:5], v[0:3], off
.LBB128_26:
	s_or_b64 exec, exec, s[4:5]
	v_cmp_le_i32_e32 vcc, v6, v18
	s_and_b64 s[2:3], s[2:3], vcc
	s_and_saveexec_b64 s[4:5], s[2:3]
	s_cbranch_execz .LBB128_30
; %bb.27:
	v_mul_f64 v[0:1], s[18:19], v[8:9]
	v_mul_f64 v[2:3], s[16:17], v[8:9]
	v_fma_f64 v[0:1], s[16:17], v[10:11], -v[0:1]
	v_fmac_f64_e32 v[2:3], s[18:19], v[10:11]
	s_and_b64 vcc, exec, s[0:1]
	v_lshl_add_u64 v[4:5], v[6:7], 4, v[16:17]
	s_cbranch_vccnz .LBB128_29
; %bb.28:
	global_load_dwordx4 v[6:9], v[4:5], off
	s_waitcnt vmcnt(0)
	v_mul_f64 v[10:11], s[12:13], v[8:9]
	v_mul_f64 v[8:9], s[10:11], v[8:9]
	v_fma_f64 v[10:11], s[10:11], v[6:7], -v[10:11]
	v_fmac_f64_e32 v[8:9], s[12:13], v[6:7]
	v_add_f64 v[0:1], v[0:1], v[10:11]
	v_add_f64 v[2:3], v[2:3], v[8:9]
.LBB128_29:
	global_store_dwordx4 v[4:5], v[0:3], off
.LBB128_30:
	s_endpgm
	.section	.rodata,"a",@progbits
	.p2align	6, 0x0
	.amdhsa_kernel _ZL29rocblas_internal_gemmt_kernelIiLi16ELi32ELi8ELc78ELc67ELc85ELb0ELb1E19rocblas_complex_numIdES1_PKS1_PS1_EviT_T9_T10_S5_lS7_S5_lS6_T11_S5_li
		.amdhsa_group_segment_fixed_size 8192
		.amdhsa_private_segment_fixed_size 0
		.amdhsa_kernarg_size 116
		.amdhsa_user_sgpr_count 2
		.amdhsa_user_sgpr_dispatch_ptr 0
		.amdhsa_user_sgpr_queue_ptr 0
		.amdhsa_user_sgpr_kernarg_segment_ptr 1
		.amdhsa_user_sgpr_dispatch_id 0
		.amdhsa_user_sgpr_kernarg_preload_length 0
		.amdhsa_user_sgpr_kernarg_preload_offset 0
		.amdhsa_user_sgpr_private_segment_size 0
		.amdhsa_uses_dynamic_stack 0
		.amdhsa_enable_private_segment 0
		.amdhsa_system_sgpr_workgroup_id_x 1
		.amdhsa_system_sgpr_workgroup_id_y 1
		.amdhsa_system_sgpr_workgroup_id_z 1
		.amdhsa_system_sgpr_workgroup_info 0
		.amdhsa_system_vgpr_workitem_id 1
		.amdhsa_next_free_vgpr 62
		.amdhsa_next_free_sgpr 38
		.amdhsa_accum_offset 64
		.amdhsa_reserve_vcc 1
		.amdhsa_float_round_mode_32 0
		.amdhsa_float_round_mode_16_64 0
		.amdhsa_float_denorm_mode_32 3
		.amdhsa_float_denorm_mode_16_64 3
		.amdhsa_dx10_clamp 1
		.amdhsa_ieee_mode 1
		.amdhsa_fp16_overflow 0
		.amdhsa_tg_split 0
		.amdhsa_exception_fp_ieee_invalid_op 0
		.amdhsa_exception_fp_denorm_src 0
		.amdhsa_exception_fp_ieee_div_zero 0
		.amdhsa_exception_fp_ieee_overflow 0
		.amdhsa_exception_fp_ieee_underflow 0
		.amdhsa_exception_fp_ieee_inexact 0
		.amdhsa_exception_int_div_zero 0
	.end_amdhsa_kernel
	.section	.text._ZL29rocblas_internal_gemmt_kernelIiLi16ELi32ELi8ELc78ELc67ELc85ELb0ELb1E19rocblas_complex_numIdES1_PKS1_PS1_EviT_T9_T10_S5_lS7_S5_lS6_T11_S5_li,"axG",@progbits,_ZL29rocblas_internal_gemmt_kernelIiLi16ELi32ELi8ELc78ELc67ELc85ELb0ELb1E19rocblas_complex_numIdES1_PKS1_PS1_EviT_T9_T10_S5_lS7_S5_lS6_T11_S5_li,comdat
.Lfunc_end128:
	.size	_ZL29rocblas_internal_gemmt_kernelIiLi16ELi32ELi8ELc78ELc67ELc85ELb0ELb1E19rocblas_complex_numIdES1_PKS1_PS1_EviT_T9_T10_S5_lS7_S5_lS6_T11_S5_li, .Lfunc_end128-_ZL29rocblas_internal_gemmt_kernelIiLi16ELi32ELi8ELc78ELc67ELc85ELb0ELb1E19rocblas_complex_numIdES1_PKS1_PS1_EviT_T9_T10_S5_lS7_S5_lS6_T11_S5_li
                                        ; -- End function
	.set _ZL29rocblas_internal_gemmt_kernelIiLi16ELi32ELi8ELc78ELc67ELc85ELb0ELb1E19rocblas_complex_numIdES1_PKS1_PS1_EviT_T9_T10_S5_lS7_S5_lS6_T11_S5_li.num_vgpr, 62
	.set _ZL29rocblas_internal_gemmt_kernelIiLi16ELi32ELi8ELc78ELc67ELc85ELb0ELb1E19rocblas_complex_numIdES1_PKS1_PS1_EviT_T9_T10_S5_lS7_S5_lS6_T11_S5_li.num_agpr, 0
	.set _ZL29rocblas_internal_gemmt_kernelIiLi16ELi32ELi8ELc78ELc67ELc85ELb0ELb1E19rocblas_complex_numIdES1_PKS1_PS1_EviT_T9_T10_S5_lS7_S5_lS6_T11_S5_li.numbered_sgpr, 38
	.set _ZL29rocblas_internal_gemmt_kernelIiLi16ELi32ELi8ELc78ELc67ELc85ELb0ELb1E19rocblas_complex_numIdES1_PKS1_PS1_EviT_T9_T10_S5_lS7_S5_lS6_T11_S5_li.num_named_barrier, 0
	.set _ZL29rocblas_internal_gemmt_kernelIiLi16ELi32ELi8ELc78ELc67ELc85ELb0ELb1E19rocblas_complex_numIdES1_PKS1_PS1_EviT_T9_T10_S5_lS7_S5_lS6_T11_S5_li.private_seg_size, 0
	.set _ZL29rocblas_internal_gemmt_kernelIiLi16ELi32ELi8ELc78ELc67ELc85ELb0ELb1E19rocblas_complex_numIdES1_PKS1_PS1_EviT_T9_T10_S5_lS7_S5_lS6_T11_S5_li.uses_vcc, 1
	.set _ZL29rocblas_internal_gemmt_kernelIiLi16ELi32ELi8ELc78ELc67ELc85ELb0ELb1E19rocblas_complex_numIdES1_PKS1_PS1_EviT_T9_T10_S5_lS7_S5_lS6_T11_S5_li.uses_flat_scratch, 0
	.set _ZL29rocblas_internal_gemmt_kernelIiLi16ELi32ELi8ELc78ELc67ELc85ELb0ELb1E19rocblas_complex_numIdES1_PKS1_PS1_EviT_T9_T10_S5_lS7_S5_lS6_T11_S5_li.has_dyn_sized_stack, 0
	.set _ZL29rocblas_internal_gemmt_kernelIiLi16ELi32ELi8ELc78ELc67ELc85ELb0ELb1E19rocblas_complex_numIdES1_PKS1_PS1_EviT_T9_T10_S5_lS7_S5_lS6_T11_S5_li.has_recursion, 0
	.set _ZL29rocblas_internal_gemmt_kernelIiLi16ELi32ELi8ELc78ELc67ELc85ELb0ELb1E19rocblas_complex_numIdES1_PKS1_PS1_EviT_T9_T10_S5_lS7_S5_lS6_T11_S5_li.has_indirect_call, 0
	.section	.AMDGPU.csdata,"",@progbits
; Kernel info:
; codeLenInByte = 3116
; TotalNumSgprs: 44
; NumVgprs: 62
; NumAgprs: 0
; TotalNumVgprs: 62
; ScratchSize: 0
; MemoryBound: 1
; FloatMode: 240
; IeeeMode: 1
; LDSByteSize: 8192 bytes/workgroup (compile time only)
; SGPRBlocks: 5
; VGPRBlocks: 7
; NumSGPRsForWavesPerEU: 44
; NumVGPRsForWavesPerEU: 62
; AccumOffset: 64
; Occupancy: 8
; WaveLimiterHint : 0
; COMPUTE_PGM_RSRC2:SCRATCH_EN: 0
; COMPUTE_PGM_RSRC2:USER_SGPR: 2
; COMPUTE_PGM_RSRC2:TRAP_HANDLER: 0
; COMPUTE_PGM_RSRC2:TGID_X_EN: 1
; COMPUTE_PGM_RSRC2:TGID_Y_EN: 1
; COMPUTE_PGM_RSRC2:TGID_Z_EN: 1
; COMPUTE_PGM_RSRC2:TIDIG_COMP_CNT: 1
; COMPUTE_PGM_RSRC3_GFX90A:ACCUM_OFFSET: 15
; COMPUTE_PGM_RSRC3_GFX90A:TG_SPLIT: 0
	.section	.text._ZL29rocblas_internal_gemmt_kernelIiLi16ELi32ELi8ELc84ELc78ELc85ELb0ELb0E19rocblas_complex_numIdES1_PKS1_PS1_EviT_T9_T10_S5_lS7_S5_lS6_T11_S5_li,"axG",@progbits,_ZL29rocblas_internal_gemmt_kernelIiLi16ELi32ELi8ELc84ELc78ELc85ELb0ELb0E19rocblas_complex_numIdES1_PKS1_PS1_EviT_T9_T10_S5_lS7_S5_lS6_T11_S5_li,comdat
	.globl	_ZL29rocblas_internal_gemmt_kernelIiLi16ELi32ELi8ELc84ELc78ELc85ELb0ELb0E19rocblas_complex_numIdES1_PKS1_PS1_EviT_T9_T10_S5_lS7_S5_lS6_T11_S5_li ; -- Begin function _ZL29rocblas_internal_gemmt_kernelIiLi16ELi32ELi8ELc84ELc78ELc85ELb0ELb0E19rocblas_complex_numIdES1_PKS1_PS1_EviT_T9_T10_S5_lS7_S5_lS6_T11_S5_li
	.p2align	8
	.type	_ZL29rocblas_internal_gemmt_kernelIiLi16ELi32ELi8ELc84ELc78ELc85ELb0ELb0E19rocblas_complex_numIdES1_PKS1_PS1_EviT_T9_T10_S5_lS7_S5_lS6_T11_S5_li,@function
_ZL29rocblas_internal_gemmt_kernelIiLi16ELi32ELi8ELc84ELc78ELc85ELb0ELb0E19rocblas_complex_numIdES1_PKS1_PS1_EviT_T9_T10_S5_lS7_S5_lS6_T11_S5_li: ; @_ZL29rocblas_internal_gemmt_kernelIiLi16ELi32ELi8ELc84ELc78ELc85ELb0ELb0E19rocblas_complex_numIdES1_PKS1_PS1_EviT_T9_T10_S5_lS7_S5_lS6_T11_S5_li
; %bb.0:
	s_load_dwordx8 s[8:15], s[0:1], 0x40
	s_load_dwordx2 s[6:7], s[0:1], 0x0
	s_load_dwordx4 s[16:19], s[0:1], 0x8
	s_mov_b64 s[20:21], 0
	s_waitcnt lgkmcnt(0)
	v_cmp_eq_f64_e64 s[22:23], s[10:11], 1.0
	v_cmp_eq_f64_e64 s[24:25], s[12:13], 0
	s_and_b64 s[22:23], s[22:23], s[24:25]
	s_andn2_b64 vcc, exec, s[22:23]
	s_mov_b64 s[22:23], -1
	s_cbranch_vccnz .LBB129_4
; %bb.1:
	s_cmp_lg_u32 s7, 0
	s_cbranch_scc0 .LBB129_3
; %bb.2:
	v_cmp_neq_f64_e64 s[20:21], s[16:17], 0
	v_cmp_neq_f64_e64 s[22:23], s[18:19], 0
	s_or_b64 s[20:21], s[20:21], s[22:23]
.LBB129_3:
	s_mov_b64 s[22:23], s[20:21]
.LBB129_4:
	s_and_b64 vcc, exec, s[22:23]
	s_cbranch_vccz .LBB129_32
; %bb.5:
	s_lshl_b32 s5, s2, 5
	s_lshl_b32 s26, s3, 5
	v_cmp_eq_f64_e64 s[2:3], s[16:17], 0
	v_cmp_eq_f64_e64 s[20:21], s[18:19], 0
	s_and_b64 s[2:3], s[2:3], s[20:21]
	s_cmp_lt_i32 s7, 1
	s_cselect_b64 s[20:21], -1, 0
	s_or_b64 s[2:3], s[2:3], s[20:21]
	v_and_b32_e32 v25, 0x3ff, v0
	v_bfe_u32 v24, v0, 10, 10
	s_mov_b32 s27, 0
	v_mov_b64_e32 v[20:21], 0
	s_and_b64 vcc, exec, s[2:3]
	v_mov_b64_e32 v[22:23], 0
	v_mov_b64_e32 v[16:17], 0
	;; [unrolled: 1-line block ×7, first 2 shown]
	s_cbranch_vccnz .LBB129_16
; %bb.6:
	v_lshl_add_u32 v0, v24, 4, v25
	v_lshrrev_b32_e32 v27, 5, v0
	v_lshrrev_b32_e32 v1, 3, v0
	v_and_b32_e32 v0, 31, v0
	v_or_b32_e32 v2, s5, v0
	v_and_b32_e32 v26, 7, v25
	v_cmp_gt_i32_e32 vcc, s6, v2
	v_lshlrev_b32_e32 v2, 4, v0
	s_load_dwordx2 s[28:29], s[0:1], 0x18
	s_load_dword s30, s[0:1], 0x20
	s_load_dwordx4 s[20:23], s[0:1], 0x28
	s_load_dword s33, s[0:1], 0x38
	v_lshl_or_b32 v28, v27, 9, v2
	v_lshlrev_b32_e32 v2, 4, v26
	v_add_u32_e32 v3, s26, v1
	v_lshl_or_b32 v1, v1, 7, v2
	v_add_u32_e32 v29, 0x1000, v1
	v_mov_b32_e32 v1, 0x1000
	v_add_u32_e32 v0, s5, v0
	v_lshl_add_u32 v31, v24, 7, v1
	s_waitcnt lgkmcnt(0)
	v_mad_i64_i32 v[0:1], s[30:31], s30, v0, 0
	s_mul_i32 s21, s21, s4
	s_mul_hi_u32 s30, s20, s4
	s_add_i32 s21, s30, s21
	s_mul_i32 s20, s20, s4
	s_lshl_b64 s[20:21], s[20:21], 4
	v_lshl_add_u64 v[4:5], v[0:1], 4, s[20:21]
	v_mad_i64_i32 v[6:7], s[20:21], s33, v3, 0
	s_mul_i32 s9, s9, s4
	s_mul_hi_u32 s20, s8, s4
	s_add_i32 s9, s20, s9
	s_mul_i32 s8, s8, s4
	v_mov_b32_e32 v1, 0
	s_lshl_b64 s[8:9], s[8:9], 4
	v_cmp_gt_i32_e64 s[2:3], s6, v3
	v_lshlrev_b32_e32 v0, 4, v27
	v_lshl_add_u64 v[6:7], v[6:7], 4, s[8:9]
	v_mov_b32_e32 v3, v1
	v_lshl_add_u64 v[4:5], v[4:5], 0, v[0:1]
	v_lshl_add_u64 v[2:3], v[6:7], 0, v[2:3]
	v_lshlrev_b32_e32 v30, 4, v25
	v_lshl_add_u64 v[4:5], s[28:29], 0, v[4:5]
	v_lshl_add_u64 v[6:7], s[22:23], 0, v[2:3]
	v_mov_b64_e32 v[8:9], 0
	s_xor_b64 s[8:9], vcc, -1
	s_xor_b64 s[2:3], s[2:3], -1
	s_mov_b64 s[20:21], 0x80
	v_mov_b32_e32 v0, v1
	v_mov_b32_e32 v2, v1
	;; [unrolled: 1-line block ×3, first 2 shown]
	v_mov_b64_e32 v[10:11], 0
	v_mov_b64_e32 v[14:15], 0
	;; [unrolled: 1-line block ×7, first 2 shown]
	s_branch .LBB129_8
.LBB129_7:                              ;   in Loop: Header=BB129_8 Depth=1
	s_or_b64 exec, exec, s[22:23]
	s_waitcnt lgkmcnt(0)
	s_barrier
	ds_read_b128 v[32:35], v30
	ds_read_b128 v[36:39], v31
	ds_read_b128 v[40:43], v31 offset:16
	ds_read_b128 v[44:47], v31 offset:32
	;; [unrolled: 1-line block ×4, first 2 shown]
	s_waitcnt lgkmcnt(4)
	v_mul_f64 v[56:57], v[38:39], v[34:35]
	v_fma_f64 v[56:57], v[36:37], v[32:33], -v[56:57]
	v_mul_f64 v[58:59], v[36:37], v[34:35]
	v_fmac_f64_e32 v[58:59], v[38:39], v[32:33]
	v_add_f64 v[56:57], v[20:21], v[56:57]
	s_waitcnt lgkmcnt(0)
	v_mul_f64 v[20:21], v[38:39], v[54:55]
	v_add_f64 v[58:59], v[58:59], v[22:23]
	v_fma_f64 v[60:61], v[36:37], v[52:53], -v[20:21]
	ds_read_b128 v[20:23], v31 offset:2048
	v_mul_f64 v[36:37], v[36:37], v[54:55]
	v_fmac_f64_e32 v[36:37], v[38:39], v[52:53]
	v_add_f64 v[38:39], v[16:17], v[60:61]
	v_add_f64 v[36:37], v[36:37], v[18:19]
	ds_read_b128 v[16:19], v31 offset:2064
	s_waitcnt lgkmcnt(1)
	v_mul_f64 v[60:61], v[22:23], v[34:35]
	v_fma_f64 v[60:61], v[20:21], v[32:33], -v[60:61]
	v_mul_f64 v[34:35], v[20:21], v[34:35]
	v_fmac_f64_e32 v[34:35], v[22:23], v[32:33]
	v_add_f64 v[32:33], v[12:13], v[60:61]
	v_mul_f64 v[12:13], v[22:23], v[54:55]
	v_add_f64 v[34:35], v[34:35], v[14:15]
	v_fma_f64 v[60:61], v[20:21], v[52:53], -v[12:13]
	v_mul_f64 v[20:21], v[20:21], v[54:55]
	ds_read_b128 v[12:15], v30 offset:512
	v_fmac_f64_e32 v[20:21], v[22:23], v[52:53]
	v_add_f64 v[22:23], v[10:11], v[60:61]
	v_add_f64 v[20:21], v[20:21], v[8:9]
	ds_read_b128 v[8:11], v30 offset:768
	s_waitcnt lgkmcnt(1)
	v_mul_f64 v[52:53], v[42:43], v[14:15]
	v_fma_f64 v[52:53], v[40:41], v[12:13], -v[52:53]
	v_add_f64 v[52:53], v[56:57], v[52:53]
	v_mul_f64 v[54:55], v[40:41], v[14:15]
	s_waitcnt lgkmcnt(0)
	v_mul_f64 v[56:57], v[42:43], v[10:11]
	v_fma_f64 v[56:57], v[40:41], v[8:9], -v[56:57]
	v_mul_f64 v[40:41], v[40:41], v[10:11]
	v_fmac_f64_e32 v[40:41], v[42:43], v[8:9]
	v_add_f64 v[36:37], v[40:41], v[36:37]
	v_mul_f64 v[40:41], v[18:19], v[14:15]
	v_mul_f64 v[14:15], v[16:17], v[14:15]
	v_fmac_f64_e32 v[54:55], v[42:43], v[12:13]
	v_fma_f64 v[40:41], v[16:17], v[12:13], -v[40:41]
	v_fmac_f64_e32 v[14:15], v[18:19], v[12:13]
	v_mul_f64 v[12:13], v[18:19], v[10:11]
	v_add_f64 v[42:43], v[14:15], v[34:35]
	v_fma_f64 v[14:15], v[16:17], v[8:9], -v[12:13]
	v_mul_f64 v[16:17], v[16:17], v[10:11]
	ds_read_b128 v[10:13], v30 offset:1024
	v_fmac_f64_e32 v[16:17], v[18:19], v[8:9]
	v_add_f64 v[38:39], v[38:39], v[56:57]
	v_add_f64 v[22:23], v[22:23], v[14:15]
	;; [unrolled: 1-line block ×3, first 2 shown]
	ds_read_b128 v[14:17], v30 offset:1280
	s_waitcnt lgkmcnt(1)
	v_mul_f64 v[18:19], v[44:45], v[12:13]
	v_add_f64 v[54:55], v[54:55], v[58:59]
	v_fmac_f64_e32 v[18:19], v[46:47], v[10:11]
	v_add_f64 v[54:55], v[18:19], v[54:55]
	ds_read_b128 v[18:21], v31 offset:2080
	v_mul_f64 v[8:9], v[46:47], v[12:13]
	v_fma_f64 v[8:9], v[44:45], v[10:11], -v[8:9]
	v_add_f64 v[40:41], v[32:33], v[40:41]
	v_add_f64 v[52:53], v[52:53], v[8:9]
	s_waitcnt lgkmcnt(1)
	v_mul_f64 v[8:9], v[46:47], v[16:17]
	v_mul_f64 v[32:33], v[44:45], v[16:17]
	v_fma_f64 v[8:9], v[44:45], v[14:15], -v[8:9]
	v_fmac_f64_e32 v[32:33], v[46:47], v[14:15]
	v_add_f64 v[38:39], v[38:39], v[8:9]
	v_add_f64 v[36:37], v[32:33], v[36:37]
	ds_read_b128 v[32:35], v31 offset:2096
	s_waitcnt lgkmcnt(1)
	v_mul_f64 v[8:9], v[20:21], v[12:13]
	v_fma_f64 v[8:9], v[18:19], v[10:11], -v[8:9]
	v_mul_f64 v[12:13], v[18:19], v[12:13]
	v_fmac_f64_e32 v[12:13], v[20:21], v[10:11]
	v_add_f64 v[40:41], v[40:41], v[8:9]
	v_mul_f64 v[8:9], v[20:21], v[16:17]
	v_add_f64 v[42:43], v[12:13], v[42:43]
	v_fma_f64 v[12:13], v[18:19], v[14:15], -v[8:9]
	ds_read_b128 v[8:11], v30 offset:1536
	v_mul_f64 v[16:17], v[18:19], v[16:17]
	v_fmac_f64_e32 v[16:17], v[20:21], v[14:15]
	v_add_f64 v[18:19], v[22:23], v[12:13]
	ds_read_b128 v[12:15], v30 offset:1792
	s_waitcnt lgkmcnt(1)
	v_mul_f64 v[20:21], v[50:51], v[10:11]
	v_fma_f64 v[20:21], v[48:49], v[8:9], -v[20:21]
	v_mul_f64 v[22:23], v[48:49], v[10:11]
	v_fmac_f64_e32 v[22:23], v[50:51], v[8:9]
	v_add_f64 v[44:45], v[52:53], v[20:21]
	s_waitcnt lgkmcnt(0)
	v_mul_f64 v[20:21], v[50:51], v[14:15]
	v_add_f64 v[46:47], v[22:23], v[54:55]
	v_fma_f64 v[20:21], v[48:49], v[12:13], -v[20:21]
	v_mul_f64 v[22:23], v[48:49], v[14:15]
	v_fmac_f64_e32 v[22:23], v[50:51], v[12:13]
	v_add_f64 v[38:39], v[38:39], v[20:21]
	v_mul_f64 v[20:21], v[34:35], v[10:11]
	v_mul_f64 v[10:11], v[32:33], v[10:11]
	v_add_f64 v[36:37], v[22:23], v[36:37]
	v_fma_f64 v[20:21], v[32:33], v[8:9], -v[20:21]
	v_fmac_f64_e32 v[10:11], v[34:35], v[8:9]
	v_mul_f64 v[8:9], v[34:35], v[14:15]
	v_mul_f64 v[22:23], v[32:33], v[14:15]
	v_add_f64 v[40:41], v[40:41], v[20:21]
	v_add_f64 v[42:43], v[10:11], v[42:43]
	v_fma_f64 v[20:21], v[32:33], v[12:13], -v[8:9]
	v_fmac_f64_e32 v[22:23], v[34:35], v[12:13]
	ds_read_b128 v[8:11], v31 offset:64
	ds_read_b128 v[12:15], v30 offset:2048
	v_add_f64 v[16:17], v[16:17], v[56:57]
	v_add_f64 v[48:49], v[18:19], v[20:21]
	;; [unrolled: 1-line block ×3, first 2 shown]
	ds_read_b128 v[16:19], v30 offset:2304
	ds_read_b128 v[20:23], v31 offset:80
	s_waitcnt lgkmcnt(2)
	v_mul_f64 v[32:33], v[10:11], v[14:15]
	v_fma_f64 v[32:33], v[8:9], v[12:13], -v[32:33]
	v_mul_f64 v[34:35], v[8:9], v[14:15]
	v_fmac_f64_e32 v[34:35], v[10:11], v[12:13]
	v_add_f64 v[44:45], v[44:45], v[32:33]
	s_waitcnt lgkmcnt(1)
	v_mul_f64 v[32:33], v[10:11], v[18:19]
	v_add_f64 v[46:47], v[34:35], v[46:47]
	v_fma_f64 v[52:53], v[8:9], v[16:17], -v[32:33]
	ds_read_b128 v[32:35], v31 offset:2112
	v_mul_f64 v[8:9], v[8:9], v[18:19]
	v_fmac_f64_e32 v[8:9], v[10:11], v[16:17]
	v_add_f64 v[38:39], v[38:39], v[52:53]
	v_add_f64 v[36:37], v[8:9], v[36:37]
	ds_read_b128 v[8:11], v31 offset:2128
	s_waitcnt lgkmcnt(1)
	v_mul_f64 v[52:53], v[34:35], v[14:15]
	v_mul_f64 v[14:15], v[32:33], v[14:15]
	v_fma_f64 v[52:53], v[32:33], v[12:13], -v[52:53]
	v_fmac_f64_e32 v[14:15], v[34:35], v[12:13]
	v_mul_f64 v[12:13], v[34:35], v[18:19]
	v_add_f64 v[40:41], v[40:41], v[52:53]
	v_add_f64 v[42:43], v[14:15], v[42:43]
	v_fma_f64 v[52:53], v[32:33], v[16:17], -v[12:13]
	v_mul_f64 v[18:19], v[32:33], v[18:19]
	ds_read_b128 v[12:15], v30 offset:2560
	v_fmac_f64_e32 v[18:19], v[34:35], v[16:17]
	v_add_f64 v[34:35], v[18:19], v[50:51]
	ds_read_b128 v[16:19], v30 offset:2816
	v_add_f64 v[32:33], v[48:49], v[52:53]
	s_waitcnt lgkmcnt(1)
	v_mul_f64 v[48:49], v[22:23], v[14:15]
	v_fma_f64 v[48:49], v[20:21], v[12:13], -v[48:49]
	v_add_f64 v[44:45], v[44:45], v[48:49]
	s_waitcnt lgkmcnt(0)
	v_mul_f64 v[48:49], v[22:23], v[18:19]
	v_mul_f64 v[50:51], v[20:21], v[14:15]
	v_fma_f64 v[48:49], v[20:21], v[16:17], -v[48:49]
	v_mul_f64 v[20:21], v[20:21], v[18:19]
	v_fmac_f64_e32 v[20:21], v[22:23], v[16:17]
	v_add_f64 v[36:37], v[20:21], v[36:37]
	v_mul_f64 v[20:21], v[10:11], v[14:15]
	v_mul_f64 v[14:15], v[8:9], v[14:15]
	v_fmac_f64_e32 v[50:51], v[22:23], v[12:13]
	v_fma_f64 v[20:21], v[8:9], v[12:13], -v[20:21]
	v_fmac_f64_e32 v[14:15], v[10:11], v[12:13]
	v_mul_f64 v[12:13], v[10:11], v[18:19]
	v_mul_f64 v[18:19], v[8:9], v[18:19]
	v_add_f64 v[40:41], v[40:41], v[20:21]
	v_add_f64 v[42:43], v[14:15], v[42:43]
	v_fma_f64 v[20:21], v[8:9], v[16:17], -v[12:13]
	v_fmac_f64_e32 v[18:19], v[10:11], v[16:17]
	ds_read_b128 v[8:11], v31 offset:96
	ds_read_b128 v[12:15], v30 offset:3072
	v_add_f64 v[46:47], v[50:51], v[46:47]
	v_add_f64 v[38:39], v[38:39], v[48:49]
	;; [unrolled: 1-line block ×4, first 2 shown]
	ds_read_b128 v[16:19], v30 offset:3328
	ds_read_b128 v[32:35], v31 offset:112
	s_waitcnt lgkmcnt(2)
	v_mul_f64 v[20:21], v[10:11], v[14:15]
	v_fma_f64 v[20:21], v[8:9], v[12:13], -v[20:21]
	v_mul_f64 v[22:23], v[8:9], v[14:15]
	v_fmac_f64_e32 v[22:23], v[10:11], v[12:13]
	v_add_f64 v[44:45], v[44:45], v[20:21]
	s_waitcnt lgkmcnt(1)
	v_mul_f64 v[20:21], v[10:11], v[18:19]
	v_add_f64 v[46:47], v[22:23], v[46:47]
	v_fma_f64 v[52:53], v[8:9], v[16:17], -v[20:21]
	ds_read_b128 v[20:23], v31 offset:2144
	v_mul_f64 v[8:9], v[8:9], v[18:19]
	v_fmac_f64_e32 v[8:9], v[10:11], v[16:17]
	v_add_f64 v[54:55], v[8:9], v[36:37]
	ds_read_b128 v[8:11], v31 offset:2160
	s_waitcnt lgkmcnt(1)
	v_mul_f64 v[36:37], v[22:23], v[14:15]
	v_mul_f64 v[14:15], v[20:21], v[14:15]
	v_fma_f64 v[36:37], v[20:21], v[12:13], -v[36:37]
	v_fmac_f64_e32 v[14:15], v[22:23], v[12:13]
	v_mul_f64 v[12:13], v[22:23], v[18:19]
	v_add_f64 v[40:41], v[40:41], v[36:37]
	v_add_f64 v[42:43], v[14:15], v[42:43]
	v_fma_f64 v[36:37], v[20:21], v[16:17], -v[12:13]
	ds_read_b128 v[12:15], v30 offset:3584
	v_add_f64 v[52:53], v[38:39], v[52:53]
	v_add_f64 v[48:49], v[48:49], v[36:37]
	ds_read_b128 v[36:39], v30 offset:3840
	v_mul_f64 v[18:19], v[20:21], v[18:19]
	v_fmac_f64_e32 v[18:19], v[22:23], v[16:17]
	s_waitcnt lgkmcnt(1)
	v_mul_f64 v[16:17], v[34:35], v[14:15]
	v_add_f64 v[50:51], v[18:19], v[50:51]
	v_fma_f64 v[16:17], v[32:33], v[12:13], -v[16:17]
	v_mul_f64 v[18:19], v[32:33], v[14:15]
	v_fmac_f64_e32 v[18:19], v[34:35], v[12:13]
	v_add_f64 v[20:21], v[44:45], v[16:17]
	s_waitcnt lgkmcnt(0)
	v_mul_f64 v[16:17], v[34:35], v[38:39]
	v_add_f64 v[22:23], v[18:19], v[46:47]
	v_fma_f64 v[16:17], v[32:33], v[36:37], -v[16:17]
	v_mul_f64 v[18:19], v[32:33], v[38:39]
	v_mul_f64 v[32:33], v[10:11], v[14:15]
	v_fma_f64 v[32:33], v[8:9], v[12:13], -v[32:33]
	v_mul_f64 v[14:15], v[8:9], v[14:15]
	v_fmac_f64_e32 v[14:15], v[10:11], v[12:13]
	v_add_f64 v[12:13], v[40:41], v[32:33]
	v_mul_f64 v[32:33], v[10:11], v[38:39]
	v_fma_f64 v[32:33], v[8:9], v[36:37], -v[32:33]
	v_mul_f64 v[8:9], v[8:9], v[38:39]
	v_fmac_f64_e32 v[18:19], v[34:35], v[36:37]
	v_fmac_f64_e32 v[8:9], v[10:11], v[36:37]
	s_add_i32 s27, s27, 8
	v_add_f64 v[16:17], v[52:53], v[16:17]
	v_add_f64 v[18:19], v[18:19], v[54:55]
	;; [unrolled: 1-line block ×5, first 2 shown]
	v_lshl_add_u64 v[4:5], v[4:5], 0, s[20:21]
	s_cmp_lt_i32 s27, s7
	v_lshl_add_u64 v[6:7], v[6:7], 0, s[20:21]
	s_barrier
	s_cbranch_scc0 .LBB129_16
.LBB129_8:                              ; =>This Inner Loop Header: Depth=1
	v_add_u32_e32 v32, s27, v27
	v_cmp_le_i32_e32 vcc, s7, v32
	s_or_b64 s[22:23], s[8:9], vcc
	s_and_saveexec_b64 s[28:29], s[22:23]
	s_xor_b64 s[22:23], exec, s[28:29]
; %bb.9:                                ;   in Loop: Header=BB129_8 Depth=1
	ds_write_b128 v28, v[0:3]
; %bb.10:                               ;   in Loop: Header=BB129_8 Depth=1
	s_andn2_saveexec_b64 s[22:23], s[22:23]
	s_cbranch_execz .LBB129_12
; %bb.11:                               ;   in Loop: Header=BB129_8 Depth=1
	global_load_dwordx4 v[32:35], v[4:5], off
	s_waitcnt vmcnt(0)
	ds_write2_b64 v28, v[32:33], v[34:35] offset1:1
.LBB129_12:                             ;   in Loop: Header=BB129_8 Depth=1
	s_or_b64 exec, exec, s[22:23]
	v_add_u32_e32 v32, s27, v26
	v_cmp_le_i32_e32 vcc, s7, v32
	s_or_b64 s[22:23], vcc, s[2:3]
	s_and_saveexec_b64 s[28:29], s[22:23]
	s_xor_b64 s[22:23], exec, s[28:29]
; %bb.13:                               ;   in Loop: Header=BB129_8 Depth=1
	ds_write_b128 v29, v[0:3]
; %bb.14:                               ;   in Loop: Header=BB129_8 Depth=1
	s_andn2_saveexec_b64 s[22:23], s[22:23]
	s_cbranch_execz .LBB129_7
; %bb.15:                               ;   in Loop: Header=BB129_8 Depth=1
	global_load_dwordx4 v[32:35], v[6:7], off
	s_waitcnt vmcnt(0)
	ds_write2_b64 v29, v[32:33], v[34:35] offset1:1
	s_branch .LBB129_7
.LBB129_16:
	s_load_dwordx2 s[2:3], s[0:1], 0x68
	s_load_dword s7, s[0:1], 0x60
	v_add_u32_e32 v4, s5, v25
	v_add_u32_e32 v26, s26, v24
	v_cmp_le_i32_e32 vcc, v4, v26
	s_waitcnt lgkmcnt(0)
	s_mul_i32 s1, s3, s4
	s_mul_hi_u32 s3, s2, s4
	s_mul_i32 s0, s2, s4
	s_add_i32 s1, s3, s1
	s_lshl_b64 s[0:1], s[0:1], 4
	s_add_u32 s4, s14, s0
	s_addc_u32 s5, s15, s1
	v_cmp_neq_f64_e64 s[0:1], s[10:11], 0
	s_xor_b64 s[8:9], s[24:25], -1
	v_mad_i64_i32 v[0:1], s[14:15], v26, s7, 0
	s_or_b64 s[0:1], s[0:1], s[8:9]
	v_cmp_gt_i32_e64 s[2:3], s6, v26
	v_lshl_add_u64 v[24:25], v[0:1], 4, s[4:5]
	v_cndmask_b32_e64 v0, 0, 1, s[0:1]
	s_and_b64 s[14:15], s[2:3], vcc
	v_ashrrev_i32_e32 v5, 31, v4
	v_cmp_ne_u32_e64 s[0:1], 1, v0
	s_and_saveexec_b64 s[8:9], s[14:15]
	s_cbranch_execz .LBB129_20
; %bb.17:
	v_mul_f64 v[0:1], s[18:19], v[22:23]
	v_mul_f64 v[2:3], s[16:17], v[22:23]
	v_fma_f64 v[0:1], s[16:17], v[20:21], -v[0:1]
	v_fmac_f64_e32 v[2:3], s[18:19], v[20:21]
	s_and_b64 vcc, exec, s[0:1]
	v_lshl_add_u64 v[6:7], v[4:5], 4, v[24:25]
	s_cbranch_vccnz .LBB129_19
; %bb.18:
	global_load_dwordx4 v[20:23], v[6:7], off
	s_waitcnt vmcnt(0)
	v_mul_f64 v[28:29], s[12:13], v[22:23]
	v_mul_f64 v[22:23], s[10:11], v[22:23]
	v_fma_f64 v[28:29], s[10:11], v[20:21], -v[28:29]
	v_fmac_f64_e32 v[22:23], s[12:13], v[20:21]
	v_add_f64 v[0:1], v[0:1], v[28:29]
	v_add_f64 v[2:3], v[2:3], v[22:23]
.LBB129_19:
	global_store_dwordx4 v[6:7], v[0:3], off
.LBB129_20:
	s_or_b64 exec, exec, s[8:9]
	v_add_u32_e32 v6, 16, v4
	v_cmp_le_i32_e32 vcc, v6, v26
	s_and_b64 s[8:9], s[2:3], vcc
	v_ashrrev_i32_e32 v7, 31, v6
	s_and_saveexec_b64 s[2:3], s[8:9]
	s_cbranch_execz .LBB129_24
; %bb.21:
	v_mul_f64 v[0:1], s[18:19], v[18:19]
	v_mul_f64 v[2:3], s[16:17], v[18:19]
	v_fma_f64 v[0:1], s[16:17], v[16:17], -v[0:1]
	v_fmac_f64_e32 v[2:3], s[18:19], v[16:17]
	s_and_b64 vcc, exec, s[0:1]
	v_lshl_add_u64 v[16:17], v[6:7], 4, v[24:25]
	s_cbranch_vccnz .LBB129_23
; %bb.22:
	global_load_dwordx4 v[18:21], v[16:17], off
	s_waitcnt vmcnt(0)
	v_mul_f64 v[22:23], s[12:13], v[20:21]
	v_mul_f64 v[20:21], s[10:11], v[20:21]
	v_fma_f64 v[22:23], s[10:11], v[18:19], -v[22:23]
	v_fmac_f64_e32 v[20:21], s[12:13], v[18:19]
	v_add_f64 v[0:1], v[0:1], v[22:23]
	v_add_f64 v[2:3], v[2:3], v[20:21]
.LBB129_23:
	global_store_dwordx4 v[16:17], v[0:3], off
.LBB129_24:
	s_or_b64 exec, exec, s[2:3]
	v_add_u32_e32 v18, 16, v26
	v_cmp_gt_i32_e64 s[2:3], s6, v18
	v_mad_i64_i32 v[0:1], s[6:7], v18, s7, 0
	v_cmp_le_i32_e32 vcc, v4, v18
	v_lshl_add_u64 v[16:17], v[0:1], 4, s[4:5]
	s_and_b64 s[6:7], s[2:3], vcc
	s_and_saveexec_b64 s[4:5], s[6:7]
	s_cbranch_execz .LBB129_28
; %bb.25:
	v_mul_f64 v[0:1], s[18:19], v[14:15]
	v_mul_f64 v[2:3], s[16:17], v[14:15]
	v_fma_f64 v[0:1], s[16:17], v[12:13], -v[0:1]
	v_fmac_f64_e32 v[2:3], s[18:19], v[12:13]
	s_and_b64 vcc, exec, s[0:1]
	v_lshl_add_u64 v[4:5], v[4:5], 4, v[16:17]
	s_cbranch_vccnz .LBB129_27
; %bb.26:
	global_load_dwordx4 v[12:15], v[4:5], off
	s_waitcnt vmcnt(0)
	v_mul_f64 v[20:21], s[12:13], v[14:15]
	v_mul_f64 v[14:15], s[10:11], v[14:15]
	v_fma_f64 v[20:21], s[10:11], v[12:13], -v[20:21]
	v_fmac_f64_e32 v[14:15], s[12:13], v[12:13]
	v_add_f64 v[0:1], v[0:1], v[20:21]
	v_add_f64 v[2:3], v[2:3], v[14:15]
.LBB129_27:
	global_store_dwordx4 v[4:5], v[0:3], off
.LBB129_28:
	s_or_b64 exec, exec, s[4:5]
	v_cmp_le_i32_e32 vcc, v6, v18
	s_and_b64 s[2:3], s[2:3], vcc
	s_and_saveexec_b64 s[4:5], s[2:3]
	s_cbranch_execz .LBB129_32
; %bb.29:
	v_mul_f64 v[0:1], s[18:19], v[8:9]
	v_mul_f64 v[2:3], s[16:17], v[8:9]
	v_fma_f64 v[0:1], s[16:17], v[10:11], -v[0:1]
	v_fmac_f64_e32 v[2:3], s[18:19], v[10:11]
	s_and_b64 vcc, exec, s[0:1]
	v_lshl_add_u64 v[4:5], v[6:7], 4, v[16:17]
	s_cbranch_vccnz .LBB129_31
; %bb.30:
	global_load_dwordx4 v[6:9], v[4:5], off
	s_waitcnt vmcnt(0)
	v_mul_f64 v[10:11], s[12:13], v[8:9]
	v_mul_f64 v[8:9], s[10:11], v[8:9]
	v_fma_f64 v[10:11], s[10:11], v[6:7], -v[10:11]
	v_fmac_f64_e32 v[8:9], s[12:13], v[6:7]
	v_add_f64 v[0:1], v[0:1], v[10:11]
	v_add_f64 v[2:3], v[2:3], v[8:9]
.LBB129_31:
	global_store_dwordx4 v[4:5], v[0:3], off
.LBB129_32:
	s_endpgm
	.section	.rodata,"a",@progbits
	.p2align	6, 0x0
	.amdhsa_kernel _ZL29rocblas_internal_gemmt_kernelIiLi16ELi32ELi8ELc84ELc78ELc85ELb0ELb0E19rocblas_complex_numIdES1_PKS1_PS1_EviT_T9_T10_S5_lS7_S5_lS6_T11_S5_li
		.amdhsa_group_segment_fixed_size 8192
		.amdhsa_private_segment_fixed_size 0
		.amdhsa_kernarg_size 116
		.amdhsa_user_sgpr_count 2
		.amdhsa_user_sgpr_dispatch_ptr 0
		.amdhsa_user_sgpr_queue_ptr 0
		.amdhsa_user_sgpr_kernarg_segment_ptr 1
		.amdhsa_user_sgpr_dispatch_id 0
		.amdhsa_user_sgpr_kernarg_preload_length 0
		.amdhsa_user_sgpr_kernarg_preload_offset 0
		.amdhsa_user_sgpr_private_segment_size 0
		.amdhsa_uses_dynamic_stack 0
		.amdhsa_enable_private_segment 0
		.amdhsa_system_sgpr_workgroup_id_x 1
		.amdhsa_system_sgpr_workgroup_id_y 1
		.amdhsa_system_sgpr_workgroup_id_z 1
		.amdhsa_system_sgpr_workgroup_info 0
		.amdhsa_system_vgpr_workitem_id 1
		.amdhsa_next_free_vgpr 62
		.amdhsa_next_free_sgpr 34
		.amdhsa_accum_offset 64
		.amdhsa_reserve_vcc 1
		.amdhsa_float_round_mode_32 0
		.amdhsa_float_round_mode_16_64 0
		.amdhsa_float_denorm_mode_32 3
		.amdhsa_float_denorm_mode_16_64 3
		.amdhsa_dx10_clamp 1
		.amdhsa_ieee_mode 1
		.amdhsa_fp16_overflow 0
		.amdhsa_tg_split 0
		.amdhsa_exception_fp_ieee_invalid_op 0
		.amdhsa_exception_fp_denorm_src 0
		.amdhsa_exception_fp_ieee_div_zero 0
		.amdhsa_exception_fp_ieee_overflow 0
		.amdhsa_exception_fp_ieee_underflow 0
		.amdhsa_exception_fp_ieee_inexact 0
		.amdhsa_exception_int_div_zero 0
	.end_amdhsa_kernel
	.section	.text._ZL29rocblas_internal_gemmt_kernelIiLi16ELi32ELi8ELc84ELc78ELc85ELb0ELb0E19rocblas_complex_numIdES1_PKS1_PS1_EviT_T9_T10_S5_lS7_S5_lS6_T11_S5_li,"axG",@progbits,_ZL29rocblas_internal_gemmt_kernelIiLi16ELi32ELi8ELc84ELc78ELc85ELb0ELb0E19rocblas_complex_numIdES1_PKS1_PS1_EviT_T9_T10_S5_lS7_S5_lS6_T11_S5_li,comdat
.Lfunc_end129:
	.size	_ZL29rocblas_internal_gemmt_kernelIiLi16ELi32ELi8ELc84ELc78ELc85ELb0ELb0E19rocblas_complex_numIdES1_PKS1_PS1_EviT_T9_T10_S5_lS7_S5_lS6_T11_S5_li, .Lfunc_end129-_ZL29rocblas_internal_gemmt_kernelIiLi16ELi32ELi8ELc84ELc78ELc85ELb0ELb0E19rocblas_complex_numIdES1_PKS1_PS1_EviT_T9_T10_S5_lS7_S5_lS6_T11_S5_li
                                        ; -- End function
	.set _ZL29rocblas_internal_gemmt_kernelIiLi16ELi32ELi8ELc84ELc78ELc85ELb0ELb0E19rocblas_complex_numIdES1_PKS1_PS1_EviT_T9_T10_S5_lS7_S5_lS6_T11_S5_li.num_vgpr, 62
	.set _ZL29rocblas_internal_gemmt_kernelIiLi16ELi32ELi8ELc84ELc78ELc85ELb0ELb0E19rocblas_complex_numIdES1_PKS1_PS1_EviT_T9_T10_S5_lS7_S5_lS6_T11_S5_li.num_agpr, 0
	.set _ZL29rocblas_internal_gemmt_kernelIiLi16ELi32ELi8ELc84ELc78ELc85ELb0ELb0E19rocblas_complex_numIdES1_PKS1_PS1_EviT_T9_T10_S5_lS7_S5_lS6_T11_S5_li.numbered_sgpr, 34
	.set _ZL29rocblas_internal_gemmt_kernelIiLi16ELi32ELi8ELc84ELc78ELc85ELb0ELb0E19rocblas_complex_numIdES1_PKS1_PS1_EviT_T9_T10_S5_lS7_S5_lS6_T11_S5_li.num_named_barrier, 0
	.set _ZL29rocblas_internal_gemmt_kernelIiLi16ELi32ELi8ELc84ELc78ELc85ELb0ELb0E19rocblas_complex_numIdES1_PKS1_PS1_EviT_T9_T10_S5_lS7_S5_lS6_T11_S5_li.private_seg_size, 0
	.set _ZL29rocblas_internal_gemmt_kernelIiLi16ELi32ELi8ELc84ELc78ELc85ELb0ELb0E19rocblas_complex_numIdES1_PKS1_PS1_EviT_T9_T10_S5_lS7_S5_lS6_T11_S5_li.uses_vcc, 1
	.set _ZL29rocblas_internal_gemmt_kernelIiLi16ELi32ELi8ELc84ELc78ELc85ELb0ELb0E19rocblas_complex_numIdES1_PKS1_PS1_EviT_T9_T10_S5_lS7_S5_lS6_T11_S5_li.uses_flat_scratch, 0
	.set _ZL29rocblas_internal_gemmt_kernelIiLi16ELi32ELi8ELc84ELc78ELc85ELb0ELb0E19rocblas_complex_numIdES1_PKS1_PS1_EviT_T9_T10_S5_lS7_S5_lS6_T11_S5_li.has_dyn_sized_stack, 0
	.set _ZL29rocblas_internal_gemmt_kernelIiLi16ELi32ELi8ELc84ELc78ELc85ELb0ELb0E19rocblas_complex_numIdES1_PKS1_PS1_EviT_T9_T10_S5_lS7_S5_lS6_T11_S5_li.has_recursion, 0
	.set _ZL29rocblas_internal_gemmt_kernelIiLi16ELi32ELi8ELc84ELc78ELc85ELb0ELb0E19rocblas_complex_numIdES1_PKS1_PS1_EviT_T9_T10_S5_lS7_S5_lS6_T11_S5_li.has_indirect_call, 0
	.section	.AMDGPU.csdata,"",@progbits
; Kernel info:
; codeLenInByte = 3092
; TotalNumSgprs: 40
; NumVgprs: 62
; NumAgprs: 0
; TotalNumVgprs: 62
; ScratchSize: 0
; MemoryBound: 0
; FloatMode: 240
; IeeeMode: 1
; LDSByteSize: 8192 bytes/workgroup (compile time only)
; SGPRBlocks: 4
; VGPRBlocks: 7
; NumSGPRsForWavesPerEU: 40
; NumVGPRsForWavesPerEU: 62
; AccumOffset: 64
; Occupancy: 8
; WaveLimiterHint : 0
; COMPUTE_PGM_RSRC2:SCRATCH_EN: 0
; COMPUTE_PGM_RSRC2:USER_SGPR: 2
; COMPUTE_PGM_RSRC2:TRAP_HANDLER: 0
; COMPUTE_PGM_RSRC2:TGID_X_EN: 1
; COMPUTE_PGM_RSRC2:TGID_Y_EN: 1
; COMPUTE_PGM_RSRC2:TGID_Z_EN: 1
; COMPUTE_PGM_RSRC2:TIDIG_COMP_CNT: 1
; COMPUTE_PGM_RSRC3_GFX90A:ACCUM_OFFSET: 15
; COMPUTE_PGM_RSRC3_GFX90A:TG_SPLIT: 0
	.section	.text._ZL29rocblas_internal_gemmt_kernelIiLi16ELi32ELi8ELc84ELc84ELc85ELb0ELb0E19rocblas_complex_numIdES1_PKS1_PS1_EviT_T9_T10_S5_lS7_S5_lS6_T11_S5_li,"axG",@progbits,_ZL29rocblas_internal_gemmt_kernelIiLi16ELi32ELi8ELc84ELc84ELc85ELb0ELb0E19rocblas_complex_numIdES1_PKS1_PS1_EviT_T9_T10_S5_lS7_S5_lS6_T11_S5_li,comdat
	.globl	_ZL29rocblas_internal_gemmt_kernelIiLi16ELi32ELi8ELc84ELc84ELc85ELb0ELb0E19rocblas_complex_numIdES1_PKS1_PS1_EviT_T9_T10_S5_lS7_S5_lS6_T11_S5_li ; -- Begin function _ZL29rocblas_internal_gemmt_kernelIiLi16ELi32ELi8ELc84ELc84ELc85ELb0ELb0E19rocblas_complex_numIdES1_PKS1_PS1_EviT_T9_T10_S5_lS7_S5_lS6_T11_S5_li
	.p2align	8
	.type	_ZL29rocblas_internal_gemmt_kernelIiLi16ELi32ELi8ELc84ELc84ELc85ELb0ELb0E19rocblas_complex_numIdES1_PKS1_PS1_EviT_T9_T10_S5_lS7_S5_lS6_T11_S5_li,@function
_ZL29rocblas_internal_gemmt_kernelIiLi16ELi32ELi8ELc84ELc84ELc85ELb0ELb0E19rocblas_complex_numIdES1_PKS1_PS1_EviT_T9_T10_S5_lS7_S5_lS6_T11_S5_li: ; @_ZL29rocblas_internal_gemmt_kernelIiLi16ELi32ELi8ELc84ELc84ELc85ELb0ELb0E19rocblas_complex_numIdES1_PKS1_PS1_EviT_T9_T10_S5_lS7_S5_lS6_T11_S5_li
; %bb.0:
	s_load_dwordx8 s[8:15], s[0:1], 0x40
	s_load_dwordx2 s[6:7], s[0:1], 0x0
	s_load_dwordx4 s[16:19], s[0:1], 0x8
	s_mov_b64 s[20:21], 0
	s_waitcnt lgkmcnt(0)
	v_cmp_eq_f64_e64 s[22:23], s[10:11], 1.0
	v_cmp_eq_f64_e64 s[24:25], s[12:13], 0
	s_and_b64 s[22:23], s[22:23], s[24:25]
	s_andn2_b64 vcc, exec, s[22:23]
	s_mov_b64 s[22:23], -1
	s_cbranch_vccnz .LBB130_4
; %bb.1:
	s_cmp_lg_u32 s7, 0
	s_cbranch_scc0 .LBB130_3
; %bb.2:
	v_cmp_neq_f64_e64 s[20:21], s[16:17], 0
	v_cmp_neq_f64_e64 s[22:23], s[18:19], 0
	s_or_b64 s[20:21], s[20:21], s[22:23]
.LBB130_3:
	s_mov_b64 s[22:23], s[20:21]
.LBB130_4:
	s_and_b64 vcc, exec, s[22:23]
	s_cbranch_vccz .LBB130_32
; %bb.5:
	s_lshl_b32 s5, s2, 5
	s_lshl_b32 s28, s3, 5
	v_cmp_eq_f64_e64 s[2:3], s[16:17], 0
	v_cmp_eq_f64_e64 s[20:21], s[18:19], 0
	s_and_b64 s[2:3], s[2:3], s[20:21]
	s_cmp_lt_i32 s7, 1
	s_cselect_b64 s[20:21], -1, 0
	s_or_b64 s[2:3], s[2:3], s[20:21]
	v_and_b32_e32 v25, 0x3ff, v0
	v_bfe_u32 v24, v0, 10, 10
	s_mov_b32 s29, 0
	v_mov_b64_e32 v[20:21], 0
	s_and_b64 vcc, exec, s[2:3]
	v_mov_b64_e32 v[22:23], 0
	v_mov_b64_e32 v[16:17], 0
	;; [unrolled: 1-line block ×7, first 2 shown]
	s_cbranch_vccnz .LBB130_16
; %bb.6:
	v_lshl_add_u32 v0, v24, 4, v25
	v_lshrrev_b32_e32 v27, 5, v0
	v_lshrrev_b32_e32 v1, 3, v0
	v_and_b32_e32 v0, 31, v0
	s_load_dwordx4 s[20:23], s[0:1], 0x28
	s_load_dword s26, s[0:1], 0x38
	s_load_dwordx2 s[30:31], s[0:1], 0x18
	s_load_dword s33, s[0:1], 0x20
	v_or_b32_e32 v3, s5, v0
	v_and_b32_e32 v26, 7, v25
	v_cmp_gt_i32_e32 vcc, s6, v3
	v_lshlrev_b32_e32 v3, 4, v0
	v_lshl_or_b32 v28, v27, 9, v3
	v_lshlrev_b32_e32 v3, 4, v26
	v_add_u32_e32 v2, s28, v1
	v_lshl_or_b32 v1, v1, 7, v3
	v_add_u32_e32 v29, 0x1000, v1
	v_mov_b32_e32 v1, 0x1000
	v_add_u32_e32 v0, s5, v0
	v_lshl_add_u32 v31, v24, 7, v1
	s_waitcnt lgkmcnt(0)
	v_mad_i64_i32 v[0:1], s[34:35], s33, v0, 0
	s_mul_i32 s21, s21, s4
	s_mul_hi_u32 s33, s20, s4
	s_add_i32 s21, s33, s21
	s_mul_i32 s20, s20, s4
	s_lshl_b64 s[20:21], s[20:21], 4
	v_lshl_add_u64 v[4:5], v[0:1], 4, s[20:21]
	s_mul_i32 s9, s9, s4
	s_mul_hi_u32 s20, s8, s4
	s_add_i32 s9, s20, s9
	v_mad_i64_i32 v[6:7], s[20:21], s26, v26, 0
	s_mul_i32 s8, s8, s4
	v_lshlrev_b64 v[6:7], 4, v[6:7]
	v_ashrrev_i32_e32 v3, 31, v2
	v_lshlrev_b32_e32 v0, 4, v27
	v_mov_b32_e32 v1, 0
	v_lshl_add_u64 v[6:7], s[8:9], 4, v[6:7]
	s_ashr_i32 s27, s26, 31
	v_cmp_gt_i32_e64 s[2:3], s6, v2
	v_lshl_add_u64 v[4:5], v[4:5], 0, v[0:1]
	v_lshl_add_u64 v[2:3], v[2:3], 4, v[6:7]
	v_lshlrev_b32_e32 v30, 4, v25
	v_lshl_add_u64 v[4:5], s[30:31], 0, v[4:5]
	v_lshl_add_u64 v[6:7], s[22:23], 0, v[2:3]
	s_lshl_b64 s[8:9], s[26:27], 7
	v_mov_b64_e32 v[8:9], 0
	s_xor_b64 s[20:21], vcc, -1
	s_xor_b64 s[2:3], s[2:3], -1
	s_mov_b64 s[22:23], 0x80
	v_mov_b32_e32 v0, v1
	v_mov_b32_e32 v2, v1
	;; [unrolled: 1-line block ×3, first 2 shown]
	v_mov_b64_e32 v[10:11], 0
	v_mov_b64_e32 v[14:15], 0
	;; [unrolled: 1-line block ×7, first 2 shown]
	s_branch .LBB130_8
.LBB130_7:                              ;   in Loop: Header=BB130_8 Depth=1
	s_or_b64 exec, exec, s[26:27]
	s_waitcnt lgkmcnt(0)
	s_barrier
	ds_read_b128 v[32:35], v30
	ds_read_b128 v[36:39], v31
	ds_read_b128 v[40:43], v31 offset:16
	ds_read_b128 v[44:47], v31 offset:32
	;; [unrolled: 1-line block ×4, first 2 shown]
	s_waitcnt lgkmcnt(4)
	v_mul_f64 v[56:57], v[38:39], v[34:35]
	v_fma_f64 v[56:57], v[36:37], v[32:33], -v[56:57]
	v_mul_f64 v[58:59], v[36:37], v[34:35]
	v_fmac_f64_e32 v[58:59], v[38:39], v[32:33]
	v_add_f64 v[56:57], v[20:21], v[56:57]
	s_waitcnt lgkmcnt(0)
	v_mul_f64 v[20:21], v[38:39], v[54:55]
	v_add_f64 v[58:59], v[58:59], v[22:23]
	v_fma_f64 v[60:61], v[36:37], v[52:53], -v[20:21]
	ds_read_b128 v[20:23], v31 offset:2048
	v_mul_f64 v[36:37], v[36:37], v[54:55]
	v_fmac_f64_e32 v[36:37], v[38:39], v[52:53]
	v_add_f64 v[38:39], v[16:17], v[60:61]
	v_add_f64 v[36:37], v[36:37], v[18:19]
	ds_read_b128 v[16:19], v31 offset:2064
	s_waitcnt lgkmcnt(1)
	v_mul_f64 v[60:61], v[22:23], v[34:35]
	v_fma_f64 v[60:61], v[20:21], v[32:33], -v[60:61]
	v_mul_f64 v[34:35], v[20:21], v[34:35]
	v_fmac_f64_e32 v[34:35], v[22:23], v[32:33]
	v_add_f64 v[32:33], v[12:13], v[60:61]
	v_mul_f64 v[12:13], v[22:23], v[54:55]
	v_add_f64 v[34:35], v[34:35], v[14:15]
	v_fma_f64 v[60:61], v[20:21], v[52:53], -v[12:13]
	v_mul_f64 v[20:21], v[20:21], v[54:55]
	ds_read_b128 v[12:15], v30 offset:512
	v_fmac_f64_e32 v[20:21], v[22:23], v[52:53]
	v_add_f64 v[22:23], v[10:11], v[60:61]
	v_add_f64 v[20:21], v[20:21], v[8:9]
	ds_read_b128 v[8:11], v30 offset:768
	s_waitcnt lgkmcnt(1)
	v_mul_f64 v[52:53], v[42:43], v[14:15]
	v_fma_f64 v[52:53], v[40:41], v[12:13], -v[52:53]
	v_add_f64 v[52:53], v[56:57], v[52:53]
	v_mul_f64 v[54:55], v[40:41], v[14:15]
	s_waitcnt lgkmcnt(0)
	v_mul_f64 v[56:57], v[42:43], v[10:11]
	v_fma_f64 v[56:57], v[40:41], v[8:9], -v[56:57]
	v_mul_f64 v[40:41], v[40:41], v[10:11]
	v_fmac_f64_e32 v[40:41], v[42:43], v[8:9]
	v_add_f64 v[36:37], v[40:41], v[36:37]
	v_mul_f64 v[40:41], v[18:19], v[14:15]
	v_mul_f64 v[14:15], v[16:17], v[14:15]
	v_fmac_f64_e32 v[54:55], v[42:43], v[12:13]
	v_fma_f64 v[40:41], v[16:17], v[12:13], -v[40:41]
	v_fmac_f64_e32 v[14:15], v[18:19], v[12:13]
	v_mul_f64 v[12:13], v[18:19], v[10:11]
	v_add_f64 v[42:43], v[14:15], v[34:35]
	v_fma_f64 v[14:15], v[16:17], v[8:9], -v[12:13]
	v_mul_f64 v[16:17], v[16:17], v[10:11]
	ds_read_b128 v[10:13], v30 offset:1024
	v_fmac_f64_e32 v[16:17], v[18:19], v[8:9]
	v_add_f64 v[38:39], v[38:39], v[56:57]
	v_add_f64 v[22:23], v[22:23], v[14:15]
	;; [unrolled: 1-line block ×3, first 2 shown]
	ds_read_b128 v[14:17], v30 offset:1280
	s_waitcnt lgkmcnt(1)
	v_mul_f64 v[18:19], v[44:45], v[12:13]
	v_add_f64 v[54:55], v[54:55], v[58:59]
	v_fmac_f64_e32 v[18:19], v[46:47], v[10:11]
	v_add_f64 v[54:55], v[18:19], v[54:55]
	ds_read_b128 v[18:21], v31 offset:2080
	v_mul_f64 v[8:9], v[46:47], v[12:13]
	v_fma_f64 v[8:9], v[44:45], v[10:11], -v[8:9]
	v_add_f64 v[40:41], v[32:33], v[40:41]
	v_add_f64 v[52:53], v[52:53], v[8:9]
	s_waitcnt lgkmcnt(1)
	v_mul_f64 v[8:9], v[46:47], v[16:17]
	v_mul_f64 v[32:33], v[44:45], v[16:17]
	v_fma_f64 v[8:9], v[44:45], v[14:15], -v[8:9]
	v_fmac_f64_e32 v[32:33], v[46:47], v[14:15]
	v_add_f64 v[38:39], v[38:39], v[8:9]
	v_add_f64 v[36:37], v[32:33], v[36:37]
	ds_read_b128 v[32:35], v31 offset:2096
	s_waitcnt lgkmcnt(1)
	v_mul_f64 v[8:9], v[20:21], v[12:13]
	v_fma_f64 v[8:9], v[18:19], v[10:11], -v[8:9]
	v_mul_f64 v[12:13], v[18:19], v[12:13]
	v_fmac_f64_e32 v[12:13], v[20:21], v[10:11]
	v_add_f64 v[40:41], v[40:41], v[8:9]
	v_mul_f64 v[8:9], v[20:21], v[16:17]
	v_add_f64 v[42:43], v[12:13], v[42:43]
	v_fma_f64 v[12:13], v[18:19], v[14:15], -v[8:9]
	ds_read_b128 v[8:11], v30 offset:1536
	v_mul_f64 v[16:17], v[18:19], v[16:17]
	v_fmac_f64_e32 v[16:17], v[20:21], v[14:15]
	v_add_f64 v[18:19], v[22:23], v[12:13]
	ds_read_b128 v[12:15], v30 offset:1792
	s_waitcnt lgkmcnt(1)
	v_mul_f64 v[20:21], v[50:51], v[10:11]
	v_fma_f64 v[20:21], v[48:49], v[8:9], -v[20:21]
	v_mul_f64 v[22:23], v[48:49], v[10:11]
	v_fmac_f64_e32 v[22:23], v[50:51], v[8:9]
	v_add_f64 v[44:45], v[52:53], v[20:21]
	s_waitcnt lgkmcnt(0)
	v_mul_f64 v[20:21], v[50:51], v[14:15]
	v_add_f64 v[46:47], v[22:23], v[54:55]
	v_fma_f64 v[20:21], v[48:49], v[12:13], -v[20:21]
	v_mul_f64 v[22:23], v[48:49], v[14:15]
	v_fmac_f64_e32 v[22:23], v[50:51], v[12:13]
	v_add_f64 v[38:39], v[38:39], v[20:21]
	v_mul_f64 v[20:21], v[34:35], v[10:11]
	v_mul_f64 v[10:11], v[32:33], v[10:11]
	v_add_f64 v[36:37], v[22:23], v[36:37]
	v_fma_f64 v[20:21], v[32:33], v[8:9], -v[20:21]
	v_fmac_f64_e32 v[10:11], v[34:35], v[8:9]
	v_mul_f64 v[8:9], v[34:35], v[14:15]
	v_mul_f64 v[22:23], v[32:33], v[14:15]
	v_add_f64 v[40:41], v[40:41], v[20:21]
	v_add_f64 v[42:43], v[10:11], v[42:43]
	v_fma_f64 v[20:21], v[32:33], v[12:13], -v[8:9]
	v_fmac_f64_e32 v[22:23], v[34:35], v[12:13]
	ds_read_b128 v[8:11], v31 offset:64
	ds_read_b128 v[12:15], v30 offset:2048
	v_add_f64 v[16:17], v[16:17], v[56:57]
	v_add_f64 v[48:49], v[18:19], v[20:21]
	;; [unrolled: 1-line block ×3, first 2 shown]
	ds_read_b128 v[16:19], v30 offset:2304
	ds_read_b128 v[20:23], v31 offset:80
	s_waitcnt lgkmcnt(2)
	v_mul_f64 v[32:33], v[10:11], v[14:15]
	v_fma_f64 v[32:33], v[8:9], v[12:13], -v[32:33]
	v_mul_f64 v[34:35], v[8:9], v[14:15]
	v_fmac_f64_e32 v[34:35], v[10:11], v[12:13]
	v_add_f64 v[44:45], v[44:45], v[32:33]
	s_waitcnt lgkmcnt(1)
	v_mul_f64 v[32:33], v[10:11], v[18:19]
	v_add_f64 v[46:47], v[34:35], v[46:47]
	v_fma_f64 v[52:53], v[8:9], v[16:17], -v[32:33]
	ds_read_b128 v[32:35], v31 offset:2112
	v_mul_f64 v[8:9], v[8:9], v[18:19]
	v_fmac_f64_e32 v[8:9], v[10:11], v[16:17]
	v_add_f64 v[38:39], v[38:39], v[52:53]
	v_add_f64 v[36:37], v[8:9], v[36:37]
	ds_read_b128 v[8:11], v31 offset:2128
	s_waitcnt lgkmcnt(1)
	v_mul_f64 v[52:53], v[34:35], v[14:15]
	v_mul_f64 v[14:15], v[32:33], v[14:15]
	v_fma_f64 v[52:53], v[32:33], v[12:13], -v[52:53]
	v_fmac_f64_e32 v[14:15], v[34:35], v[12:13]
	v_mul_f64 v[12:13], v[34:35], v[18:19]
	v_add_f64 v[40:41], v[40:41], v[52:53]
	v_add_f64 v[42:43], v[14:15], v[42:43]
	v_fma_f64 v[52:53], v[32:33], v[16:17], -v[12:13]
	v_mul_f64 v[18:19], v[32:33], v[18:19]
	ds_read_b128 v[12:15], v30 offset:2560
	v_fmac_f64_e32 v[18:19], v[34:35], v[16:17]
	v_add_f64 v[34:35], v[18:19], v[50:51]
	ds_read_b128 v[16:19], v30 offset:2816
	v_add_f64 v[32:33], v[48:49], v[52:53]
	s_waitcnt lgkmcnt(1)
	v_mul_f64 v[48:49], v[22:23], v[14:15]
	v_fma_f64 v[48:49], v[20:21], v[12:13], -v[48:49]
	v_add_f64 v[44:45], v[44:45], v[48:49]
	s_waitcnt lgkmcnt(0)
	v_mul_f64 v[48:49], v[22:23], v[18:19]
	v_mul_f64 v[50:51], v[20:21], v[14:15]
	v_fma_f64 v[48:49], v[20:21], v[16:17], -v[48:49]
	v_mul_f64 v[20:21], v[20:21], v[18:19]
	v_fmac_f64_e32 v[20:21], v[22:23], v[16:17]
	v_add_f64 v[36:37], v[20:21], v[36:37]
	v_mul_f64 v[20:21], v[10:11], v[14:15]
	v_mul_f64 v[14:15], v[8:9], v[14:15]
	v_fmac_f64_e32 v[50:51], v[22:23], v[12:13]
	v_fma_f64 v[20:21], v[8:9], v[12:13], -v[20:21]
	v_fmac_f64_e32 v[14:15], v[10:11], v[12:13]
	v_mul_f64 v[12:13], v[10:11], v[18:19]
	v_mul_f64 v[18:19], v[8:9], v[18:19]
	v_add_f64 v[40:41], v[40:41], v[20:21]
	v_add_f64 v[42:43], v[14:15], v[42:43]
	v_fma_f64 v[20:21], v[8:9], v[16:17], -v[12:13]
	v_fmac_f64_e32 v[18:19], v[10:11], v[16:17]
	ds_read_b128 v[8:11], v31 offset:96
	ds_read_b128 v[12:15], v30 offset:3072
	v_add_f64 v[46:47], v[50:51], v[46:47]
	v_add_f64 v[38:39], v[38:39], v[48:49]
	;; [unrolled: 1-line block ×4, first 2 shown]
	ds_read_b128 v[16:19], v30 offset:3328
	ds_read_b128 v[32:35], v31 offset:112
	s_waitcnt lgkmcnt(2)
	v_mul_f64 v[20:21], v[10:11], v[14:15]
	v_fma_f64 v[20:21], v[8:9], v[12:13], -v[20:21]
	v_mul_f64 v[22:23], v[8:9], v[14:15]
	v_fmac_f64_e32 v[22:23], v[10:11], v[12:13]
	v_add_f64 v[44:45], v[44:45], v[20:21]
	s_waitcnt lgkmcnt(1)
	v_mul_f64 v[20:21], v[10:11], v[18:19]
	v_add_f64 v[46:47], v[22:23], v[46:47]
	v_fma_f64 v[52:53], v[8:9], v[16:17], -v[20:21]
	ds_read_b128 v[20:23], v31 offset:2144
	v_mul_f64 v[8:9], v[8:9], v[18:19]
	v_fmac_f64_e32 v[8:9], v[10:11], v[16:17]
	v_add_f64 v[54:55], v[8:9], v[36:37]
	ds_read_b128 v[8:11], v31 offset:2160
	s_waitcnt lgkmcnt(1)
	v_mul_f64 v[36:37], v[22:23], v[14:15]
	v_mul_f64 v[14:15], v[20:21], v[14:15]
	v_fma_f64 v[36:37], v[20:21], v[12:13], -v[36:37]
	v_fmac_f64_e32 v[14:15], v[22:23], v[12:13]
	v_mul_f64 v[12:13], v[22:23], v[18:19]
	v_add_f64 v[40:41], v[40:41], v[36:37]
	v_add_f64 v[42:43], v[14:15], v[42:43]
	v_fma_f64 v[36:37], v[20:21], v[16:17], -v[12:13]
	ds_read_b128 v[12:15], v30 offset:3584
	v_add_f64 v[52:53], v[38:39], v[52:53]
	v_add_f64 v[48:49], v[48:49], v[36:37]
	ds_read_b128 v[36:39], v30 offset:3840
	v_mul_f64 v[18:19], v[20:21], v[18:19]
	v_fmac_f64_e32 v[18:19], v[22:23], v[16:17]
	s_waitcnt lgkmcnt(1)
	v_mul_f64 v[16:17], v[34:35], v[14:15]
	v_add_f64 v[50:51], v[18:19], v[50:51]
	v_fma_f64 v[16:17], v[32:33], v[12:13], -v[16:17]
	v_mul_f64 v[18:19], v[32:33], v[14:15]
	v_fmac_f64_e32 v[18:19], v[34:35], v[12:13]
	v_add_f64 v[20:21], v[44:45], v[16:17]
	s_waitcnt lgkmcnt(0)
	v_mul_f64 v[16:17], v[34:35], v[38:39]
	v_add_f64 v[22:23], v[18:19], v[46:47]
	v_fma_f64 v[16:17], v[32:33], v[36:37], -v[16:17]
	v_mul_f64 v[18:19], v[32:33], v[38:39]
	v_mul_f64 v[32:33], v[10:11], v[14:15]
	v_fma_f64 v[32:33], v[8:9], v[12:13], -v[32:33]
	v_mul_f64 v[14:15], v[8:9], v[14:15]
	v_fmac_f64_e32 v[14:15], v[10:11], v[12:13]
	v_add_f64 v[12:13], v[40:41], v[32:33]
	v_mul_f64 v[32:33], v[10:11], v[38:39]
	v_fma_f64 v[32:33], v[8:9], v[36:37], -v[32:33]
	v_mul_f64 v[8:9], v[8:9], v[38:39]
	v_fmac_f64_e32 v[18:19], v[34:35], v[36:37]
	v_fmac_f64_e32 v[8:9], v[10:11], v[36:37]
	s_add_i32 s29, s29, 8
	v_add_f64 v[16:17], v[52:53], v[16:17]
	v_add_f64 v[18:19], v[18:19], v[54:55]
	;; [unrolled: 1-line block ×5, first 2 shown]
	v_lshl_add_u64 v[4:5], v[4:5], 0, s[22:23]
	s_cmp_lt_i32 s29, s7
	v_lshl_add_u64 v[6:7], v[6:7], 0, s[8:9]
	s_barrier
	s_cbranch_scc0 .LBB130_16
.LBB130_8:                              ; =>This Inner Loop Header: Depth=1
	v_add_u32_e32 v32, s29, v27
	v_cmp_le_i32_e32 vcc, s7, v32
	s_or_b64 s[26:27], s[20:21], vcc
	s_and_saveexec_b64 s[30:31], s[26:27]
	s_xor_b64 s[26:27], exec, s[30:31]
; %bb.9:                                ;   in Loop: Header=BB130_8 Depth=1
	ds_write_b128 v28, v[0:3]
; %bb.10:                               ;   in Loop: Header=BB130_8 Depth=1
	s_andn2_saveexec_b64 s[26:27], s[26:27]
	s_cbranch_execz .LBB130_12
; %bb.11:                               ;   in Loop: Header=BB130_8 Depth=1
	global_load_dwordx4 v[32:35], v[4:5], off
	s_waitcnt vmcnt(0)
	ds_write2_b64 v28, v[32:33], v[34:35] offset1:1
.LBB130_12:                             ;   in Loop: Header=BB130_8 Depth=1
	s_or_b64 exec, exec, s[26:27]
	v_add_u32_e32 v32, s29, v26
	v_cmp_le_i32_e32 vcc, s7, v32
	s_or_b64 s[26:27], vcc, s[2:3]
	s_and_saveexec_b64 s[30:31], s[26:27]
	s_xor_b64 s[26:27], exec, s[30:31]
; %bb.13:                               ;   in Loop: Header=BB130_8 Depth=1
	ds_write_b128 v29, v[0:3]
; %bb.14:                               ;   in Loop: Header=BB130_8 Depth=1
	s_andn2_saveexec_b64 s[26:27], s[26:27]
	s_cbranch_execz .LBB130_7
; %bb.15:                               ;   in Loop: Header=BB130_8 Depth=1
	global_load_dwordx4 v[32:35], v[6:7], off
	s_waitcnt vmcnt(0)
	ds_write2_b64 v29, v[32:33], v[34:35] offset1:1
	s_branch .LBB130_7
.LBB130_16:
	s_load_dwordx2 s[2:3], s[0:1], 0x68
	s_load_dword s7, s[0:1], 0x60
	v_add_u32_e32 v4, s5, v25
	v_add_u32_e32 v26, s28, v24
	v_cmp_le_i32_e32 vcc, v4, v26
	s_waitcnt lgkmcnt(0)
	s_mul_i32 s1, s3, s4
	s_mul_hi_u32 s3, s2, s4
	s_mul_i32 s0, s2, s4
	s_add_i32 s1, s3, s1
	s_lshl_b64 s[0:1], s[0:1], 4
	s_add_u32 s4, s14, s0
	s_addc_u32 s5, s15, s1
	v_cmp_neq_f64_e64 s[0:1], s[10:11], 0
	s_xor_b64 s[8:9], s[24:25], -1
	v_mad_i64_i32 v[0:1], s[14:15], v26, s7, 0
	s_or_b64 s[0:1], s[0:1], s[8:9]
	v_cmp_gt_i32_e64 s[2:3], s6, v26
	v_lshl_add_u64 v[24:25], v[0:1], 4, s[4:5]
	v_cndmask_b32_e64 v0, 0, 1, s[0:1]
	s_and_b64 s[14:15], s[2:3], vcc
	v_ashrrev_i32_e32 v5, 31, v4
	v_cmp_ne_u32_e64 s[0:1], 1, v0
	s_and_saveexec_b64 s[8:9], s[14:15]
	s_cbranch_execz .LBB130_20
; %bb.17:
	v_mul_f64 v[0:1], s[18:19], v[22:23]
	v_mul_f64 v[2:3], s[16:17], v[22:23]
	v_fma_f64 v[0:1], s[16:17], v[20:21], -v[0:1]
	v_fmac_f64_e32 v[2:3], s[18:19], v[20:21]
	s_and_b64 vcc, exec, s[0:1]
	v_lshl_add_u64 v[6:7], v[4:5], 4, v[24:25]
	s_cbranch_vccnz .LBB130_19
; %bb.18:
	global_load_dwordx4 v[20:23], v[6:7], off
	s_waitcnt vmcnt(0)
	v_mul_f64 v[28:29], s[12:13], v[22:23]
	v_mul_f64 v[22:23], s[10:11], v[22:23]
	v_fma_f64 v[28:29], s[10:11], v[20:21], -v[28:29]
	v_fmac_f64_e32 v[22:23], s[12:13], v[20:21]
	v_add_f64 v[0:1], v[0:1], v[28:29]
	v_add_f64 v[2:3], v[2:3], v[22:23]
.LBB130_19:
	global_store_dwordx4 v[6:7], v[0:3], off
.LBB130_20:
	s_or_b64 exec, exec, s[8:9]
	v_add_u32_e32 v6, 16, v4
	v_cmp_le_i32_e32 vcc, v6, v26
	s_and_b64 s[8:9], s[2:3], vcc
	v_ashrrev_i32_e32 v7, 31, v6
	s_and_saveexec_b64 s[2:3], s[8:9]
	s_cbranch_execz .LBB130_24
; %bb.21:
	v_mul_f64 v[0:1], s[18:19], v[18:19]
	v_mul_f64 v[2:3], s[16:17], v[18:19]
	v_fma_f64 v[0:1], s[16:17], v[16:17], -v[0:1]
	v_fmac_f64_e32 v[2:3], s[18:19], v[16:17]
	s_and_b64 vcc, exec, s[0:1]
	v_lshl_add_u64 v[16:17], v[6:7], 4, v[24:25]
	s_cbranch_vccnz .LBB130_23
; %bb.22:
	global_load_dwordx4 v[18:21], v[16:17], off
	s_waitcnt vmcnt(0)
	v_mul_f64 v[22:23], s[12:13], v[20:21]
	v_mul_f64 v[20:21], s[10:11], v[20:21]
	v_fma_f64 v[22:23], s[10:11], v[18:19], -v[22:23]
	v_fmac_f64_e32 v[20:21], s[12:13], v[18:19]
	v_add_f64 v[0:1], v[0:1], v[22:23]
	v_add_f64 v[2:3], v[2:3], v[20:21]
.LBB130_23:
	global_store_dwordx4 v[16:17], v[0:3], off
.LBB130_24:
	s_or_b64 exec, exec, s[2:3]
	v_add_u32_e32 v18, 16, v26
	v_cmp_gt_i32_e64 s[2:3], s6, v18
	v_mad_i64_i32 v[0:1], s[6:7], v18, s7, 0
	v_cmp_le_i32_e32 vcc, v4, v18
	v_lshl_add_u64 v[16:17], v[0:1], 4, s[4:5]
	s_and_b64 s[6:7], s[2:3], vcc
	s_and_saveexec_b64 s[4:5], s[6:7]
	s_cbranch_execz .LBB130_28
; %bb.25:
	v_mul_f64 v[0:1], s[18:19], v[14:15]
	v_mul_f64 v[2:3], s[16:17], v[14:15]
	v_fma_f64 v[0:1], s[16:17], v[12:13], -v[0:1]
	v_fmac_f64_e32 v[2:3], s[18:19], v[12:13]
	s_and_b64 vcc, exec, s[0:1]
	v_lshl_add_u64 v[4:5], v[4:5], 4, v[16:17]
	s_cbranch_vccnz .LBB130_27
; %bb.26:
	global_load_dwordx4 v[12:15], v[4:5], off
	s_waitcnt vmcnt(0)
	v_mul_f64 v[20:21], s[12:13], v[14:15]
	v_mul_f64 v[14:15], s[10:11], v[14:15]
	v_fma_f64 v[20:21], s[10:11], v[12:13], -v[20:21]
	v_fmac_f64_e32 v[14:15], s[12:13], v[12:13]
	v_add_f64 v[0:1], v[0:1], v[20:21]
	v_add_f64 v[2:3], v[2:3], v[14:15]
.LBB130_27:
	global_store_dwordx4 v[4:5], v[0:3], off
.LBB130_28:
	s_or_b64 exec, exec, s[4:5]
	v_cmp_le_i32_e32 vcc, v6, v18
	s_and_b64 s[2:3], s[2:3], vcc
	s_and_saveexec_b64 s[4:5], s[2:3]
	s_cbranch_execz .LBB130_32
; %bb.29:
	v_mul_f64 v[0:1], s[18:19], v[8:9]
	v_mul_f64 v[2:3], s[16:17], v[8:9]
	v_fma_f64 v[0:1], s[16:17], v[10:11], -v[0:1]
	v_fmac_f64_e32 v[2:3], s[18:19], v[10:11]
	s_and_b64 vcc, exec, s[0:1]
	v_lshl_add_u64 v[4:5], v[6:7], 4, v[16:17]
	s_cbranch_vccnz .LBB130_31
; %bb.30:
	global_load_dwordx4 v[6:9], v[4:5], off
	s_waitcnt vmcnt(0)
	v_mul_f64 v[10:11], s[12:13], v[8:9]
	v_mul_f64 v[8:9], s[10:11], v[8:9]
	v_fma_f64 v[10:11], s[10:11], v[6:7], -v[10:11]
	v_fmac_f64_e32 v[8:9], s[12:13], v[6:7]
	v_add_f64 v[0:1], v[0:1], v[10:11]
	v_add_f64 v[2:3], v[2:3], v[8:9]
.LBB130_31:
	global_store_dwordx4 v[4:5], v[0:3], off
.LBB130_32:
	s_endpgm
	.section	.rodata,"a",@progbits
	.p2align	6, 0x0
	.amdhsa_kernel _ZL29rocblas_internal_gemmt_kernelIiLi16ELi32ELi8ELc84ELc84ELc85ELb0ELb0E19rocblas_complex_numIdES1_PKS1_PS1_EviT_T9_T10_S5_lS7_S5_lS6_T11_S5_li
		.amdhsa_group_segment_fixed_size 8192
		.amdhsa_private_segment_fixed_size 0
		.amdhsa_kernarg_size 116
		.amdhsa_user_sgpr_count 2
		.amdhsa_user_sgpr_dispatch_ptr 0
		.amdhsa_user_sgpr_queue_ptr 0
		.amdhsa_user_sgpr_kernarg_segment_ptr 1
		.amdhsa_user_sgpr_dispatch_id 0
		.amdhsa_user_sgpr_kernarg_preload_length 0
		.amdhsa_user_sgpr_kernarg_preload_offset 0
		.amdhsa_user_sgpr_private_segment_size 0
		.amdhsa_uses_dynamic_stack 0
		.amdhsa_enable_private_segment 0
		.amdhsa_system_sgpr_workgroup_id_x 1
		.amdhsa_system_sgpr_workgroup_id_y 1
		.amdhsa_system_sgpr_workgroup_id_z 1
		.amdhsa_system_sgpr_workgroup_info 0
		.amdhsa_system_vgpr_workitem_id 1
		.amdhsa_next_free_vgpr 62
		.amdhsa_next_free_sgpr 36
		.amdhsa_accum_offset 64
		.amdhsa_reserve_vcc 1
		.amdhsa_float_round_mode_32 0
		.amdhsa_float_round_mode_16_64 0
		.amdhsa_float_denorm_mode_32 3
		.amdhsa_float_denorm_mode_16_64 3
		.amdhsa_dx10_clamp 1
		.amdhsa_ieee_mode 1
		.amdhsa_fp16_overflow 0
		.amdhsa_tg_split 0
		.amdhsa_exception_fp_ieee_invalid_op 0
		.amdhsa_exception_fp_denorm_src 0
		.amdhsa_exception_fp_ieee_div_zero 0
		.amdhsa_exception_fp_ieee_overflow 0
		.amdhsa_exception_fp_ieee_underflow 0
		.amdhsa_exception_fp_ieee_inexact 0
		.amdhsa_exception_int_div_zero 0
	.end_amdhsa_kernel
	.section	.text._ZL29rocblas_internal_gemmt_kernelIiLi16ELi32ELi8ELc84ELc84ELc85ELb0ELb0E19rocblas_complex_numIdES1_PKS1_PS1_EviT_T9_T10_S5_lS7_S5_lS6_T11_S5_li,"axG",@progbits,_ZL29rocblas_internal_gemmt_kernelIiLi16ELi32ELi8ELc84ELc84ELc85ELb0ELb0E19rocblas_complex_numIdES1_PKS1_PS1_EviT_T9_T10_S5_lS7_S5_lS6_T11_S5_li,comdat
.Lfunc_end130:
	.size	_ZL29rocblas_internal_gemmt_kernelIiLi16ELi32ELi8ELc84ELc84ELc85ELb0ELb0E19rocblas_complex_numIdES1_PKS1_PS1_EviT_T9_T10_S5_lS7_S5_lS6_T11_S5_li, .Lfunc_end130-_ZL29rocblas_internal_gemmt_kernelIiLi16ELi32ELi8ELc84ELc84ELc85ELb0ELb0E19rocblas_complex_numIdES1_PKS1_PS1_EviT_T9_T10_S5_lS7_S5_lS6_T11_S5_li
                                        ; -- End function
	.set _ZL29rocblas_internal_gemmt_kernelIiLi16ELi32ELi8ELc84ELc84ELc85ELb0ELb0E19rocblas_complex_numIdES1_PKS1_PS1_EviT_T9_T10_S5_lS7_S5_lS6_T11_S5_li.num_vgpr, 62
	.set _ZL29rocblas_internal_gemmt_kernelIiLi16ELi32ELi8ELc84ELc84ELc85ELb0ELb0E19rocblas_complex_numIdES1_PKS1_PS1_EviT_T9_T10_S5_lS7_S5_lS6_T11_S5_li.num_agpr, 0
	.set _ZL29rocblas_internal_gemmt_kernelIiLi16ELi32ELi8ELc84ELc84ELc85ELb0ELb0E19rocblas_complex_numIdES1_PKS1_PS1_EviT_T9_T10_S5_lS7_S5_lS6_T11_S5_li.numbered_sgpr, 36
	.set _ZL29rocblas_internal_gemmt_kernelIiLi16ELi32ELi8ELc84ELc84ELc85ELb0ELb0E19rocblas_complex_numIdES1_PKS1_PS1_EviT_T9_T10_S5_lS7_S5_lS6_T11_S5_li.num_named_barrier, 0
	.set _ZL29rocblas_internal_gemmt_kernelIiLi16ELi32ELi8ELc84ELc84ELc85ELb0ELb0E19rocblas_complex_numIdES1_PKS1_PS1_EviT_T9_T10_S5_lS7_S5_lS6_T11_S5_li.private_seg_size, 0
	.set _ZL29rocblas_internal_gemmt_kernelIiLi16ELi32ELi8ELc84ELc84ELc85ELb0ELb0E19rocblas_complex_numIdES1_PKS1_PS1_EviT_T9_T10_S5_lS7_S5_lS6_T11_S5_li.uses_vcc, 1
	.set _ZL29rocblas_internal_gemmt_kernelIiLi16ELi32ELi8ELc84ELc84ELc85ELb0ELb0E19rocblas_complex_numIdES1_PKS1_PS1_EviT_T9_T10_S5_lS7_S5_lS6_T11_S5_li.uses_flat_scratch, 0
	.set _ZL29rocblas_internal_gemmt_kernelIiLi16ELi32ELi8ELc84ELc84ELc85ELb0ELb0E19rocblas_complex_numIdES1_PKS1_PS1_EviT_T9_T10_S5_lS7_S5_lS6_T11_S5_li.has_dyn_sized_stack, 0
	.set _ZL29rocblas_internal_gemmt_kernelIiLi16ELi32ELi8ELc84ELc84ELc85ELb0ELb0E19rocblas_complex_numIdES1_PKS1_PS1_EviT_T9_T10_S5_lS7_S5_lS6_T11_S5_li.has_recursion, 0
	.set _ZL29rocblas_internal_gemmt_kernelIiLi16ELi32ELi8ELc84ELc84ELc85ELb0ELb0E19rocblas_complex_numIdES1_PKS1_PS1_EviT_T9_T10_S5_lS7_S5_lS6_T11_S5_li.has_indirect_call, 0
	.section	.AMDGPU.csdata,"",@progbits
; Kernel info:
; codeLenInByte = 3104
; TotalNumSgprs: 42
; NumVgprs: 62
; NumAgprs: 0
; TotalNumVgprs: 62
; ScratchSize: 0
; MemoryBound: 0
; FloatMode: 240
; IeeeMode: 1
; LDSByteSize: 8192 bytes/workgroup (compile time only)
; SGPRBlocks: 5
; VGPRBlocks: 7
; NumSGPRsForWavesPerEU: 42
; NumVGPRsForWavesPerEU: 62
; AccumOffset: 64
; Occupancy: 8
; WaveLimiterHint : 0
; COMPUTE_PGM_RSRC2:SCRATCH_EN: 0
; COMPUTE_PGM_RSRC2:USER_SGPR: 2
; COMPUTE_PGM_RSRC2:TRAP_HANDLER: 0
; COMPUTE_PGM_RSRC2:TGID_X_EN: 1
; COMPUTE_PGM_RSRC2:TGID_Y_EN: 1
; COMPUTE_PGM_RSRC2:TGID_Z_EN: 1
; COMPUTE_PGM_RSRC2:TIDIG_COMP_CNT: 1
; COMPUTE_PGM_RSRC3_GFX90A:ACCUM_OFFSET: 15
; COMPUTE_PGM_RSRC3_GFX90A:TG_SPLIT: 0
	.section	.text._ZL29rocblas_internal_gemmt_kernelIiLi16ELi32ELi8ELc84ELc67ELc85ELb0ELb1E19rocblas_complex_numIdES1_PKS1_PS1_EviT_T9_T10_S5_lS7_S5_lS6_T11_S5_li,"axG",@progbits,_ZL29rocblas_internal_gemmt_kernelIiLi16ELi32ELi8ELc84ELc67ELc85ELb0ELb1E19rocblas_complex_numIdES1_PKS1_PS1_EviT_T9_T10_S5_lS7_S5_lS6_T11_S5_li,comdat
	.globl	_ZL29rocblas_internal_gemmt_kernelIiLi16ELi32ELi8ELc84ELc67ELc85ELb0ELb1E19rocblas_complex_numIdES1_PKS1_PS1_EviT_T9_T10_S5_lS7_S5_lS6_T11_S5_li ; -- Begin function _ZL29rocblas_internal_gemmt_kernelIiLi16ELi32ELi8ELc84ELc67ELc85ELb0ELb1E19rocblas_complex_numIdES1_PKS1_PS1_EviT_T9_T10_S5_lS7_S5_lS6_T11_S5_li
	.p2align	8
	.type	_ZL29rocblas_internal_gemmt_kernelIiLi16ELi32ELi8ELc84ELc67ELc85ELb0ELb1E19rocblas_complex_numIdES1_PKS1_PS1_EviT_T9_T10_S5_lS7_S5_lS6_T11_S5_li,@function
_ZL29rocblas_internal_gemmt_kernelIiLi16ELi32ELi8ELc84ELc67ELc85ELb0ELb1E19rocblas_complex_numIdES1_PKS1_PS1_EviT_T9_T10_S5_lS7_S5_lS6_T11_S5_li: ; @_ZL29rocblas_internal_gemmt_kernelIiLi16ELi32ELi8ELc84ELc67ELc85ELb0ELb1E19rocblas_complex_numIdES1_PKS1_PS1_EviT_T9_T10_S5_lS7_S5_lS6_T11_S5_li
; %bb.0:
	s_load_dwordx8 s[8:15], s[0:1], 0x40
	s_load_dwordx2 s[6:7], s[0:1], 0x0
	s_load_dwordx4 s[16:19], s[0:1], 0x8
	s_mov_b64 s[20:21], 0
	s_waitcnt lgkmcnt(0)
	v_cmp_eq_f64_e64 s[22:23], s[10:11], 1.0
	v_cmp_eq_f64_e64 s[24:25], s[12:13], 0
	s_and_b64 s[22:23], s[22:23], s[24:25]
	s_andn2_b64 vcc, exec, s[22:23]
	s_mov_b64 s[22:23], -1
	s_cbranch_vccnz .LBB131_4
; %bb.1:
	s_cmp_lg_u32 s7, 0
	s_cbranch_scc0 .LBB131_3
; %bb.2:
	v_cmp_neq_f64_e64 s[20:21], s[16:17], 0
	v_cmp_neq_f64_e64 s[22:23], s[18:19], 0
	s_or_b64 s[20:21], s[20:21], s[22:23]
.LBB131_3:
	s_mov_b64 s[22:23], s[20:21]
.LBB131_4:
	s_and_b64 vcc, exec, s[22:23]
	s_cbranch_vccz .LBB131_30
; %bb.5:
	s_lshl_b32 s5, s2, 5
	s_lshl_b32 s26, s3, 5
	v_cmp_eq_f64_e64 s[2:3], s[16:17], 0
	v_cmp_eq_f64_e64 s[20:21], s[18:19], 0
	s_and_b64 s[2:3], s[2:3], s[20:21]
	s_cmp_lt_i32 s7, 1
	s_cselect_b64 s[20:21], -1, 0
	s_or_b64 s[2:3], s[2:3], s[20:21]
	v_and_b32_e32 v29, 0x3ff, v0
	v_bfe_u32 v28, v0, 10, 10
	s_mov_b32 s27, 0
	v_mov_b64_e32 v[24:25], 0
	s_and_b64 vcc, exec, s[2:3]
	v_mov_b64_e32 v[26:27], 0
	v_mov_b64_e32 v[20:21], 0
	;; [unrolled: 1-line block ×7, first 2 shown]
	s_cbranch_vccnz .LBB131_14
; %bb.6:
	v_lshl_add_u32 v0, v28, 4, v29
	v_lshrrev_b32_e32 v31, 5, v0
	v_lshrrev_b32_e32 v1, 3, v0
	v_and_b32_e32 v0, 31, v0
	s_load_dwordx4 s[20:23], s[0:1], 0x28
	s_load_dword s28, s[0:1], 0x38
	s_load_dwordx2 s[30:31], s[0:1], 0x18
	s_load_dword s33, s[0:1], 0x20
	v_or_b32_e32 v3, s5, v0
	v_and_b32_e32 v30, 7, v29
	v_cmp_gt_i32_e64 s[2:3], s6, v3
	v_lshlrev_b32_e32 v3, 4, v0
	v_lshl_or_b32 v32, v31, 9, v3
	v_lshlrev_b32_e32 v3, 4, v30
	v_add_u32_e32 v2, s26, v1
	v_lshl_or_b32 v1, v1, 7, v3
	v_add_u32_e32 v33, 0x1000, v1
	v_mov_b32_e32 v1, 0x1000
	v_add_u32_e32 v0, s5, v0
	v_lshl_add_u32 v35, v28, 7, v1
	s_waitcnt lgkmcnt(0)
	v_mad_i64_i32 v[0:1], s[34:35], s33, v0, 0
	s_mul_i32 s21, s21, s4
	s_mul_hi_u32 s33, s20, s4
	s_add_i32 s21, s33, s21
	s_mul_i32 s20, s20, s4
	s_lshl_b64 s[20:21], s[20:21], 4
	v_lshl_add_u64 v[4:5], v[0:1], 4, s[20:21]
	v_lshlrev_b32_e32 v0, 4, v31
	v_mov_b32_e32 v1, 0
	v_lshl_add_u64 v[4:5], v[4:5], 0, v[0:1]
	s_mul_i32 s9, s9, s4
	s_mul_hi_u32 s20, s8, s4
	v_lshl_add_u64 v[8:9], s[30:31], 0, v[4:5]
	s_add_i32 s9, s20, s9
	v_mad_i64_i32 v[4:5], s[20:21], s28, v30, 0
	s_mul_i32 s8, s8, s4
	v_lshlrev_b64 v[4:5], 4, v[4:5]
	v_ashrrev_i32_e32 v3, 31, v2
	v_lshl_add_u64 v[4:5], s[8:9], 4, v[4:5]
	v_cmp_gt_i32_e32 vcc, s6, v2
	v_lshl_add_u64 v[2:3], v[2:3], 4, v[4:5]
	s_ashr_i32 s29, s28, 31
	v_lshl_add_u64 v[2:3], s[22:23], 0, v[2:3]
	v_lshlrev_b32_e32 v34, 4, v29
	v_lshl_add_u64 v[10:11], v[2:3], 0, 8
	s_lshl_b64 s[8:9], s[28:29], 7
	v_mov_b64_e32 v[12:13], 0
	s_xor_b64 s[20:21], s[2:3], -1
	s_mov_b64 s[22:23], 0x80
	v_mov_b32_e32 v0, v1
	v_mov_b32_e32 v2, v1
	;; [unrolled: 1-line block ×3, first 2 shown]
	v_mov_b64_e32 v[14:15], 0
	v_mov_b64_e32 v[18:19], 0
	;; [unrolled: 1-line block ×7, first 2 shown]
	s_branch .LBB131_8
.LBB131_7:                              ;   in Loop: Header=BB131_8 Depth=1
	s_or_b64 exec, exec, s[2:3]
	ds_write_b128 v33, v[4:7]
	s_waitcnt lgkmcnt(0)
	s_barrier
	ds_read_b128 v[4:7], v34
	ds_read_b128 v[36:39], v35
	ds_read_b128 v[40:43], v35 offset:16
	ds_read_b128 v[44:47], v35 offset:32
	;; [unrolled: 1-line block ×4, first 2 shown]
	s_waitcnt lgkmcnt(4)
	v_mul_f64 v[56:57], v[38:39], v[6:7]
	v_fma_f64 v[56:57], v[36:37], v[4:5], -v[56:57]
	v_mul_f64 v[58:59], v[36:37], v[6:7]
	v_fmac_f64_e32 v[58:59], v[38:39], v[4:5]
	v_add_f64 v[56:57], v[24:25], v[56:57]
	s_waitcnt lgkmcnt(0)
	v_mul_f64 v[24:25], v[38:39], v[54:55]
	v_add_f64 v[58:59], v[58:59], v[26:27]
	v_fma_f64 v[60:61], v[36:37], v[52:53], -v[24:25]
	ds_read_b128 v[24:27], v35 offset:2048
	v_mul_f64 v[36:37], v[36:37], v[54:55]
	v_fmac_f64_e32 v[36:37], v[38:39], v[52:53]
	v_add_f64 v[38:39], v[20:21], v[60:61]
	v_add_f64 v[36:37], v[36:37], v[22:23]
	ds_read_b128 v[20:23], v35 offset:2064
	s_waitcnt lgkmcnt(1)
	v_mul_f64 v[60:61], v[26:27], v[6:7]
	v_mul_f64 v[6:7], v[24:25], v[6:7]
	v_fma_f64 v[60:61], v[24:25], v[4:5], -v[60:61]
	v_fmac_f64_e32 v[6:7], v[26:27], v[4:5]
	v_mul_f64 v[4:5], v[26:27], v[54:55]
	v_add_f64 v[16:17], v[16:17], v[60:61]
	v_add_f64 v[18:19], v[6:7], v[18:19]
	v_fma_f64 v[60:61], v[24:25], v[52:53], -v[4:5]
	v_mul_f64 v[24:25], v[24:25], v[54:55]
	ds_read_b128 v[4:7], v34 offset:512
	v_fmac_f64_e32 v[24:25], v[26:27], v[52:53]
	v_add_f64 v[26:27], v[14:15], v[60:61]
	v_add_f64 v[24:25], v[24:25], v[12:13]
	ds_read_b128 v[12:15], v34 offset:768
	s_waitcnt lgkmcnt(1)
	v_mul_f64 v[52:53], v[42:43], v[6:7]
	v_fma_f64 v[52:53], v[40:41], v[4:5], -v[52:53]
	v_add_f64 v[52:53], v[56:57], v[52:53]
	v_mul_f64 v[54:55], v[40:41], v[6:7]
	s_waitcnt lgkmcnt(0)
	v_mul_f64 v[56:57], v[42:43], v[14:15]
	v_fma_f64 v[56:57], v[40:41], v[12:13], -v[56:57]
	v_mul_f64 v[40:41], v[40:41], v[14:15]
	v_fmac_f64_e32 v[40:41], v[42:43], v[12:13]
	v_add_f64 v[36:37], v[40:41], v[36:37]
	v_mul_f64 v[40:41], v[22:23], v[6:7]
	v_mul_f64 v[6:7], v[20:21], v[6:7]
	v_fmac_f64_e32 v[54:55], v[42:43], v[4:5]
	v_fma_f64 v[40:41], v[20:21], v[4:5], -v[40:41]
	v_fmac_f64_e32 v[6:7], v[22:23], v[4:5]
	v_mul_f64 v[4:5], v[22:23], v[14:15]
	v_add_f64 v[40:41], v[16:17], v[40:41]
	v_add_f64 v[42:43], v[6:7], v[18:19]
	v_fma_f64 v[16:17], v[20:21], v[12:13], -v[4:5]
	v_mul_f64 v[14:15], v[20:21], v[14:15]
	ds_read_b128 v[4:7], v34 offset:1024
	v_fmac_f64_e32 v[14:15], v[22:23], v[12:13]
	v_add_f64 v[24:25], v[14:15], v[24:25]
	ds_read_b128 v[12:15], v34 offset:1280
	v_add_f64 v[26:27], v[26:27], v[16:17]
	s_waitcnt lgkmcnt(1)
	v_mul_f64 v[16:17], v[46:47], v[6:7]
	v_fma_f64 v[16:17], v[44:45], v[4:5], -v[16:17]
	v_mul_f64 v[18:19], v[44:45], v[6:7]
	v_add_f64 v[54:55], v[54:55], v[58:59]
	v_fmac_f64_e32 v[18:19], v[46:47], v[4:5]
	v_add_f64 v[52:53], v[52:53], v[16:17]
	s_waitcnt lgkmcnt(0)
	v_mul_f64 v[16:17], v[46:47], v[14:15]
	v_add_f64 v[54:55], v[18:19], v[54:55]
	v_fma_f64 v[20:21], v[44:45], v[12:13], -v[16:17]
	ds_read_b128 v[16:19], v35 offset:2080
	v_mul_f64 v[22:23], v[44:45], v[14:15]
	v_add_f64 v[38:39], v[38:39], v[56:57]
	v_fmac_f64_e32 v[22:23], v[46:47], v[12:13]
	v_add_f64 v[38:39], v[38:39], v[20:21]
	v_add_f64 v[36:37], v[22:23], v[36:37]
	ds_read_b128 v[20:23], v35 offset:2096
	s_waitcnt lgkmcnt(1)
	v_mul_f64 v[44:45], v[18:19], v[6:7]
	v_mul_f64 v[6:7], v[16:17], v[6:7]
	v_fma_f64 v[44:45], v[16:17], v[4:5], -v[44:45]
	v_fmac_f64_e32 v[6:7], v[18:19], v[4:5]
	v_mul_f64 v[4:5], v[18:19], v[14:15]
	v_mul_f64 v[14:15], v[16:17], v[14:15]
	v_fmac_f64_e32 v[14:15], v[18:19], v[12:13]
	v_add_f64 v[40:41], v[40:41], v[44:45]
	v_add_f64 v[42:43], v[6:7], v[42:43]
	v_fma_f64 v[44:45], v[16:17], v[12:13], -v[4:5]
	ds_read_b128 v[4:7], v34 offset:1536
	v_add_f64 v[18:19], v[14:15], v[24:25]
	ds_read_b128 v[12:15], v34 offset:1792
	v_add_f64 v[16:17], v[26:27], v[44:45]
	s_add_i32 s27, s27, 8
	s_waitcnt lgkmcnt(1)
	v_mul_f64 v[24:25], v[50:51], v[6:7]
	v_mul_f64 v[26:27], v[48:49], v[6:7]
	s_waitcnt lgkmcnt(0)
	v_mul_f64 v[44:45], v[50:51], v[14:15]
	v_fma_f64 v[44:45], v[48:49], v[12:13], -v[44:45]
	v_add_f64 v[38:39], v[38:39], v[44:45]
	v_mul_f64 v[44:45], v[22:23], v[6:7]
	v_mul_f64 v[6:7], v[20:21], v[6:7]
	v_fma_f64 v[24:25], v[48:49], v[4:5], -v[24:25]
	v_fmac_f64_e32 v[26:27], v[50:51], v[4:5]
	v_fma_f64 v[44:45], v[20:21], v[4:5], -v[44:45]
	v_fmac_f64_e32 v[6:7], v[22:23], v[4:5]
	v_mul_f64 v[4:5], v[22:23], v[14:15]
	v_mul_f64 v[46:47], v[48:49], v[14:15]
	v_add_f64 v[40:41], v[40:41], v[44:45]
	v_fma_f64 v[44:45], v[20:21], v[12:13], -v[4:5]
	v_mul_f64 v[20:21], v[20:21], v[14:15]
	v_fmac_f64_e32 v[46:47], v[50:51], v[12:13]
	v_add_f64 v[42:43], v[6:7], v[42:43]
	v_fmac_f64_e32 v[20:21], v[22:23], v[12:13]
	ds_read_b128 v[4:7], v35 offset:64
	ds_read_b128 v[12:15], v34 offset:2048
	v_add_f64 v[36:37], v[46:47], v[36:37]
	v_add_f64 v[44:45], v[16:17], v[44:45]
	;; [unrolled: 1-line block ×3, first 2 shown]
	ds_read_b128 v[16:19], v34 offset:2304
	ds_read_b128 v[20:23], v35 offset:80
	s_waitcnt lgkmcnt(2)
	v_mul_f64 v[48:49], v[6:7], v[14:15]
	v_add_f64 v[24:25], v[52:53], v[24:25]
	v_fma_f64 v[48:49], v[4:5], v[12:13], -v[48:49]
	v_mul_f64 v[50:51], v[4:5], v[14:15]
	v_add_f64 v[26:27], v[26:27], v[54:55]
	v_fmac_f64_e32 v[50:51], v[6:7], v[12:13]
	v_add_f64 v[48:49], v[24:25], v[48:49]
	s_waitcnt lgkmcnt(1)
	v_mul_f64 v[24:25], v[6:7], v[18:19]
	v_add_f64 v[50:51], v[50:51], v[26:27]
	v_fma_f64 v[52:53], v[4:5], v[16:17], -v[24:25]
	ds_read_b128 v[24:27], v35 offset:2112
	v_mul_f64 v[4:5], v[4:5], v[18:19]
	v_fmac_f64_e32 v[4:5], v[6:7], v[16:17]
	v_add_f64 v[38:39], v[38:39], v[52:53]
	v_add_f64 v[36:37], v[4:5], v[36:37]
	ds_read_b128 v[4:7], v35 offset:2128
	s_waitcnt lgkmcnt(1)
	v_mul_f64 v[52:53], v[26:27], v[14:15]
	v_mul_f64 v[14:15], v[24:25], v[14:15]
	v_fma_f64 v[52:53], v[24:25], v[12:13], -v[52:53]
	v_fmac_f64_e32 v[14:15], v[26:27], v[12:13]
	v_mul_f64 v[12:13], v[26:27], v[18:19]
	v_add_f64 v[40:41], v[40:41], v[52:53]
	v_add_f64 v[42:43], v[14:15], v[42:43]
	v_fma_f64 v[52:53], v[24:25], v[16:17], -v[12:13]
	v_mul_f64 v[18:19], v[24:25], v[18:19]
	ds_read_b128 v[12:15], v34 offset:2560
	v_fmac_f64_e32 v[18:19], v[26:27], v[16:17]
	v_add_f64 v[26:27], v[18:19], v[46:47]
	ds_read_b128 v[16:19], v34 offset:2816
	v_add_f64 v[24:25], v[44:45], v[52:53]
	s_waitcnt lgkmcnt(1)
	v_mul_f64 v[44:45], v[22:23], v[14:15]
	v_fma_f64 v[44:45], v[20:21], v[12:13], -v[44:45]
	v_add_f64 v[44:45], v[48:49], v[44:45]
	s_waitcnt lgkmcnt(0)
	v_mul_f64 v[48:49], v[22:23], v[18:19]
	v_mul_f64 v[46:47], v[20:21], v[14:15]
	v_fma_f64 v[48:49], v[20:21], v[16:17], -v[48:49]
	v_mul_f64 v[20:21], v[20:21], v[18:19]
	v_fmac_f64_e32 v[20:21], v[22:23], v[16:17]
	v_add_f64 v[36:37], v[20:21], v[36:37]
	v_mul_f64 v[20:21], v[6:7], v[14:15]
	v_mul_f64 v[14:15], v[4:5], v[14:15]
	v_fmac_f64_e32 v[46:47], v[22:23], v[12:13]
	v_fma_f64 v[20:21], v[4:5], v[12:13], -v[20:21]
	v_fmac_f64_e32 v[14:15], v[6:7], v[12:13]
	v_mul_f64 v[12:13], v[6:7], v[18:19]
	v_mul_f64 v[18:19], v[4:5], v[18:19]
	v_add_f64 v[40:41], v[40:41], v[20:21]
	v_add_f64 v[42:43], v[14:15], v[42:43]
	v_fma_f64 v[20:21], v[4:5], v[16:17], -v[12:13]
	v_fmac_f64_e32 v[18:19], v[6:7], v[16:17]
	ds_read_b128 v[4:7], v35 offset:96
	ds_read_b128 v[12:15], v34 offset:3072
	v_add_f64 v[46:47], v[46:47], v[50:51]
	v_add_f64 v[38:39], v[38:39], v[48:49]
	v_add_f64 v[48:49], v[24:25], v[20:21]
	v_add_f64 v[50:51], v[18:19], v[26:27]
	ds_read_b128 v[16:19], v34 offset:3328
	ds_read_b128 v[20:23], v35 offset:112
	s_waitcnt lgkmcnt(2)
	v_mul_f64 v[24:25], v[6:7], v[14:15]
	v_fma_f64 v[24:25], v[4:5], v[12:13], -v[24:25]
	v_mul_f64 v[26:27], v[4:5], v[14:15]
	v_fmac_f64_e32 v[26:27], v[6:7], v[12:13]
	v_add_f64 v[44:45], v[44:45], v[24:25]
	s_waitcnt lgkmcnt(1)
	v_mul_f64 v[24:25], v[6:7], v[18:19]
	v_add_f64 v[46:47], v[26:27], v[46:47]
	v_fma_f64 v[52:53], v[4:5], v[16:17], -v[24:25]
	ds_read_b128 v[24:27], v35 offset:2144
	v_mul_f64 v[4:5], v[4:5], v[18:19]
	v_fmac_f64_e32 v[4:5], v[6:7], v[16:17]
	v_add_f64 v[54:55], v[4:5], v[36:37]
	ds_read_b128 v[4:7], v35 offset:2160
	s_waitcnt lgkmcnt(1)
	v_mul_f64 v[36:37], v[26:27], v[14:15]
	v_mul_f64 v[14:15], v[24:25], v[14:15]
	v_fma_f64 v[36:37], v[24:25], v[12:13], -v[36:37]
	v_fmac_f64_e32 v[14:15], v[26:27], v[12:13]
	v_mul_f64 v[12:13], v[26:27], v[18:19]
	v_add_f64 v[40:41], v[40:41], v[36:37]
	v_add_f64 v[42:43], v[14:15], v[42:43]
	v_fma_f64 v[36:37], v[24:25], v[16:17], -v[12:13]
	ds_read_b128 v[12:15], v34 offset:3584
	v_add_f64 v[52:53], v[38:39], v[52:53]
	v_add_f64 v[48:49], v[48:49], v[36:37]
	ds_read_b128 v[36:39], v34 offset:3840
	v_mul_f64 v[18:19], v[24:25], v[18:19]
	v_fmac_f64_e32 v[18:19], v[26:27], v[16:17]
	s_waitcnt lgkmcnt(1)
	v_mul_f64 v[16:17], v[22:23], v[14:15]
	v_fma_f64 v[16:17], v[20:21], v[12:13], -v[16:17]
	v_add_f64 v[50:51], v[18:19], v[50:51]
	v_mul_f64 v[18:19], v[20:21], v[14:15]
	v_add_f64 v[24:25], v[44:45], v[16:17]
	s_waitcnt lgkmcnt(0)
	v_mul_f64 v[16:17], v[22:23], v[38:39]
	v_fmac_f64_e32 v[18:19], v[22:23], v[12:13]
	v_fma_f64 v[16:17], v[20:21], v[36:37], -v[16:17]
	v_add_f64 v[26:27], v[18:19], v[46:47]
	v_mul_f64 v[18:19], v[20:21], v[38:39]
	v_add_f64 v[20:21], v[52:53], v[16:17]
	v_mul_f64 v[16:17], v[6:7], v[14:15]
	v_mul_f64 v[14:15], v[4:5], v[14:15]
	v_fma_f64 v[16:17], v[4:5], v[12:13], -v[16:17]
	v_fmac_f64_e32 v[14:15], v[6:7], v[12:13]
	v_mul_f64 v[12:13], v[6:7], v[38:39]
	v_fma_f64 v[12:13], v[4:5], v[36:37], -v[12:13]
	v_mul_f64 v[4:5], v[4:5], v[38:39]
	v_fmac_f64_e32 v[18:19], v[22:23], v[36:37]
	v_fmac_f64_e32 v[4:5], v[6:7], v[36:37]
	v_add_f64 v[22:23], v[18:19], v[54:55]
	v_add_f64 v[16:17], v[40:41], v[16:17]
	v_add_f64 v[18:19], v[14:15], v[42:43]
	v_add_f64 v[14:15], v[48:49], v[12:13]
	v_add_f64 v[12:13], v[4:5], v[50:51]
	v_lshl_add_u64 v[8:9], v[8:9], 0, s[22:23]
	s_cmp_lt_i32 s27, s7
	v_lshl_add_u64 v[10:11], v[10:11], 0, s[8:9]
	s_barrier
	s_cbranch_scc0 .LBB131_14
.LBB131_8:                              ; =>This Inner Loop Header: Depth=1
	v_add_u32_e32 v4, s27, v31
	v_cmp_le_i32_e64 s[2:3], s7, v4
	s_or_b64 s[2:3], s[20:21], s[2:3]
	s_and_saveexec_b64 s[28:29], s[2:3]
	s_xor_b64 s[2:3], exec, s[28:29]
; %bb.9:                                ;   in Loop: Header=BB131_8 Depth=1
	ds_write_b128 v32, v[0:3]
; %bb.10:                               ;   in Loop: Header=BB131_8 Depth=1
	s_andn2_saveexec_b64 s[2:3], s[2:3]
	s_cbranch_execz .LBB131_12
; %bb.11:                               ;   in Loop: Header=BB131_8 Depth=1
	global_load_dwordx4 v[4:7], v[8:9], off
	s_waitcnt vmcnt(0)
	ds_write2_b64 v32, v[4:5], v[6:7] offset1:1
.LBB131_12:                             ;   in Loop: Header=BB131_8 Depth=1
	s_or_b64 exec, exec, s[2:3]
	v_add_u32_e32 v4, s27, v30
	v_cmp_gt_i32_e64 s[2:3], s7, v4
	s_and_b64 s[28:29], s[2:3], vcc
	v_mov_b64_e32 v[4:5], 0
	v_mov_b64_e32 v[6:7], 0
	s_and_saveexec_b64 s[2:3], s[28:29]
	s_cbranch_execz .LBB131_7
; %bb.13:                               ;   in Loop: Header=BB131_8 Depth=1
	global_load_dwordx4 v[4:7], v[10:11], off offset:-8
	s_waitcnt vmcnt(0)
	v_xor_b32_e32 v7, 0x80000000, v7
	s_branch .LBB131_7
.LBB131_14:
	s_load_dwordx2 s[2:3], s[0:1], 0x68
	s_load_dword s7, s[0:1], 0x60
	v_add_u32_e32 v4, s5, v29
	v_add_u32_e32 v10, s26, v28
	v_cmp_le_i32_e32 vcc, v4, v10
	s_waitcnt lgkmcnt(0)
	s_mul_i32 s1, s3, s4
	s_mul_hi_u32 s3, s2, s4
	s_mul_i32 s0, s2, s4
	s_add_i32 s1, s3, s1
	s_lshl_b64 s[0:1], s[0:1], 4
	s_add_u32 s4, s14, s0
	s_addc_u32 s5, s15, s1
	v_cmp_neq_f64_e64 s[0:1], s[10:11], 0
	s_xor_b64 s[8:9], s[24:25], -1
	v_mad_i64_i32 v[0:1], s[14:15], v10, s7, 0
	s_or_b64 s[0:1], s[0:1], s[8:9]
	v_cmp_gt_i32_e64 s[2:3], s6, v10
	v_lshl_add_u64 v[8:9], v[0:1], 4, s[4:5]
	v_cndmask_b32_e64 v0, 0, 1, s[0:1]
	s_and_b64 s[14:15], s[2:3], vcc
	v_ashrrev_i32_e32 v5, 31, v4
	v_cmp_ne_u32_e64 s[0:1], 1, v0
	s_and_saveexec_b64 s[8:9], s[14:15]
	s_cbranch_execz .LBB131_18
; %bb.15:
	v_mul_f64 v[0:1], s[18:19], v[26:27]
	v_mul_f64 v[2:3], s[16:17], v[26:27]
	v_fma_f64 v[0:1], s[16:17], v[24:25], -v[0:1]
	v_fmac_f64_e32 v[2:3], s[18:19], v[24:25]
	s_and_b64 vcc, exec, s[0:1]
	v_lshl_add_u64 v[6:7], v[4:5], 4, v[8:9]
	s_cbranch_vccnz .LBB131_17
; %bb.16:
	global_load_dwordx4 v[24:27], v[6:7], off
	s_waitcnt vmcnt(0)
	v_mul_f64 v[28:29], s[12:13], v[26:27]
	v_mul_f64 v[26:27], s[10:11], v[26:27]
	v_fma_f64 v[28:29], s[10:11], v[24:25], -v[28:29]
	v_fmac_f64_e32 v[26:27], s[12:13], v[24:25]
	v_add_f64 v[0:1], v[0:1], v[28:29]
	v_add_f64 v[2:3], v[2:3], v[26:27]
.LBB131_17:
	global_store_dwordx4 v[6:7], v[0:3], off
.LBB131_18:
	s_or_b64 exec, exec, s[8:9]
	v_add_u32_e32 v6, 16, v4
	v_cmp_le_i32_e32 vcc, v6, v10
	s_and_b64 s[8:9], s[2:3], vcc
	v_ashrrev_i32_e32 v7, 31, v6
	s_and_saveexec_b64 s[2:3], s[8:9]
	s_cbranch_execz .LBB131_22
; %bb.19:
	v_mul_f64 v[0:1], s[18:19], v[22:23]
	v_mul_f64 v[2:3], s[16:17], v[22:23]
	v_fma_f64 v[0:1], s[16:17], v[20:21], -v[0:1]
	v_fmac_f64_e32 v[2:3], s[18:19], v[20:21]
	s_and_b64 vcc, exec, s[0:1]
	v_lshl_add_u64 v[8:9], v[6:7], 4, v[8:9]
	s_cbranch_vccnz .LBB131_21
; %bb.20:
	global_load_dwordx4 v[20:23], v[8:9], off
	s_waitcnt vmcnt(0)
	v_mul_f64 v[24:25], s[12:13], v[22:23]
	v_mul_f64 v[22:23], s[10:11], v[22:23]
	v_fma_f64 v[24:25], s[10:11], v[20:21], -v[24:25]
	v_fmac_f64_e32 v[22:23], s[12:13], v[20:21]
	v_add_f64 v[0:1], v[0:1], v[24:25]
	v_add_f64 v[2:3], v[2:3], v[22:23]
.LBB131_21:
	global_store_dwordx4 v[8:9], v[0:3], off
.LBB131_22:
	s_or_b64 exec, exec, s[2:3]
	v_add_u32_e32 v10, 16, v10
	v_cmp_gt_i32_e64 s[2:3], s6, v10
	v_mad_i64_i32 v[0:1], s[6:7], v10, s7, 0
	v_cmp_le_i32_e32 vcc, v4, v10
	v_lshl_add_u64 v[8:9], v[0:1], 4, s[4:5]
	s_and_b64 s[6:7], s[2:3], vcc
	s_and_saveexec_b64 s[4:5], s[6:7]
	s_cbranch_execz .LBB131_26
; %bb.23:
	v_mul_f64 v[0:1], s[18:19], v[18:19]
	v_mul_f64 v[2:3], s[16:17], v[18:19]
	v_fma_f64 v[0:1], s[16:17], v[16:17], -v[0:1]
	v_fmac_f64_e32 v[2:3], s[18:19], v[16:17]
	s_and_b64 vcc, exec, s[0:1]
	v_lshl_add_u64 v[4:5], v[4:5], 4, v[8:9]
	s_cbranch_vccnz .LBB131_25
; %bb.24:
	global_load_dwordx4 v[16:19], v[4:5], off
	s_waitcnt vmcnt(0)
	v_mul_f64 v[20:21], s[12:13], v[18:19]
	v_mul_f64 v[18:19], s[10:11], v[18:19]
	v_fma_f64 v[20:21], s[10:11], v[16:17], -v[20:21]
	v_fmac_f64_e32 v[18:19], s[12:13], v[16:17]
	v_add_f64 v[0:1], v[0:1], v[20:21]
	v_add_f64 v[2:3], v[2:3], v[18:19]
.LBB131_25:
	global_store_dwordx4 v[4:5], v[0:3], off
.LBB131_26:
	s_or_b64 exec, exec, s[4:5]
	v_cmp_le_i32_e32 vcc, v6, v10
	s_and_b64 s[2:3], s[2:3], vcc
	s_and_saveexec_b64 s[4:5], s[2:3]
	s_cbranch_execz .LBB131_30
; %bb.27:
	v_mul_f64 v[0:1], s[18:19], v[12:13]
	v_mul_f64 v[2:3], s[16:17], v[12:13]
	v_fma_f64 v[0:1], s[16:17], v[14:15], -v[0:1]
	v_fmac_f64_e32 v[2:3], s[18:19], v[14:15]
	s_and_b64 vcc, exec, s[0:1]
	v_lshl_add_u64 v[4:5], v[6:7], 4, v[8:9]
	s_cbranch_vccnz .LBB131_29
; %bb.28:
	global_load_dwordx4 v[6:9], v[4:5], off
	s_waitcnt vmcnt(0)
	v_mul_f64 v[10:11], s[12:13], v[8:9]
	v_mul_f64 v[8:9], s[10:11], v[8:9]
	v_fma_f64 v[10:11], s[10:11], v[6:7], -v[10:11]
	v_fmac_f64_e32 v[8:9], s[12:13], v[6:7]
	v_add_f64 v[0:1], v[0:1], v[10:11]
	v_add_f64 v[2:3], v[2:3], v[8:9]
.LBB131_29:
	global_store_dwordx4 v[4:5], v[0:3], off
.LBB131_30:
	s_endpgm
	.section	.rodata,"a",@progbits
	.p2align	6, 0x0
	.amdhsa_kernel _ZL29rocblas_internal_gemmt_kernelIiLi16ELi32ELi8ELc84ELc67ELc85ELb0ELb1E19rocblas_complex_numIdES1_PKS1_PS1_EviT_T9_T10_S5_lS7_S5_lS6_T11_S5_li
		.amdhsa_group_segment_fixed_size 8192
		.amdhsa_private_segment_fixed_size 0
		.amdhsa_kernarg_size 116
		.amdhsa_user_sgpr_count 2
		.amdhsa_user_sgpr_dispatch_ptr 0
		.amdhsa_user_sgpr_queue_ptr 0
		.amdhsa_user_sgpr_kernarg_segment_ptr 1
		.amdhsa_user_sgpr_dispatch_id 0
		.amdhsa_user_sgpr_kernarg_preload_length 0
		.amdhsa_user_sgpr_kernarg_preload_offset 0
		.amdhsa_user_sgpr_private_segment_size 0
		.amdhsa_uses_dynamic_stack 0
		.amdhsa_enable_private_segment 0
		.amdhsa_system_sgpr_workgroup_id_x 1
		.amdhsa_system_sgpr_workgroup_id_y 1
		.amdhsa_system_sgpr_workgroup_id_z 1
		.amdhsa_system_sgpr_workgroup_info 0
		.amdhsa_system_vgpr_workitem_id 1
		.amdhsa_next_free_vgpr 62
		.amdhsa_next_free_sgpr 36
		.amdhsa_accum_offset 64
		.amdhsa_reserve_vcc 1
		.amdhsa_float_round_mode_32 0
		.amdhsa_float_round_mode_16_64 0
		.amdhsa_float_denorm_mode_32 3
		.amdhsa_float_denorm_mode_16_64 3
		.amdhsa_dx10_clamp 1
		.amdhsa_ieee_mode 1
		.amdhsa_fp16_overflow 0
		.amdhsa_tg_split 0
		.amdhsa_exception_fp_ieee_invalid_op 0
		.amdhsa_exception_fp_denorm_src 0
		.amdhsa_exception_fp_ieee_div_zero 0
		.amdhsa_exception_fp_ieee_overflow 0
		.amdhsa_exception_fp_ieee_underflow 0
		.amdhsa_exception_fp_ieee_inexact 0
		.amdhsa_exception_int_div_zero 0
	.end_amdhsa_kernel
	.section	.text._ZL29rocblas_internal_gemmt_kernelIiLi16ELi32ELi8ELc84ELc67ELc85ELb0ELb1E19rocblas_complex_numIdES1_PKS1_PS1_EviT_T9_T10_S5_lS7_S5_lS6_T11_S5_li,"axG",@progbits,_ZL29rocblas_internal_gemmt_kernelIiLi16ELi32ELi8ELc84ELc67ELc85ELb0ELb1E19rocblas_complex_numIdES1_PKS1_PS1_EviT_T9_T10_S5_lS7_S5_lS6_T11_S5_li,comdat
.Lfunc_end131:
	.size	_ZL29rocblas_internal_gemmt_kernelIiLi16ELi32ELi8ELc84ELc67ELc85ELb0ELb1E19rocblas_complex_numIdES1_PKS1_PS1_EviT_T9_T10_S5_lS7_S5_lS6_T11_S5_li, .Lfunc_end131-_ZL29rocblas_internal_gemmt_kernelIiLi16ELi32ELi8ELc84ELc67ELc85ELb0ELb1E19rocblas_complex_numIdES1_PKS1_PS1_EviT_T9_T10_S5_lS7_S5_lS6_T11_S5_li
                                        ; -- End function
	.set _ZL29rocblas_internal_gemmt_kernelIiLi16ELi32ELi8ELc84ELc67ELc85ELb0ELb1E19rocblas_complex_numIdES1_PKS1_PS1_EviT_T9_T10_S5_lS7_S5_lS6_T11_S5_li.num_vgpr, 62
	.set _ZL29rocblas_internal_gemmt_kernelIiLi16ELi32ELi8ELc84ELc67ELc85ELb0ELb1E19rocblas_complex_numIdES1_PKS1_PS1_EviT_T9_T10_S5_lS7_S5_lS6_T11_S5_li.num_agpr, 0
	.set _ZL29rocblas_internal_gemmt_kernelIiLi16ELi32ELi8ELc84ELc67ELc85ELb0ELb1E19rocblas_complex_numIdES1_PKS1_PS1_EviT_T9_T10_S5_lS7_S5_lS6_T11_S5_li.numbered_sgpr, 36
	.set _ZL29rocblas_internal_gemmt_kernelIiLi16ELi32ELi8ELc84ELc67ELc85ELb0ELb1E19rocblas_complex_numIdES1_PKS1_PS1_EviT_T9_T10_S5_lS7_S5_lS6_T11_S5_li.num_named_barrier, 0
	.set _ZL29rocblas_internal_gemmt_kernelIiLi16ELi32ELi8ELc84ELc67ELc85ELb0ELb1E19rocblas_complex_numIdES1_PKS1_PS1_EviT_T9_T10_S5_lS7_S5_lS6_T11_S5_li.private_seg_size, 0
	.set _ZL29rocblas_internal_gemmt_kernelIiLi16ELi32ELi8ELc84ELc67ELc85ELb0ELb1E19rocblas_complex_numIdES1_PKS1_PS1_EviT_T9_T10_S5_lS7_S5_lS6_T11_S5_li.uses_vcc, 1
	.set _ZL29rocblas_internal_gemmt_kernelIiLi16ELi32ELi8ELc84ELc67ELc85ELb0ELb1E19rocblas_complex_numIdES1_PKS1_PS1_EviT_T9_T10_S5_lS7_S5_lS6_T11_S5_li.uses_flat_scratch, 0
	.set _ZL29rocblas_internal_gemmt_kernelIiLi16ELi32ELi8ELc84ELc67ELc85ELb0ELb1E19rocblas_complex_numIdES1_PKS1_PS1_EviT_T9_T10_S5_lS7_S5_lS6_T11_S5_li.has_dyn_sized_stack, 0
	.set _ZL29rocblas_internal_gemmt_kernelIiLi16ELi32ELi8ELc84ELc67ELc85ELb0ELb1E19rocblas_complex_numIdES1_PKS1_PS1_EviT_T9_T10_S5_lS7_S5_lS6_T11_S5_li.has_recursion, 0
	.set _ZL29rocblas_internal_gemmt_kernelIiLi16ELi32ELi8ELc84ELc67ELc85ELb0ELb1E19rocblas_complex_numIdES1_PKS1_PS1_EviT_T9_T10_S5_lS7_S5_lS6_T11_S5_li.has_indirect_call, 0
	.section	.AMDGPU.csdata,"",@progbits
; Kernel info:
; codeLenInByte = 3116
; TotalNumSgprs: 42
; NumVgprs: 62
; NumAgprs: 0
; TotalNumVgprs: 62
; ScratchSize: 0
; MemoryBound: 1
; FloatMode: 240
; IeeeMode: 1
; LDSByteSize: 8192 bytes/workgroup (compile time only)
; SGPRBlocks: 5
; VGPRBlocks: 7
; NumSGPRsForWavesPerEU: 42
; NumVGPRsForWavesPerEU: 62
; AccumOffset: 64
; Occupancy: 8
; WaveLimiterHint : 0
; COMPUTE_PGM_RSRC2:SCRATCH_EN: 0
; COMPUTE_PGM_RSRC2:USER_SGPR: 2
; COMPUTE_PGM_RSRC2:TRAP_HANDLER: 0
; COMPUTE_PGM_RSRC2:TGID_X_EN: 1
; COMPUTE_PGM_RSRC2:TGID_Y_EN: 1
; COMPUTE_PGM_RSRC2:TGID_Z_EN: 1
; COMPUTE_PGM_RSRC2:TIDIG_COMP_CNT: 1
; COMPUTE_PGM_RSRC3_GFX90A:ACCUM_OFFSET: 15
; COMPUTE_PGM_RSRC3_GFX90A:TG_SPLIT: 0
	.section	.text._ZL29rocblas_internal_gemmt_kernelIiLi16ELi32ELi8ELc67ELc78ELc85ELb1ELb0E19rocblas_complex_numIdES1_PKS1_PS1_EviT_T9_T10_S5_lS7_S5_lS6_T11_S5_li,"axG",@progbits,_ZL29rocblas_internal_gemmt_kernelIiLi16ELi32ELi8ELc67ELc78ELc85ELb1ELb0E19rocblas_complex_numIdES1_PKS1_PS1_EviT_T9_T10_S5_lS7_S5_lS6_T11_S5_li,comdat
	.globl	_ZL29rocblas_internal_gemmt_kernelIiLi16ELi32ELi8ELc67ELc78ELc85ELb1ELb0E19rocblas_complex_numIdES1_PKS1_PS1_EviT_T9_T10_S5_lS7_S5_lS6_T11_S5_li ; -- Begin function _ZL29rocblas_internal_gemmt_kernelIiLi16ELi32ELi8ELc67ELc78ELc85ELb1ELb0E19rocblas_complex_numIdES1_PKS1_PS1_EviT_T9_T10_S5_lS7_S5_lS6_T11_S5_li
	.p2align	8
	.type	_ZL29rocblas_internal_gemmt_kernelIiLi16ELi32ELi8ELc67ELc78ELc85ELb1ELb0E19rocblas_complex_numIdES1_PKS1_PS1_EviT_T9_T10_S5_lS7_S5_lS6_T11_S5_li,@function
_ZL29rocblas_internal_gemmt_kernelIiLi16ELi32ELi8ELc67ELc78ELc85ELb1ELb0E19rocblas_complex_numIdES1_PKS1_PS1_EviT_T9_T10_S5_lS7_S5_lS6_T11_S5_li: ; @_ZL29rocblas_internal_gemmt_kernelIiLi16ELi32ELi8ELc67ELc78ELc85ELb1ELb0E19rocblas_complex_numIdES1_PKS1_PS1_EviT_T9_T10_S5_lS7_S5_lS6_T11_S5_li
; %bb.0:
	s_load_dwordx8 s[8:15], s[0:1], 0x40
	s_load_dwordx2 s[6:7], s[0:1], 0x0
	s_load_dwordx4 s[16:19], s[0:1], 0x8
	s_mov_b64 s[20:21], 0
	s_waitcnt lgkmcnt(0)
	v_cmp_eq_f64_e64 s[22:23], s[10:11], 1.0
	v_cmp_eq_f64_e64 s[24:25], s[12:13], 0
	s_and_b64 s[22:23], s[22:23], s[24:25]
	s_andn2_b64 vcc, exec, s[22:23]
	s_mov_b64 s[22:23], -1
	s_cbranch_vccnz .LBB132_4
; %bb.1:
	s_cmp_lg_u32 s7, 0
	s_cbranch_scc0 .LBB132_3
; %bb.2:
	v_cmp_neq_f64_e64 s[20:21], s[16:17], 0
	v_cmp_neq_f64_e64 s[22:23], s[18:19], 0
	s_or_b64 s[20:21], s[20:21], s[22:23]
.LBB132_3:
	s_mov_b64 s[22:23], s[20:21]
.LBB132_4:
	s_and_b64 vcc, exec, s[22:23]
	s_cbranch_vccz .LBB132_30
; %bb.5:
	s_lshl_b32 s5, s2, 5
	s_lshl_b32 s26, s3, 5
	v_cmp_eq_f64_e64 s[2:3], s[16:17], 0
	v_cmp_eq_f64_e64 s[20:21], s[18:19], 0
	s_and_b64 s[2:3], s[2:3], s[20:21]
	s_cmp_lt_i32 s7, 1
	s_cselect_b64 s[20:21], -1, 0
	s_or_b64 s[2:3], s[2:3], s[20:21]
	v_and_b32_e32 v29, 0x3ff, v0
	v_bfe_u32 v28, v0, 10, 10
	s_mov_b32 s27, 0
	v_mov_b64_e32 v[24:25], 0
	s_and_b64 vcc, exec, s[2:3]
	v_mov_b64_e32 v[26:27], 0
	v_mov_b64_e32 v[20:21], 0
	;; [unrolled: 1-line block ×7, first 2 shown]
	s_cbranch_vccnz .LBB132_14
; %bb.6:
	v_lshl_add_u32 v0, v28, 4, v29
	v_lshrrev_b32_e32 v31, 5, v0
	v_lshrrev_b32_e32 v1, 3, v0
	v_and_b32_e32 v0, 31, v0
	v_or_b32_e32 v2, s5, v0
	v_and_b32_e32 v30, 7, v29
	v_cmp_gt_i32_e32 vcc, s6, v2
	v_lshlrev_b32_e32 v2, 4, v0
	s_load_dwordx2 s[28:29], s[0:1], 0x18
	s_load_dword s30, s[0:1], 0x20
	s_load_dwordx4 s[20:23], s[0:1], 0x28
	s_load_dword s33, s[0:1], 0x38
	v_lshl_or_b32 v32, v31, 9, v2
	v_lshlrev_b32_e32 v2, 4, v30
	v_add_u32_e32 v3, s26, v1
	v_lshl_or_b32 v1, v1, 7, v2
	v_add_u32_e32 v33, 0x1000, v1
	v_mov_b32_e32 v1, 0x1000
	v_add_u32_e32 v0, s5, v0
	v_lshl_add_u32 v35, v28, 7, v1
	s_waitcnt lgkmcnt(0)
	v_mad_i64_i32 v[0:1], s[30:31], s30, v0, 0
	s_mul_i32 s21, s21, s4
	s_mul_hi_u32 s30, s20, s4
	s_add_i32 s21, s30, s21
	s_mul_i32 s20, s20, s4
	s_lshl_b64 s[20:21], s[20:21], 4
	v_lshl_add_u64 v[4:5], v[0:1], 4, s[20:21]
	v_lshlrev_b32_e32 v0, 4, v31
	v_mov_b32_e32 v1, 0
	v_lshl_add_u64 v[4:5], v[4:5], 0, v[0:1]
	v_lshl_add_u64 v[4:5], s[28:29], 0, v[4:5]
	;; [unrolled: 1-line block ×3, first 2 shown]
	v_mad_i64_i32 v[4:5], s[20:21], s33, v3, 0
	s_mul_i32 s9, s9, s4
	s_mul_hi_u32 s20, s8, s4
	s_add_i32 s9, s20, s9
	s_mul_i32 s8, s8, s4
	s_lshl_b64 s[8:9], s[8:9], 4
	v_cmp_gt_i32_e64 s[2:3], s6, v3
	v_lshl_add_u64 v[4:5], v[4:5], 4, s[8:9]
	v_mov_b32_e32 v3, v1
	v_lshl_add_u64 v[2:3], v[4:5], 0, v[2:3]
	v_lshlrev_b32_e32 v34, 4, v29
	v_lshl_add_u64 v[10:11], s[22:23], 0, v[2:3]
	v_mov_b64_e32 v[12:13], 0
	s_xor_b64 s[8:9], s[2:3], -1
	s_mov_b64 s[20:21], 0x80
	v_mov_b32_e32 v0, v1
	v_mov_b32_e32 v2, v1
	;; [unrolled: 1-line block ×3, first 2 shown]
	v_mov_b64_e32 v[14:15], 0
	v_mov_b64_e32 v[18:19], 0
	;; [unrolled: 1-line block ×7, first 2 shown]
	s_branch .LBB132_8
.LBB132_7:                              ;   in Loop: Header=BB132_8 Depth=1
	s_or_b64 exec, exec, s[2:3]
	s_waitcnt lgkmcnt(0)
	s_barrier
	ds_read_b128 v[4:7], v34
	ds_read_b128 v[36:39], v35
	ds_read_b128 v[40:43], v35 offset:16
	ds_read_b128 v[44:47], v35 offset:32
	;; [unrolled: 1-line block ×4, first 2 shown]
	s_waitcnt lgkmcnt(4)
	v_mul_f64 v[56:57], v[38:39], v[6:7]
	v_fma_f64 v[56:57], v[36:37], v[4:5], -v[56:57]
	v_mul_f64 v[58:59], v[36:37], v[6:7]
	v_fmac_f64_e32 v[58:59], v[38:39], v[4:5]
	v_add_f64 v[56:57], v[24:25], v[56:57]
	s_waitcnt lgkmcnt(0)
	v_mul_f64 v[24:25], v[38:39], v[54:55]
	v_add_f64 v[58:59], v[58:59], v[26:27]
	v_fma_f64 v[60:61], v[36:37], v[52:53], -v[24:25]
	ds_read_b128 v[24:27], v35 offset:2048
	v_mul_f64 v[36:37], v[36:37], v[54:55]
	v_fmac_f64_e32 v[36:37], v[38:39], v[52:53]
	v_add_f64 v[38:39], v[20:21], v[60:61]
	v_add_f64 v[36:37], v[36:37], v[22:23]
	ds_read_b128 v[20:23], v35 offset:2064
	s_waitcnt lgkmcnt(1)
	v_mul_f64 v[60:61], v[26:27], v[6:7]
	v_mul_f64 v[6:7], v[24:25], v[6:7]
	v_fma_f64 v[60:61], v[24:25], v[4:5], -v[60:61]
	v_fmac_f64_e32 v[6:7], v[26:27], v[4:5]
	v_mul_f64 v[4:5], v[26:27], v[54:55]
	v_add_f64 v[16:17], v[16:17], v[60:61]
	v_add_f64 v[18:19], v[6:7], v[18:19]
	v_fma_f64 v[60:61], v[24:25], v[52:53], -v[4:5]
	v_mul_f64 v[24:25], v[24:25], v[54:55]
	ds_read_b128 v[4:7], v34 offset:512
	v_fmac_f64_e32 v[24:25], v[26:27], v[52:53]
	v_add_f64 v[26:27], v[14:15], v[60:61]
	v_add_f64 v[24:25], v[24:25], v[12:13]
	ds_read_b128 v[12:15], v34 offset:768
	s_waitcnt lgkmcnt(1)
	v_mul_f64 v[52:53], v[42:43], v[6:7]
	v_fma_f64 v[52:53], v[40:41], v[4:5], -v[52:53]
	v_add_f64 v[52:53], v[56:57], v[52:53]
	v_mul_f64 v[54:55], v[40:41], v[6:7]
	s_waitcnt lgkmcnt(0)
	v_mul_f64 v[56:57], v[42:43], v[14:15]
	v_fma_f64 v[56:57], v[40:41], v[12:13], -v[56:57]
	v_mul_f64 v[40:41], v[40:41], v[14:15]
	v_fmac_f64_e32 v[40:41], v[42:43], v[12:13]
	v_add_f64 v[36:37], v[40:41], v[36:37]
	v_mul_f64 v[40:41], v[22:23], v[6:7]
	v_mul_f64 v[6:7], v[20:21], v[6:7]
	v_fmac_f64_e32 v[54:55], v[42:43], v[4:5]
	v_fma_f64 v[40:41], v[20:21], v[4:5], -v[40:41]
	v_fmac_f64_e32 v[6:7], v[22:23], v[4:5]
	v_mul_f64 v[4:5], v[22:23], v[14:15]
	v_add_f64 v[40:41], v[16:17], v[40:41]
	v_add_f64 v[42:43], v[6:7], v[18:19]
	v_fma_f64 v[16:17], v[20:21], v[12:13], -v[4:5]
	v_mul_f64 v[14:15], v[20:21], v[14:15]
	ds_read_b128 v[4:7], v34 offset:1024
	v_fmac_f64_e32 v[14:15], v[22:23], v[12:13]
	v_add_f64 v[24:25], v[14:15], v[24:25]
	ds_read_b128 v[12:15], v34 offset:1280
	v_add_f64 v[26:27], v[26:27], v[16:17]
	s_waitcnt lgkmcnt(1)
	v_mul_f64 v[16:17], v[46:47], v[6:7]
	v_fma_f64 v[16:17], v[44:45], v[4:5], -v[16:17]
	v_mul_f64 v[18:19], v[44:45], v[6:7]
	v_add_f64 v[54:55], v[54:55], v[58:59]
	v_fmac_f64_e32 v[18:19], v[46:47], v[4:5]
	v_add_f64 v[52:53], v[52:53], v[16:17]
	s_waitcnt lgkmcnt(0)
	v_mul_f64 v[16:17], v[46:47], v[14:15]
	v_add_f64 v[54:55], v[18:19], v[54:55]
	v_fma_f64 v[20:21], v[44:45], v[12:13], -v[16:17]
	ds_read_b128 v[16:19], v35 offset:2080
	v_mul_f64 v[22:23], v[44:45], v[14:15]
	v_add_f64 v[38:39], v[38:39], v[56:57]
	v_fmac_f64_e32 v[22:23], v[46:47], v[12:13]
	v_add_f64 v[38:39], v[38:39], v[20:21]
	v_add_f64 v[36:37], v[22:23], v[36:37]
	ds_read_b128 v[20:23], v35 offset:2096
	s_waitcnt lgkmcnt(1)
	v_mul_f64 v[44:45], v[18:19], v[6:7]
	v_mul_f64 v[6:7], v[16:17], v[6:7]
	v_fma_f64 v[44:45], v[16:17], v[4:5], -v[44:45]
	v_fmac_f64_e32 v[6:7], v[18:19], v[4:5]
	v_mul_f64 v[4:5], v[18:19], v[14:15]
	v_mul_f64 v[14:15], v[16:17], v[14:15]
	v_fmac_f64_e32 v[14:15], v[18:19], v[12:13]
	v_add_f64 v[40:41], v[40:41], v[44:45]
	v_add_f64 v[42:43], v[6:7], v[42:43]
	v_fma_f64 v[44:45], v[16:17], v[12:13], -v[4:5]
	ds_read_b128 v[4:7], v34 offset:1536
	v_add_f64 v[18:19], v[14:15], v[24:25]
	ds_read_b128 v[12:15], v34 offset:1792
	v_add_f64 v[16:17], v[26:27], v[44:45]
	s_add_i32 s27, s27, 8
	s_waitcnt lgkmcnt(1)
	v_mul_f64 v[24:25], v[50:51], v[6:7]
	v_mul_f64 v[26:27], v[48:49], v[6:7]
	s_waitcnt lgkmcnt(0)
	v_mul_f64 v[44:45], v[50:51], v[14:15]
	v_fma_f64 v[44:45], v[48:49], v[12:13], -v[44:45]
	v_add_f64 v[38:39], v[38:39], v[44:45]
	v_mul_f64 v[44:45], v[22:23], v[6:7]
	v_mul_f64 v[6:7], v[20:21], v[6:7]
	v_fma_f64 v[24:25], v[48:49], v[4:5], -v[24:25]
	v_fmac_f64_e32 v[26:27], v[50:51], v[4:5]
	v_fma_f64 v[44:45], v[20:21], v[4:5], -v[44:45]
	v_fmac_f64_e32 v[6:7], v[22:23], v[4:5]
	v_mul_f64 v[4:5], v[22:23], v[14:15]
	v_mul_f64 v[46:47], v[48:49], v[14:15]
	v_add_f64 v[40:41], v[40:41], v[44:45]
	v_fma_f64 v[44:45], v[20:21], v[12:13], -v[4:5]
	v_mul_f64 v[20:21], v[20:21], v[14:15]
	v_fmac_f64_e32 v[46:47], v[50:51], v[12:13]
	v_add_f64 v[42:43], v[6:7], v[42:43]
	v_fmac_f64_e32 v[20:21], v[22:23], v[12:13]
	ds_read_b128 v[4:7], v35 offset:64
	ds_read_b128 v[12:15], v34 offset:2048
	v_add_f64 v[36:37], v[46:47], v[36:37]
	v_add_f64 v[44:45], v[16:17], v[44:45]
	;; [unrolled: 1-line block ×3, first 2 shown]
	ds_read_b128 v[16:19], v34 offset:2304
	ds_read_b128 v[20:23], v35 offset:80
	s_waitcnt lgkmcnt(2)
	v_mul_f64 v[48:49], v[6:7], v[14:15]
	v_add_f64 v[24:25], v[52:53], v[24:25]
	v_fma_f64 v[48:49], v[4:5], v[12:13], -v[48:49]
	v_mul_f64 v[50:51], v[4:5], v[14:15]
	v_add_f64 v[26:27], v[26:27], v[54:55]
	v_fmac_f64_e32 v[50:51], v[6:7], v[12:13]
	v_add_f64 v[48:49], v[24:25], v[48:49]
	s_waitcnt lgkmcnt(1)
	v_mul_f64 v[24:25], v[6:7], v[18:19]
	v_add_f64 v[50:51], v[50:51], v[26:27]
	v_fma_f64 v[52:53], v[4:5], v[16:17], -v[24:25]
	ds_read_b128 v[24:27], v35 offset:2112
	v_mul_f64 v[4:5], v[4:5], v[18:19]
	v_fmac_f64_e32 v[4:5], v[6:7], v[16:17]
	v_add_f64 v[38:39], v[38:39], v[52:53]
	v_add_f64 v[36:37], v[4:5], v[36:37]
	ds_read_b128 v[4:7], v35 offset:2128
	s_waitcnt lgkmcnt(1)
	v_mul_f64 v[52:53], v[26:27], v[14:15]
	v_mul_f64 v[14:15], v[24:25], v[14:15]
	v_fma_f64 v[52:53], v[24:25], v[12:13], -v[52:53]
	v_fmac_f64_e32 v[14:15], v[26:27], v[12:13]
	v_mul_f64 v[12:13], v[26:27], v[18:19]
	v_add_f64 v[40:41], v[40:41], v[52:53]
	v_add_f64 v[42:43], v[14:15], v[42:43]
	v_fma_f64 v[52:53], v[24:25], v[16:17], -v[12:13]
	v_mul_f64 v[18:19], v[24:25], v[18:19]
	ds_read_b128 v[12:15], v34 offset:2560
	v_fmac_f64_e32 v[18:19], v[26:27], v[16:17]
	v_add_f64 v[26:27], v[18:19], v[46:47]
	ds_read_b128 v[16:19], v34 offset:2816
	v_add_f64 v[24:25], v[44:45], v[52:53]
	s_waitcnt lgkmcnt(1)
	v_mul_f64 v[44:45], v[22:23], v[14:15]
	v_fma_f64 v[44:45], v[20:21], v[12:13], -v[44:45]
	v_add_f64 v[44:45], v[48:49], v[44:45]
	s_waitcnt lgkmcnt(0)
	v_mul_f64 v[48:49], v[22:23], v[18:19]
	v_mul_f64 v[46:47], v[20:21], v[14:15]
	v_fma_f64 v[48:49], v[20:21], v[16:17], -v[48:49]
	v_mul_f64 v[20:21], v[20:21], v[18:19]
	v_fmac_f64_e32 v[20:21], v[22:23], v[16:17]
	v_add_f64 v[36:37], v[20:21], v[36:37]
	v_mul_f64 v[20:21], v[6:7], v[14:15]
	v_mul_f64 v[14:15], v[4:5], v[14:15]
	v_fmac_f64_e32 v[46:47], v[22:23], v[12:13]
	v_fma_f64 v[20:21], v[4:5], v[12:13], -v[20:21]
	v_fmac_f64_e32 v[14:15], v[6:7], v[12:13]
	v_mul_f64 v[12:13], v[6:7], v[18:19]
	v_mul_f64 v[18:19], v[4:5], v[18:19]
	v_add_f64 v[40:41], v[40:41], v[20:21]
	v_add_f64 v[42:43], v[14:15], v[42:43]
	v_fma_f64 v[20:21], v[4:5], v[16:17], -v[12:13]
	v_fmac_f64_e32 v[18:19], v[6:7], v[16:17]
	ds_read_b128 v[4:7], v35 offset:96
	ds_read_b128 v[12:15], v34 offset:3072
	v_add_f64 v[46:47], v[46:47], v[50:51]
	v_add_f64 v[38:39], v[38:39], v[48:49]
	;; [unrolled: 1-line block ×4, first 2 shown]
	ds_read_b128 v[16:19], v34 offset:3328
	ds_read_b128 v[20:23], v35 offset:112
	s_waitcnt lgkmcnt(2)
	v_mul_f64 v[24:25], v[6:7], v[14:15]
	v_fma_f64 v[24:25], v[4:5], v[12:13], -v[24:25]
	v_mul_f64 v[26:27], v[4:5], v[14:15]
	v_fmac_f64_e32 v[26:27], v[6:7], v[12:13]
	v_add_f64 v[44:45], v[44:45], v[24:25]
	s_waitcnt lgkmcnt(1)
	v_mul_f64 v[24:25], v[6:7], v[18:19]
	v_add_f64 v[46:47], v[26:27], v[46:47]
	v_fma_f64 v[52:53], v[4:5], v[16:17], -v[24:25]
	ds_read_b128 v[24:27], v35 offset:2144
	v_mul_f64 v[4:5], v[4:5], v[18:19]
	v_fmac_f64_e32 v[4:5], v[6:7], v[16:17]
	v_add_f64 v[54:55], v[4:5], v[36:37]
	ds_read_b128 v[4:7], v35 offset:2160
	s_waitcnt lgkmcnt(1)
	v_mul_f64 v[36:37], v[26:27], v[14:15]
	v_mul_f64 v[14:15], v[24:25], v[14:15]
	v_fma_f64 v[36:37], v[24:25], v[12:13], -v[36:37]
	v_fmac_f64_e32 v[14:15], v[26:27], v[12:13]
	v_mul_f64 v[12:13], v[26:27], v[18:19]
	v_add_f64 v[40:41], v[40:41], v[36:37]
	v_add_f64 v[42:43], v[14:15], v[42:43]
	v_fma_f64 v[36:37], v[24:25], v[16:17], -v[12:13]
	ds_read_b128 v[12:15], v34 offset:3584
	v_add_f64 v[52:53], v[38:39], v[52:53]
	v_add_f64 v[48:49], v[48:49], v[36:37]
	ds_read_b128 v[36:39], v34 offset:3840
	v_mul_f64 v[18:19], v[24:25], v[18:19]
	v_fmac_f64_e32 v[18:19], v[26:27], v[16:17]
	s_waitcnt lgkmcnt(1)
	v_mul_f64 v[16:17], v[22:23], v[14:15]
	v_fma_f64 v[16:17], v[20:21], v[12:13], -v[16:17]
	v_add_f64 v[50:51], v[18:19], v[50:51]
	v_mul_f64 v[18:19], v[20:21], v[14:15]
	v_add_f64 v[24:25], v[44:45], v[16:17]
	s_waitcnt lgkmcnt(0)
	v_mul_f64 v[16:17], v[22:23], v[38:39]
	v_fmac_f64_e32 v[18:19], v[22:23], v[12:13]
	v_fma_f64 v[16:17], v[20:21], v[36:37], -v[16:17]
	v_add_f64 v[26:27], v[18:19], v[46:47]
	v_mul_f64 v[18:19], v[20:21], v[38:39]
	v_add_f64 v[20:21], v[52:53], v[16:17]
	v_mul_f64 v[16:17], v[6:7], v[14:15]
	v_mul_f64 v[14:15], v[4:5], v[14:15]
	v_fma_f64 v[16:17], v[4:5], v[12:13], -v[16:17]
	v_fmac_f64_e32 v[14:15], v[6:7], v[12:13]
	v_mul_f64 v[12:13], v[6:7], v[38:39]
	v_fma_f64 v[12:13], v[4:5], v[36:37], -v[12:13]
	v_mul_f64 v[4:5], v[4:5], v[38:39]
	v_fmac_f64_e32 v[18:19], v[22:23], v[36:37]
	v_fmac_f64_e32 v[4:5], v[6:7], v[36:37]
	v_add_f64 v[22:23], v[18:19], v[54:55]
	v_add_f64 v[16:17], v[40:41], v[16:17]
	;; [unrolled: 1-line block ×5, first 2 shown]
	v_lshl_add_u64 v[8:9], v[8:9], 0, s[20:21]
	s_cmp_lt_i32 s27, s7
	v_lshl_add_u64 v[10:11], v[10:11], 0, s[20:21]
	s_barrier
	s_cbranch_scc0 .LBB132_14
.LBB132_8:                              ; =>This Inner Loop Header: Depth=1
	v_add_u32_e32 v4, s27, v31
	v_cmp_gt_i32_e64 s[2:3], s7, v4
	s_and_b64 s[22:23], vcc, s[2:3]
	v_mov_b64_e32 v[4:5], 0
	v_mov_b64_e32 v[6:7], 0
	s_and_saveexec_b64 s[2:3], s[22:23]
	s_cbranch_execz .LBB132_10
; %bb.9:                                ;   in Loop: Header=BB132_8 Depth=1
	global_load_dwordx4 v[4:7], v[8:9], off offset:-8
	s_waitcnt vmcnt(0)
	v_xor_b32_e32 v7, 0x80000000, v7
.LBB132_10:                             ;   in Loop: Header=BB132_8 Depth=1
	s_or_b64 exec, exec, s[2:3]
	ds_write_b128 v32, v[4:7]
	v_add_u32_e32 v4, s27, v30
	v_cmp_le_i32_e64 s[2:3], s7, v4
	s_or_b64 s[2:3], s[2:3], s[8:9]
	s_and_saveexec_b64 s[22:23], s[2:3]
	s_xor_b64 s[2:3], exec, s[22:23]
; %bb.11:                               ;   in Loop: Header=BB132_8 Depth=1
	ds_write_b128 v33, v[0:3]
; %bb.12:                               ;   in Loop: Header=BB132_8 Depth=1
	s_andn2_saveexec_b64 s[2:3], s[2:3]
	s_cbranch_execz .LBB132_7
; %bb.13:                               ;   in Loop: Header=BB132_8 Depth=1
	global_load_dwordx4 v[4:7], v[10:11], off
	s_waitcnt vmcnt(0)
	ds_write2_b64 v33, v[4:5], v[6:7] offset1:1
	s_branch .LBB132_7
.LBB132_14:
	s_load_dwordx2 s[2:3], s[0:1], 0x68
	s_load_dword s7, s[0:1], 0x60
	v_add_u32_e32 v4, s5, v29
	v_add_u32_e32 v10, s26, v28
	v_cmp_le_i32_e32 vcc, v4, v10
	s_waitcnt lgkmcnt(0)
	s_mul_i32 s1, s3, s4
	s_mul_hi_u32 s3, s2, s4
	s_mul_i32 s0, s2, s4
	s_add_i32 s1, s3, s1
	s_lshl_b64 s[0:1], s[0:1], 4
	s_add_u32 s4, s14, s0
	s_addc_u32 s5, s15, s1
	v_cmp_neq_f64_e64 s[0:1], s[10:11], 0
	s_xor_b64 s[8:9], s[24:25], -1
	v_mad_i64_i32 v[0:1], s[14:15], v10, s7, 0
	s_or_b64 s[0:1], s[0:1], s[8:9]
	v_cmp_gt_i32_e64 s[2:3], s6, v10
	v_lshl_add_u64 v[8:9], v[0:1], 4, s[4:5]
	v_cndmask_b32_e64 v0, 0, 1, s[0:1]
	s_and_b64 s[14:15], s[2:3], vcc
	v_ashrrev_i32_e32 v5, 31, v4
	v_cmp_ne_u32_e64 s[0:1], 1, v0
	s_and_saveexec_b64 s[8:9], s[14:15]
	s_cbranch_execz .LBB132_18
; %bb.15:
	v_mul_f64 v[0:1], s[18:19], v[26:27]
	v_mul_f64 v[2:3], s[16:17], v[26:27]
	v_fma_f64 v[0:1], s[16:17], v[24:25], -v[0:1]
	v_fmac_f64_e32 v[2:3], s[18:19], v[24:25]
	s_and_b64 vcc, exec, s[0:1]
	v_lshl_add_u64 v[6:7], v[4:5], 4, v[8:9]
	s_cbranch_vccnz .LBB132_17
; %bb.16:
	global_load_dwordx4 v[24:27], v[6:7], off
	s_waitcnt vmcnt(0)
	v_mul_f64 v[28:29], s[12:13], v[26:27]
	v_mul_f64 v[26:27], s[10:11], v[26:27]
	v_fma_f64 v[28:29], s[10:11], v[24:25], -v[28:29]
	v_fmac_f64_e32 v[26:27], s[12:13], v[24:25]
	v_add_f64 v[0:1], v[0:1], v[28:29]
	v_add_f64 v[2:3], v[2:3], v[26:27]
.LBB132_17:
	global_store_dwordx4 v[6:7], v[0:3], off
.LBB132_18:
	s_or_b64 exec, exec, s[8:9]
	v_add_u32_e32 v6, 16, v4
	v_cmp_le_i32_e32 vcc, v6, v10
	s_and_b64 s[8:9], s[2:3], vcc
	v_ashrrev_i32_e32 v7, 31, v6
	s_and_saveexec_b64 s[2:3], s[8:9]
	s_cbranch_execz .LBB132_22
; %bb.19:
	v_mul_f64 v[0:1], s[18:19], v[22:23]
	v_mul_f64 v[2:3], s[16:17], v[22:23]
	v_fma_f64 v[0:1], s[16:17], v[20:21], -v[0:1]
	v_fmac_f64_e32 v[2:3], s[18:19], v[20:21]
	s_and_b64 vcc, exec, s[0:1]
	v_lshl_add_u64 v[8:9], v[6:7], 4, v[8:9]
	s_cbranch_vccnz .LBB132_21
; %bb.20:
	global_load_dwordx4 v[20:23], v[8:9], off
	s_waitcnt vmcnt(0)
	v_mul_f64 v[24:25], s[12:13], v[22:23]
	v_mul_f64 v[22:23], s[10:11], v[22:23]
	v_fma_f64 v[24:25], s[10:11], v[20:21], -v[24:25]
	v_fmac_f64_e32 v[22:23], s[12:13], v[20:21]
	v_add_f64 v[0:1], v[0:1], v[24:25]
	v_add_f64 v[2:3], v[2:3], v[22:23]
.LBB132_21:
	global_store_dwordx4 v[8:9], v[0:3], off
.LBB132_22:
	s_or_b64 exec, exec, s[2:3]
	v_add_u32_e32 v10, 16, v10
	v_cmp_gt_i32_e64 s[2:3], s6, v10
	v_mad_i64_i32 v[0:1], s[6:7], v10, s7, 0
	v_cmp_le_i32_e32 vcc, v4, v10
	v_lshl_add_u64 v[8:9], v[0:1], 4, s[4:5]
	s_and_b64 s[6:7], s[2:3], vcc
	s_and_saveexec_b64 s[4:5], s[6:7]
	s_cbranch_execz .LBB132_26
; %bb.23:
	v_mul_f64 v[0:1], s[18:19], v[18:19]
	v_mul_f64 v[2:3], s[16:17], v[18:19]
	v_fma_f64 v[0:1], s[16:17], v[16:17], -v[0:1]
	v_fmac_f64_e32 v[2:3], s[18:19], v[16:17]
	s_and_b64 vcc, exec, s[0:1]
	v_lshl_add_u64 v[4:5], v[4:5], 4, v[8:9]
	s_cbranch_vccnz .LBB132_25
; %bb.24:
	global_load_dwordx4 v[16:19], v[4:5], off
	s_waitcnt vmcnt(0)
	v_mul_f64 v[20:21], s[12:13], v[18:19]
	v_mul_f64 v[18:19], s[10:11], v[18:19]
	v_fma_f64 v[20:21], s[10:11], v[16:17], -v[20:21]
	v_fmac_f64_e32 v[18:19], s[12:13], v[16:17]
	v_add_f64 v[0:1], v[0:1], v[20:21]
	v_add_f64 v[2:3], v[2:3], v[18:19]
.LBB132_25:
	global_store_dwordx4 v[4:5], v[0:3], off
.LBB132_26:
	s_or_b64 exec, exec, s[4:5]
	v_cmp_le_i32_e32 vcc, v6, v10
	s_and_b64 s[2:3], s[2:3], vcc
	s_and_saveexec_b64 s[4:5], s[2:3]
	s_cbranch_execz .LBB132_30
; %bb.27:
	v_mul_f64 v[0:1], s[18:19], v[12:13]
	v_mul_f64 v[2:3], s[16:17], v[12:13]
	v_fma_f64 v[0:1], s[16:17], v[14:15], -v[0:1]
	v_fmac_f64_e32 v[2:3], s[18:19], v[14:15]
	s_and_b64 vcc, exec, s[0:1]
	v_lshl_add_u64 v[4:5], v[6:7], 4, v[8:9]
	s_cbranch_vccnz .LBB132_29
; %bb.28:
	global_load_dwordx4 v[6:9], v[4:5], off
	s_waitcnt vmcnt(0)
	v_mul_f64 v[10:11], s[12:13], v[8:9]
	v_mul_f64 v[8:9], s[10:11], v[8:9]
	v_fma_f64 v[10:11], s[10:11], v[6:7], -v[10:11]
	v_fmac_f64_e32 v[8:9], s[12:13], v[6:7]
	v_add_f64 v[0:1], v[0:1], v[10:11]
	v_add_f64 v[2:3], v[2:3], v[8:9]
.LBB132_29:
	global_store_dwordx4 v[4:5], v[0:3], off
.LBB132_30:
	s_endpgm
	.section	.rodata,"a",@progbits
	.p2align	6, 0x0
	.amdhsa_kernel _ZL29rocblas_internal_gemmt_kernelIiLi16ELi32ELi8ELc67ELc78ELc85ELb1ELb0E19rocblas_complex_numIdES1_PKS1_PS1_EviT_T9_T10_S5_lS7_S5_lS6_T11_S5_li
		.amdhsa_group_segment_fixed_size 8192
		.amdhsa_private_segment_fixed_size 0
		.amdhsa_kernarg_size 116
		.amdhsa_user_sgpr_count 2
		.amdhsa_user_sgpr_dispatch_ptr 0
		.amdhsa_user_sgpr_queue_ptr 0
		.amdhsa_user_sgpr_kernarg_segment_ptr 1
		.amdhsa_user_sgpr_dispatch_id 0
		.amdhsa_user_sgpr_kernarg_preload_length 0
		.amdhsa_user_sgpr_kernarg_preload_offset 0
		.amdhsa_user_sgpr_private_segment_size 0
		.amdhsa_uses_dynamic_stack 0
		.amdhsa_enable_private_segment 0
		.amdhsa_system_sgpr_workgroup_id_x 1
		.amdhsa_system_sgpr_workgroup_id_y 1
		.amdhsa_system_sgpr_workgroup_id_z 1
		.amdhsa_system_sgpr_workgroup_info 0
		.amdhsa_system_vgpr_workitem_id 1
		.amdhsa_next_free_vgpr 62
		.amdhsa_next_free_sgpr 34
		.amdhsa_accum_offset 64
		.amdhsa_reserve_vcc 1
		.amdhsa_float_round_mode_32 0
		.amdhsa_float_round_mode_16_64 0
		.amdhsa_float_denorm_mode_32 3
		.amdhsa_float_denorm_mode_16_64 3
		.amdhsa_dx10_clamp 1
		.amdhsa_ieee_mode 1
		.amdhsa_fp16_overflow 0
		.amdhsa_tg_split 0
		.amdhsa_exception_fp_ieee_invalid_op 0
		.amdhsa_exception_fp_denorm_src 0
		.amdhsa_exception_fp_ieee_div_zero 0
		.amdhsa_exception_fp_ieee_overflow 0
		.amdhsa_exception_fp_ieee_underflow 0
		.amdhsa_exception_fp_ieee_inexact 0
		.amdhsa_exception_int_div_zero 0
	.end_amdhsa_kernel
	.section	.text._ZL29rocblas_internal_gemmt_kernelIiLi16ELi32ELi8ELc67ELc78ELc85ELb1ELb0E19rocblas_complex_numIdES1_PKS1_PS1_EviT_T9_T10_S5_lS7_S5_lS6_T11_S5_li,"axG",@progbits,_ZL29rocblas_internal_gemmt_kernelIiLi16ELi32ELi8ELc67ELc78ELc85ELb1ELb0E19rocblas_complex_numIdES1_PKS1_PS1_EviT_T9_T10_S5_lS7_S5_lS6_T11_S5_li,comdat
.Lfunc_end132:
	.size	_ZL29rocblas_internal_gemmt_kernelIiLi16ELi32ELi8ELc67ELc78ELc85ELb1ELb0E19rocblas_complex_numIdES1_PKS1_PS1_EviT_T9_T10_S5_lS7_S5_lS6_T11_S5_li, .Lfunc_end132-_ZL29rocblas_internal_gemmt_kernelIiLi16ELi32ELi8ELc67ELc78ELc85ELb1ELb0E19rocblas_complex_numIdES1_PKS1_PS1_EviT_T9_T10_S5_lS7_S5_lS6_T11_S5_li
                                        ; -- End function
	.set _ZL29rocblas_internal_gemmt_kernelIiLi16ELi32ELi8ELc67ELc78ELc85ELb1ELb0E19rocblas_complex_numIdES1_PKS1_PS1_EviT_T9_T10_S5_lS7_S5_lS6_T11_S5_li.num_vgpr, 62
	.set _ZL29rocblas_internal_gemmt_kernelIiLi16ELi32ELi8ELc67ELc78ELc85ELb1ELb0E19rocblas_complex_numIdES1_PKS1_PS1_EviT_T9_T10_S5_lS7_S5_lS6_T11_S5_li.num_agpr, 0
	.set _ZL29rocblas_internal_gemmt_kernelIiLi16ELi32ELi8ELc67ELc78ELc85ELb1ELb0E19rocblas_complex_numIdES1_PKS1_PS1_EviT_T9_T10_S5_lS7_S5_lS6_T11_S5_li.numbered_sgpr, 34
	.set _ZL29rocblas_internal_gemmt_kernelIiLi16ELi32ELi8ELc67ELc78ELc85ELb1ELb0E19rocblas_complex_numIdES1_PKS1_PS1_EviT_T9_T10_S5_lS7_S5_lS6_T11_S5_li.num_named_barrier, 0
	.set _ZL29rocblas_internal_gemmt_kernelIiLi16ELi32ELi8ELc67ELc78ELc85ELb1ELb0E19rocblas_complex_numIdES1_PKS1_PS1_EviT_T9_T10_S5_lS7_S5_lS6_T11_S5_li.private_seg_size, 0
	.set _ZL29rocblas_internal_gemmt_kernelIiLi16ELi32ELi8ELc67ELc78ELc85ELb1ELb0E19rocblas_complex_numIdES1_PKS1_PS1_EviT_T9_T10_S5_lS7_S5_lS6_T11_S5_li.uses_vcc, 1
	.set _ZL29rocblas_internal_gemmt_kernelIiLi16ELi32ELi8ELc67ELc78ELc85ELb1ELb0E19rocblas_complex_numIdES1_PKS1_PS1_EviT_T9_T10_S5_lS7_S5_lS6_T11_S5_li.uses_flat_scratch, 0
	.set _ZL29rocblas_internal_gemmt_kernelIiLi16ELi32ELi8ELc67ELc78ELc85ELb1ELb0E19rocblas_complex_numIdES1_PKS1_PS1_EviT_T9_T10_S5_lS7_S5_lS6_T11_S5_li.has_dyn_sized_stack, 0
	.set _ZL29rocblas_internal_gemmt_kernelIiLi16ELi32ELi8ELc67ELc78ELc85ELb1ELb0E19rocblas_complex_numIdES1_PKS1_PS1_EviT_T9_T10_S5_lS7_S5_lS6_T11_S5_li.has_recursion, 0
	.set _ZL29rocblas_internal_gemmt_kernelIiLi16ELi32ELi8ELc67ELc78ELc85ELb1ELb0E19rocblas_complex_numIdES1_PKS1_PS1_EviT_T9_T10_S5_lS7_S5_lS6_T11_S5_li.has_indirect_call, 0
	.section	.AMDGPU.csdata,"",@progbits
; Kernel info:
; codeLenInByte = 3104
; TotalNumSgprs: 40
; NumVgprs: 62
; NumAgprs: 0
; TotalNumVgprs: 62
; ScratchSize: 0
; MemoryBound: 1
; FloatMode: 240
; IeeeMode: 1
; LDSByteSize: 8192 bytes/workgroup (compile time only)
; SGPRBlocks: 4
; VGPRBlocks: 7
; NumSGPRsForWavesPerEU: 40
; NumVGPRsForWavesPerEU: 62
; AccumOffset: 64
; Occupancy: 8
; WaveLimiterHint : 0
; COMPUTE_PGM_RSRC2:SCRATCH_EN: 0
; COMPUTE_PGM_RSRC2:USER_SGPR: 2
; COMPUTE_PGM_RSRC2:TRAP_HANDLER: 0
; COMPUTE_PGM_RSRC2:TGID_X_EN: 1
; COMPUTE_PGM_RSRC2:TGID_Y_EN: 1
; COMPUTE_PGM_RSRC2:TGID_Z_EN: 1
; COMPUTE_PGM_RSRC2:TIDIG_COMP_CNT: 1
; COMPUTE_PGM_RSRC3_GFX90A:ACCUM_OFFSET: 15
; COMPUTE_PGM_RSRC3_GFX90A:TG_SPLIT: 0
	.section	.text._ZL29rocblas_internal_gemmt_kernelIiLi16ELi32ELi8ELc67ELc84ELc85ELb1ELb0E19rocblas_complex_numIdES1_PKS1_PS1_EviT_T9_T10_S5_lS7_S5_lS6_T11_S5_li,"axG",@progbits,_ZL29rocblas_internal_gemmt_kernelIiLi16ELi32ELi8ELc67ELc84ELc85ELb1ELb0E19rocblas_complex_numIdES1_PKS1_PS1_EviT_T9_T10_S5_lS7_S5_lS6_T11_S5_li,comdat
	.globl	_ZL29rocblas_internal_gemmt_kernelIiLi16ELi32ELi8ELc67ELc84ELc85ELb1ELb0E19rocblas_complex_numIdES1_PKS1_PS1_EviT_T9_T10_S5_lS7_S5_lS6_T11_S5_li ; -- Begin function _ZL29rocblas_internal_gemmt_kernelIiLi16ELi32ELi8ELc67ELc84ELc85ELb1ELb0E19rocblas_complex_numIdES1_PKS1_PS1_EviT_T9_T10_S5_lS7_S5_lS6_T11_S5_li
	.p2align	8
	.type	_ZL29rocblas_internal_gemmt_kernelIiLi16ELi32ELi8ELc67ELc84ELc85ELb1ELb0E19rocblas_complex_numIdES1_PKS1_PS1_EviT_T9_T10_S5_lS7_S5_lS6_T11_S5_li,@function
_ZL29rocblas_internal_gemmt_kernelIiLi16ELi32ELi8ELc67ELc84ELc85ELb1ELb0E19rocblas_complex_numIdES1_PKS1_PS1_EviT_T9_T10_S5_lS7_S5_lS6_T11_S5_li: ; @_ZL29rocblas_internal_gemmt_kernelIiLi16ELi32ELi8ELc67ELc84ELc85ELb1ELb0E19rocblas_complex_numIdES1_PKS1_PS1_EviT_T9_T10_S5_lS7_S5_lS6_T11_S5_li
; %bb.0:
	s_load_dwordx8 s[8:15], s[0:1], 0x40
	s_load_dwordx2 s[6:7], s[0:1], 0x0
	s_load_dwordx4 s[16:19], s[0:1], 0x8
	s_mov_b64 s[20:21], 0
	s_waitcnt lgkmcnt(0)
	v_cmp_eq_f64_e64 s[22:23], s[10:11], 1.0
	v_cmp_eq_f64_e64 s[24:25], s[12:13], 0
	s_and_b64 s[22:23], s[22:23], s[24:25]
	s_andn2_b64 vcc, exec, s[22:23]
	s_mov_b64 s[22:23], -1
	s_cbranch_vccnz .LBB133_4
; %bb.1:
	s_cmp_lg_u32 s7, 0
	s_cbranch_scc0 .LBB133_3
; %bb.2:
	v_cmp_neq_f64_e64 s[20:21], s[16:17], 0
	v_cmp_neq_f64_e64 s[22:23], s[18:19], 0
	s_or_b64 s[20:21], s[20:21], s[22:23]
.LBB133_3:
	s_mov_b64 s[22:23], s[20:21]
.LBB133_4:
	s_and_b64 vcc, exec, s[22:23]
	s_cbranch_vccz .LBB133_30
; %bb.5:
	s_lshl_b32 s5, s2, 5
	s_lshl_b32 s26, s3, 5
	v_cmp_eq_f64_e64 s[2:3], s[16:17], 0
	v_cmp_eq_f64_e64 s[20:21], s[18:19], 0
	s_and_b64 s[2:3], s[2:3], s[20:21]
	s_cmp_lt_i32 s7, 1
	s_cselect_b64 s[20:21], -1, 0
	s_or_b64 s[2:3], s[2:3], s[20:21]
	v_and_b32_e32 v29, 0x3ff, v0
	v_bfe_u32 v28, v0, 10, 10
	s_mov_b32 s27, 0
	v_mov_b64_e32 v[24:25], 0
	s_and_b64 vcc, exec, s[2:3]
	v_mov_b64_e32 v[26:27], 0
	v_mov_b64_e32 v[20:21], 0
	;; [unrolled: 1-line block ×7, first 2 shown]
	s_cbranch_vccnz .LBB133_14
; %bb.6:
	v_lshl_add_u32 v0, v28, 4, v29
	v_lshrrev_b32_e32 v31, 5, v0
	v_lshrrev_b32_e32 v1, 3, v0
	v_and_b32_e32 v0, 31, v0
	s_load_dwordx4 s[20:23], s[0:1], 0x28
	s_load_dword s28, s[0:1], 0x38
	s_load_dwordx2 s[30:31], s[0:1], 0x18
	s_load_dword s33, s[0:1], 0x20
	v_or_b32_e32 v3, s5, v0
	v_and_b32_e32 v30, 7, v29
	v_cmp_gt_i32_e32 vcc, s6, v3
	v_lshlrev_b32_e32 v3, 4, v0
	v_lshl_or_b32 v32, v31, 9, v3
	v_lshlrev_b32_e32 v3, 4, v30
	v_add_u32_e32 v2, s26, v1
	v_lshl_or_b32 v1, v1, 7, v3
	v_add_u32_e32 v33, 0x1000, v1
	v_mov_b32_e32 v1, 0x1000
	v_add_u32_e32 v0, s5, v0
	v_lshl_add_u32 v35, v28, 7, v1
	s_waitcnt lgkmcnt(0)
	v_mad_i64_i32 v[0:1], s[34:35], s33, v0, 0
	s_mul_i32 s21, s21, s4
	s_mul_hi_u32 s33, s20, s4
	s_add_i32 s21, s33, s21
	s_mul_i32 s20, s20, s4
	s_lshl_b64 s[20:21], s[20:21], 4
	v_lshl_add_u64 v[4:5], v[0:1], 4, s[20:21]
	v_lshlrev_b32_e32 v0, 4, v31
	v_mov_b32_e32 v1, 0
	v_lshl_add_u64 v[4:5], v[4:5], 0, v[0:1]
	v_lshl_add_u64 v[4:5], s[30:31], 0, v[4:5]
	s_mul_i32 s9, s9, s4
	s_mul_hi_u32 s20, s8, s4
	v_lshl_add_u64 v[8:9], v[4:5], 0, 8
	s_add_i32 s9, s20, s9
	v_mad_i64_i32 v[4:5], s[20:21], s28, v30, 0
	s_mul_i32 s8, s8, s4
	v_lshlrev_b64 v[4:5], 4, v[4:5]
	v_ashrrev_i32_e32 v3, 31, v2
	v_lshl_add_u64 v[4:5], s[8:9], 4, v[4:5]
	s_ashr_i32 s29, s28, 31
	v_cmp_gt_i32_e64 s[2:3], s6, v2
	v_lshl_add_u64 v[2:3], v[2:3], 4, v[4:5]
	v_lshlrev_b32_e32 v34, 4, v29
	v_lshl_add_u64 v[10:11], s[22:23], 0, v[2:3]
	s_lshl_b64 s[8:9], s[28:29], 7
	v_mov_b64_e32 v[12:13], 0
	s_xor_b64 s[20:21], s[2:3], -1
	s_mov_b64 s[22:23], 0x80
	v_mov_b32_e32 v0, v1
	v_mov_b32_e32 v2, v1
	;; [unrolled: 1-line block ×3, first 2 shown]
	v_mov_b64_e32 v[14:15], 0
	v_mov_b64_e32 v[18:19], 0
	;; [unrolled: 1-line block ×7, first 2 shown]
	s_branch .LBB133_8
.LBB133_7:                              ;   in Loop: Header=BB133_8 Depth=1
	s_or_b64 exec, exec, s[2:3]
	s_waitcnt lgkmcnt(0)
	s_barrier
	ds_read_b128 v[4:7], v34
	ds_read_b128 v[36:39], v35
	ds_read_b128 v[40:43], v35 offset:16
	ds_read_b128 v[44:47], v35 offset:32
	;; [unrolled: 1-line block ×4, first 2 shown]
	s_waitcnt lgkmcnt(4)
	v_mul_f64 v[56:57], v[38:39], v[6:7]
	v_fma_f64 v[56:57], v[36:37], v[4:5], -v[56:57]
	v_mul_f64 v[58:59], v[36:37], v[6:7]
	v_fmac_f64_e32 v[58:59], v[38:39], v[4:5]
	v_add_f64 v[56:57], v[24:25], v[56:57]
	s_waitcnt lgkmcnt(0)
	v_mul_f64 v[24:25], v[38:39], v[54:55]
	v_add_f64 v[58:59], v[58:59], v[26:27]
	v_fma_f64 v[60:61], v[36:37], v[52:53], -v[24:25]
	ds_read_b128 v[24:27], v35 offset:2048
	v_mul_f64 v[36:37], v[36:37], v[54:55]
	v_fmac_f64_e32 v[36:37], v[38:39], v[52:53]
	v_add_f64 v[38:39], v[20:21], v[60:61]
	v_add_f64 v[36:37], v[36:37], v[22:23]
	ds_read_b128 v[20:23], v35 offset:2064
	s_waitcnt lgkmcnt(1)
	v_mul_f64 v[60:61], v[26:27], v[6:7]
	v_mul_f64 v[6:7], v[24:25], v[6:7]
	v_fma_f64 v[60:61], v[24:25], v[4:5], -v[60:61]
	v_fmac_f64_e32 v[6:7], v[26:27], v[4:5]
	v_mul_f64 v[4:5], v[26:27], v[54:55]
	v_add_f64 v[16:17], v[16:17], v[60:61]
	v_add_f64 v[18:19], v[6:7], v[18:19]
	v_fma_f64 v[60:61], v[24:25], v[52:53], -v[4:5]
	v_mul_f64 v[24:25], v[24:25], v[54:55]
	ds_read_b128 v[4:7], v34 offset:512
	v_fmac_f64_e32 v[24:25], v[26:27], v[52:53]
	v_add_f64 v[26:27], v[14:15], v[60:61]
	v_add_f64 v[24:25], v[24:25], v[12:13]
	ds_read_b128 v[12:15], v34 offset:768
	s_waitcnt lgkmcnt(1)
	v_mul_f64 v[52:53], v[42:43], v[6:7]
	v_fma_f64 v[52:53], v[40:41], v[4:5], -v[52:53]
	v_add_f64 v[52:53], v[56:57], v[52:53]
	v_mul_f64 v[54:55], v[40:41], v[6:7]
	s_waitcnt lgkmcnt(0)
	v_mul_f64 v[56:57], v[42:43], v[14:15]
	v_fma_f64 v[56:57], v[40:41], v[12:13], -v[56:57]
	v_mul_f64 v[40:41], v[40:41], v[14:15]
	v_fmac_f64_e32 v[40:41], v[42:43], v[12:13]
	v_add_f64 v[36:37], v[40:41], v[36:37]
	v_mul_f64 v[40:41], v[22:23], v[6:7]
	v_mul_f64 v[6:7], v[20:21], v[6:7]
	v_fmac_f64_e32 v[54:55], v[42:43], v[4:5]
	v_fma_f64 v[40:41], v[20:21], v[4:5], -v[40:41]
	v_fmac_f64_e32 v[6:7], v[22:23], v[4:5]
	v_mul_f64 v[4:5], v[22:23], v[14:15]
	v_add_f64 v[40:41], v[16:17], v[40:41]
	v_add_f64 v[42:43], v[6:7], v[18:19]
	v_fma_f64 v[16:17], v[20:21], v[12:13], -v[4:5]
	v_mul_f64 v[14:15], v[20:21], v[14:15]
	ds_read_b128 v[4:7], v34 offset:1024
	v_fmac_f64_e32 v[14:15], v[22:23], v[12:13]
	v_add_f64 v[24:25], v[14:15], v[24:25]
	ds_read_b128 v[12:15], v34 offset:1280
	v_add_f64 v[26:27], v[26:27], v[16:17]
	s_waitcnt lgkmcnt(1)
	v_mul_f64 v[16:17], v[46:47], v[6:7]
	v_fma_f64 v[16:17], v[44:45], v[4:5], -v[16:17]
	v_mul_f64 v[18:19], v[44:45], v[6:7]
	v_add_f64 v[54:55], v[54:55], v[58:59]
	v_fmac_f64_e32 v[18:19], v[46:47], v[4:5]
	v_add_f64 v[52:53], v[52:53], v[16:17]
	s_waitcnt lgkmcnt(0)
	v_mul_f64 v[16:17], v[46:47], v[14:15]
	v_add_f64 v[54:55], v[18:19], v[54:55]
	v_fma_f64 v[20:21], v[44:45], v[12:13], -v[16:17]
	ds_read_b128 v[16:19], v35 offset:2080
	v_mul_f64 v[22:23], v[44:45], v[14:15]
	v_add_f64 v[38:39], v[38:39], v[56:57]
	v_fmac_f64_e32 v[22:23], v[46:47], v[12:13]
	v_add_f64 v[38:39], v[38:39], v[20:21]
	v_add_f64 v[36:37], v[22:23], v[36:37]
	ds_read_b128 v[20:23], v35 offset:2096
	s_waitcnt lgkmcnt(1)
	v_mul_f64 v[44:45], v[18:19], v[6:7]
	v_mul_f64 v[6:7], v[16:17], v[6:7]
	v_fma_f64 v[44:45], v[16:17], v[4:5], -v[44:45]
	v_fmac_f64_e32 v[6:7], v[18:19], v[4:5]
	v_mul_f64 v[4:5], v[18:19], v[14:15]
	v_mul_f64 v[14:15], v[16:17], v[14:15]
	v_fmac_f64_e32 v[14:15], v[18:19], v[12:13]
	v_add_f64 v[40:41], v[40:41], v[44:45]
	v_add_f64 v[42:43], v[6:7], v[42:43]
	v_fma_f64 v[44:45], v[16:17], v[12:13], -v[4:5]
	ds_read_b128 v[4:7], v34 offset:1536
	v_add_f64 v[18:19], v[14:15], v[24:25]
	ds_read_b128 v[12:15], v34 offset:1792
	v_add_f64 v[16:17], v[26:27], v[44:45]
	s_add_i32 s27, s27, 8
	s_waitcnt lgkmcnt(1)
	v_mul_f64 v[24:25], v[50:51], v[6:7]
	v_mul_f64 v[26:27], v[48:49], v[6:7]
	s_waitcnt lgkmcnt(0)
	v_mul_f64 v[44:45], v[50:51], v[14:15]
	v_fma_f64 v[44:45], v[48:49], v[12:13], -v[44:45]
	v_add_f64 v[38:39], v[38:39], v[44:45]
	v_mul_f64 v[44:45], v[22:23], v[6:7]
	v_mul_f64 v[6:7], v[20:21], v[6:7]
	v_fma_f64 v[24:25], v[48:49], v[4:5], -v[24:25]
	v_fmac_f64_e32 v[26:27], v[50:51], v[4:5]
	v_fma_f64 v[44:45], v[20:21], v[4:5], -v[44:45]
	v_fmac_f64_e32 v[6:7], v[22:23], v[4:5]
	v_mul_f64 v[4:5], v[22:23], v[14:15]
	v_mul_f64 v[46:47], v[48:49], v[14:15]
	v_add_f64 v[40:41], v[40:41], v[44:45]
	v_fma_f64 v[44:45], v[20:21], v[12:13], -v[4:5]
	v_mul_f64 v[20:21], v[20:21], v[14:15]
	v_fmac_f64_e32 v[46:47], v[50:51], v[12:13]
	v_add_f64 v[42:43], v[6:7], v[42:43]
	v_fmac_f64_e32 v[20:21], v[22:23], v[12:13]
	ds_read_b128 v[4:7], v35 offset:64
	ds_read_b128 v[12:15], v34 offset:2048
	v_add_f64 v[36:37], v[46:47], v[36:37]
	v_add_f64 v[44:45], v[16:17], v[44:45]
	;; [unrolled: 1-line block ×3, first 2 shown]
	ds_read_b128 v[16:19], v34 offset:2304
	ds_read_b128 v[20:23], v35 offset:80
	s_waitcnt lgkmcnt(2)
	v_mul_f64 v[48:49], v[6:7], v[14:15]
	v_add_f64 v[24:25], v[52:53], v[24:25]
	v_fma_f64 v[48:49], v[4:5], v[12:13], -v[48:49]
	v_mul_f64 v[50:51], v[4:5], v[14:15]
	v_add_f64 v[26:27], v[26:27], v[54:55]
	v_fmac_f64_e32 v[50:51], v[6:7], v[12:13]
	v_add_f64 v[48:49], v[24:25], v[48:49]
	s_waitcnt lgkmcnt(1)
	v_mul_f64 v[24:25], v[6:7], v[18:19]
	v_add_f64 v[50:51], v[50:51], v[26:27]
	v_fma_f64 v[52:53], v[4:5], v[16:17], -v[24:25]
	ds_read_b128 v[24:27], v35 offset:2112
	v_mul_f64 v[4:5], v[4:5], v[18:19]
	v_fmac_f64_e32 v[4:5], v[6:7], v[16:17]
	v_add_f64 v[38:39], v[38:39], v[52:53]
	v_add_f64 v[36:37], v[4:5], v[36:37]
	ds_read_b128 v[4:7], v35 offset:2128
	s_waitcnt lgkmcnt(1)
	v_mul_f64 v[52:53], v[26:27], v[14:15]
	v_mul_f64 v[14:15], v[24:25], v[14:15]
	v_fma_f64 v[52:53], v[24:25], v[12:13], -v[52:53]
	v_fmac_f64_e32 v[14:15], v[26:27], v[12:13]
	v_mul_f64 v[12:13], v[26:27], v[18:19]
	v_add_f64 v[40:41], v[40:41], v[52:53]
	v_add_f64 v[42:43], v[14:15], v[42:43]
	v_fma_f64 v[52:53], v[24:25], v[16:17], -v[12:13]
	v_mul_f64 v[18:19], v[24:25], v[18:19]
	ds_read_b128 v[12:15], v34 offset:2560
	v_fmac_f64_e32 v[18:19], v[26:27], v[16:17]
	v_add_f64 v[26:27], v[18:19], v[46:47]
	ds_read_b128 v[16:19], v34 offset:2816
	v_add_f64 v[24:25], v[44:45], v[52:53]
	s_waitcnt lgkmcnt(1)
	v_mul_f64 v[44:45], v[22:23], v[14:15]
	v_fma_f64 v[44:45], v[20:21], v[12:13], -v[44:45]
	v_add_f64 v[44:45], v[48:49], v[44:45]
	s_waitcnt lgkmcnt(0)
	v_mul_f64 v[48:49], v[22:23], v[18:19]
	v_mul_f64 v[46:47], v[20:21], v[14:15]
	v_fma_f64 v[48:49], v[20:21], v[16:17], -v[48:49]
	v_mul_f64 v[20:21], v[20:21], v[18:19]
	v_fmac_f64_e32 v[20:21], v[22:23], v[16:17]
	v_add_f64 v[36:37], v[20:21], v[36:37]
	v_mul_f64 v[20:21], v[6:7], v[14:15]
	v_mul_f64 v[14:15], v[4:5], v[14:15]
	v_fmac_f64_e32 v[46:47], v[22:23], v[12:13]
	v_fma_f64 v[20:21], v[4:5], v[12:13], -v[20:21]
	v_fmac_f64_e32 v[14:15], v[6:7], v[12:13]
	v_mul_f64 v[12:13], v[6:7], v[18:19]
	v_mul_f64 v[18:19], v[4:5], v[18:19]
	v_add_f64 v[40:41], v[40:41], v[20:21]
	v_add_f64 v[42:43], v[14:15], v[42:43]
	v_fma_f64 v[20:21], v[4:5], v[16:17], -v[12:13]
	v_fmac_f64_e32 v[18:19], v[6:7], v[16:17]
	ds_read_b128 v[4:7], v35 offset:96
	ds_read_b128 v[12:15], v34 offset:3072
	v_add_f64 v[46:47], v[46:47], v[50:51]
	v_add_f64 v[38:39], v[38:39], v[48:49]
	;; [unrolled: 1-line block ×4, first 2 shown]
	ds_read_b128 v[16:19], v34 offset:3328
	ds_read_b128 v[20:23], v35 offset:112
	s_waitcnt lgkmcnt(2)
	v_mul_f64 v[24:25], v[6:7], v[14:15]
	v_fma_f64 v[24:25], v[4:5], v[12:13], -v[24:25]
	v_mul_f64 v[26:27], v[4:5], v[14:15]
	v_fmac_f64_e32 v[26:27], v[6:7], v[12:13]
	v_add_f64 v[44:45], v[44:45], v[24:25]
	s_waitcnt lgkmcnt(1)
	v_mul_f64 v[24:25], v[6:7], v[18:19]
	v_add_f64 v[46:47], v[26:27], v[46:47]
	v_fma_f64 v[52:53], v[4:5], v[16:17], -v[24:25]
	ds_read_b128 v[24:27], v35 offset:2144
	v_mul_f64 v[4:5], v[4:5], v[18:19]
	v_fmac_f64_e32 v[4:5], v[6:7], v[16:17]
	v_add_f64 v[54:55], v[4:5], v[36:37]
	ds_read_b128 v[4:7], v35 offset:2160
	s_waitcnt lgkmcnt(1)
	v_mul_f64 v[36:37], v[26:27], v[14:15]
	v_mul_f64 v[14:15], v[24:25], v[14:15]
	v_fma_f64 v[36:37], v[24:25], v[12:13], -v[36:37]
	v_fmac_f64_e32 v[14:15], v[26:27], v[12:13]
	v_mul_f64 v[12:13], v[26:27], v[18:19]
	v_add_f64 v[40:41], v[40:41], v[36:37]
	v_add_f64 v[42:43], v[14:15], v[42:43]
	v_fma_f64 v[36:37], v[24:25], v[16:17], -v[12:13]
	ds_read_b128 v[12:15], v34 offset:3584
	v_add_f64 v[52:53], v[38:39], v[52:53]
	v_add_f64 v[48:49], v[48:49], v[36:37]
	ds_read_b128 v[36:39], v34 offset:3840
	v_mul_f64 v[18:19], v[24:25], v[18:19]
	v_fmac_f64_e32 v[18:19], v[26:27], v[16:17]
	s_waitcnt lgkmcnt(1)
	v_mul_f64 v[16:17], v[22:23], v[14:15]
	v_fma_f64 v[16:17], v[20:21], v[12:13], -v[16:17]
	v_add_f64 v[50:51], v[18:19], v[50:51]
	v_mul_f64 v[18:19], v[20:21], v[14:15]
	v_add_f64 v[24:25], v[44:45], v[16:17]
	s_waitcnt lgkmcnt(0)
	v_mul_f64 v[16:17], v[22:23], v[38:39]
	v_fmac_f64_e32 v[18:19], v[22:23], v[12:13]
	v_fma_f64 v[16:17], v[20:21], v[36:37], -v[16:17]
	v_add_f64 v[26:27], v[18:19], v[46:47]
	v_mul_f64 v[18:19], v[20:21], v[38:39]
	v_add_f64 v[20:21], v[52:53], v[16:17]
	v_mul_f64 v[16:17], v[6:7], v[14:15]
	v_mul_f64 v[14:15], v[4:5], v[14:15]
	v_fma_f64 v[16:17], v[4:5], v[12:13], -v[16:17]
	v_fmac_f64_e32 v[14:15], v[6:7], v[12:13]
	v_mul_f64 v[12:13], v[6:7], v[38:39]
	v_fma_f64 v[12:13], v[4:5], v[36:37], -v[12:13]
	v_mul_f64 v[4:5], v[4:5], v[38:39]
	v_fmac_f64_e32 v[18:19], v[22:23], v[36:37]
	v_fmac_f64_e32 v[4:5], v[6:7], v[36:37]
	v_add_f64 v[22:23], v[18:19], v[54:55]
	v_add_f64 v[16:17], v[40:41], v[16:17]
	;; [unrolled: 1-line block ×5, first 2 shown]
	v_lshl_add_u64 v[8:9], v[8:9], 0, s[22:23]
	s_cmp_lt_i32 s27, s7
	v_lshl_add_u64 v[10:11], v[10:11], 0, s[8:9]
	s_barrier
	s_cbranch_scc0 .LBB133_14
.LBB133_8:                              ; =>This Inner Loop Header: Depth=1
	v_add_u32_e32 v4, s27, v31
	v_cmp_gt_i32_e64 s[2:3], s7, v4
	s_and_b64 s[28:29], vcc, s[2:3]
	v_mov_b64_e32 v[4:5], 0
	v_mov_b64_e32 v[6:7], 0
	s_and_saveexec_b64 s[2:3], s[28:29]
	s_cbranch_execz .LBB133_10
; %bb.9:                                ;   in Loop: Header=BB133_8 Depth=1
	global_load_dwordx4 v[4:7], v[8:9], off offset:-8
	s_waitcnt vmcnt(0)
	v_xor_b32_e32 v7, 0x80000000, v7
.LBB133_10:                             ;   in Loop: Header=BB133_8 Depth=1
	s_or_b64 exec, exec, s[2:3]
	ds_write_b128 v32, v[4:7]
	v_add_u32_e32 v4, s27, v30
	v_cmp_le_i32_e64 s[2:3], s7, v4
	s_or_b64 s[2:3], s[2:3], s[20:21]
	s_and_saveexec_b64 s[28:29], s[2:3]
	s_xor_b64 s[2:3], exec, s[28:29]
; %bb.11:                               ;   in Loop: Header=BB133_8 Depth=1
	ds_write_b128 v33, v[0:3]
; %bb.12:                               ;   in Loop: Header=BB133_8 Depth=1
	s_andn2_saveexec_b64 s[2:3], s[2:3]
	s_cbranch_execz .LBB133_7
; %bb.13:                               ;   in Loop: Header=BB133_8 Depth=1
	global_load_dwordx4 v[4:7], v[10:11], off
	s_waitcnt vmcnt(0)
	ds_write2_b64 v33, v[4:5], v[6:7] offset1:1
	s_branch .LBB133_7
.LBB133_14:
	s_load_dwordx2 s[2:3], s[0:1], 0x68
	s_load_dword s7, s[0:1], 0x60
	v_add_u32_e32 v4, s5, v29
	v_add_u32_e32 v10, s26, v28
	v_cmp_le_i32_e32 vcc, v4, v10
	s_waitcnt lgkmcnt(0)
	s_mul_i32 s1, s3, s4
	s_mul_hi_u32 s3, s2, s4
	s_mul_i32 s0, s2, s4
	s_add_i32 s1, s3, s1
	s_lshl_b64 s[0:1], s[0:1], 4
	s_add_u32 s4, s14, s0
	s_addc_u32 s5, s15, s1
	v_cmp_neq_f64_e64 s[0:1], s[10:11], 0
	s_xor_b64 s[8:9], s[24:25], -1
	v_mad_i64_i32 v[0:1], s[14:15], v10, s7, 0
	s_or_b64 s[0:1], s[0:1], s[8:9]
	v_cmp_gt_i32_e64 s[2:3], s6, v10
	v_lshl_add_u64 v[8:9], v[0:1], 4, s[4:5]
	v_cndmask_b32_e64 v0, 0, 1, s[0:1]
	s_and_b64 s[14:15], s[2:3], vcc
	v_ashrrev_i32_e32 v5, 31, v4
	v_cmp_ne_u32_e64 s[0:1], 1, v0
	s_and_saveexec_b64 s[8:9], s[14:15]
	s_cbranch_execz .LBB133_18
; %bb.15:
	v_mul_f64 v[0:1], s[18:19], v[26:27]
	v_mul_f64 v[2:3], s[16:17], v[26:27]
	v_fma_f64 v[0:1], s[16:17], v[24:25], -v[0:1]
	v_fmac_f64_e32 v[2:3], s[18:19], v[24:25]
	s_and_b64 vcc, exec, s[0:1]
	v_lshl_add_u64 v[6:7], v[4:5], 4, v[8:9]
	s_cbranch_vccnz .LBB133_17
; %bb.16:
	global_load_dwordx4 v[24:27], v[6:7], off
	s_waitcnt vmcnt(0)
	v_mul_f64 v[28:29], s[12:13], v[26:27]
	v_mul_f64 v[26:27], s[10:11], v[26:27]
	v_fma_f64 v[28:29], s[10:11], v[24:25], -v[28:29]
	v_fmac_f64_e32 v[26:27], s[12:13], v[24:25]
	v_add_f64 v[0:1], v[0:1], v[28:29]
	v_add_f64 v[2:3], v[2:3], v[26:27]
.LBB133_17:
	global_store_dwordx4 v[6:7], v[0:3], off
.LBB133_18:
	s_or_b64 exec, exec, s[8:9]
	v_add_u32_e32 v6, 16, v4
	v_cmp_le_i32_e32 vcc, v6, v10
	s_and_b64 s[8:9], s[2:3], vcc
	v_ashrrev_i32_e32 v7, 31, v6
	s_and_saveexec_b64 s[2:3], s[8:9]
	s_cbranch_execz .LBB133_22
; %bb.19:
	v_mul_f64 v[0:1], s[18:19], v[22:23]
	v_mul_f64 v[2:3], s[16:17], v[22:23]
	v_fma_f64 v[0:1], s[16:17], v[20:21], -v[0:1]
	v_fmac_f64_e32 v[2:3], s[18:19], v[20:21]
	s_and_b64 vcc, exec, s[0:1]
	v_lshl_add_u64 v[8:9], v[6:7], 4, v[8:9]
	s_cbranch_vccnz .LBB133_21
; %bb.20:
	global_load_dwordx4 v[20:23], v[8:9], off
	s_waitcnt vmcnt(0)
	v_mul_f64 v[24:25], s[12:13], v[22:23]
	v_mul_f64 v[22:23], s[10:11], v[22:23]
	v_fma_f64 v[24:25], s[10:11], v[20:21], -v[24:25]
	v_fmac_f64_e32 v[22:23], s[12:13], v[20:21]
	v_add_f64 v[0:1], v[0:1], v[24:25]
	v_add_f64 v[2:3], v[2:3], v[22:23]
.LBB133_21:
	global_store_dwordx4 v[8:9], v[0:3], off
.LBB133_22:
	s_or_b64 exec, exec, s[2:3]
	v_add_u32_e32 v10, 16, v10
	v_cmp_gt_i32_e64 s[2:3], s6, v10
	v_mad_i64_i32 v[0:1], s[6:7], v10, s7, 0
	v_cmp_le_i32_e32 vcc, v4, v10
	v_lshl_add_u64 v[8:9], v[0:1], 4, s[4:5]
	s_and_b64 s[6:7], s[2:3], vcc
	s_and_saveexec_b64 s[4:5], s[6:7]
	s_cbranch_execz .LBB133_26
; %bb.23:
	v_mul_f64 v[0:1], s[18:19], v[18:19]
	v_mul_f64 v[2:3], s[16:17], v[18:19]
	v_fma_f64 v[0:1], s[16:17], v[16:17], -v[0:1]
	v_fmac_f64_e32 v[2:3], s[18:19], v[16:17]
	s_and_b64 vcc, exec, s[0:1]
	v_lshl_add_u64 v[4:5], v[4:5], 4, v[8:9]
	s_cbranch_vccnz .LBB133_25
; %bb.24:
	global_load_dwordx4 v[16:19], v[4:5], off
	s_waitcnt vmcnt(0)
	v_mul_f64 v[20:21], s[12:13], v[18:19]
	v_mul_f64 v[18:19], s[10:11], v[18:19]
	v_fma_f64 v[20:21], s[10:11], v[16:17], -v[20:21]
	v_fmac_f64_e32 v[18:19], s[12:13], v[16:17]
	v_add_f64 v[0:1], v[0:1], v[20:21]
	v_add_f64 v[2:3], v[2:3], v[18:19]
.LBB133_25:
	global_store_dwordx4 v[4:5], v[0:3], off
.LBB133_26:
	s_or_b64 exec, exec, s[4:5]
	v_cmp_le_i32_e32 vcc, v6, v10
	s_and_b64 s[2:3], s[2:3], vcc
	s_and_saveexec_b64 s[4:5], s[2:3]
	s_cbranch_execz .LBB133_30
; %bb.27:
	v_mul_f64 v[0:1], s[18:19], v[12:13]
	v_mul_f64 v[2:3], s[16:17], v[12:13]
	v_fma_f64 v[0:1], s[16:17], v[14:15], -v[0:1]
	v_fmac_f64_e32 v[2:3], s[18:19], v[14:15]
	s_and_b64 vcc, exec, s[0:1]
	v_lshl_add_u64 v[4:5], v[6:7], 4, v[8:9]
	s_cbranch_vccnz .LBB133_29
; %bb.28:
	global_load_dwordx4 v[6:9], v[4:5], off
	s_waitcnt vmcnt(0)
	v_mul_f64 v[10:11], s[12:13], v[8:9]
	v_mul_f64 v[8:9], s[10:11], v[8:9]
	v_fma_f64 v[10:11], s[10:11], v[6:7], -v[10:11]
	v_fmac_f64_e32 v[8:9], s[12:13], v[6:7]
	v_add_f64 v[0:1], v[0:1], v[10:11]
	v_add_f64 v[2:3], v[2:3], v[8:9]
.LBB133_29:
	global_store_dwordx4 v[4:5], v[0:3], off
.LBB133_30:
	s_endpgm
	.section	.rodata,"a",@progbits
	.p2align	6, 0x0
	.amdhsa_kernel _ZL29rocblas_internal_gemmt_kernelIiLi16ELi32ELi8ELc67ELc84ELc85ELb1ELb0E19rocblas_complex_numIdES1_PKS1_PS1_EviT_T9_T10_S5_lS7_S5_lS6_T11_S5_li
		.amdhsa_group_segment_fixed_size 8192
		.amdhsa_private_segment_fixed_size 0
		.amdhsa_kernarg_size 116
		.amdhsa_user_sgpr_count 2
		.amdhsa_user_sgpr_dispatch_ptr 0
		.amdhsa_user_sgpr_queue_ptr 0
		.amdhsa_user_sgpr_kernarg_segment_ptr 1
		.amdhsa_user_sgpr_dispatch_id 0
		.amdhsa_user_sgpr_kernarg_preload_length 0
		.amdhsa_user_sgpr_kernarg_preload_offset 0
		.amdhsa_user_sgpr_private_segment_size 0
		.amdhsa_uses_dynamic_stack 0
		.amdhsa_enable_private_segment 0
		.amdhsa_system_sgpr_workgroup_id_x 1
		.amdhsa_system_sgpr_workgroup_id_y 1
		.amdhsa_system_sgpr_workgroup_id_z 1
		.amdhsa_system_sgpr_workgroup_info 0
		.amdhsa_system_vgpr_workitem_id 1
		.amdhsa_next_free_vgpr 62
		.amdhsa_next_free_sgpr 36
		.amdhsa_accum_offset 64
		.amdhsa_reserve_vcc 1
		.amdhsa_float_round_mode_32 0
		.amdhsa_float_round_mode_16_64 0
		.amdhsa_float_denorm_mode_32 3
		.amdhsa_float_denorm_mode_16_64 3
		.amdhsa_dx10_clamp 1
		.amdhsa_ieee_mode 1
		.amdhsa_fp16_overflow 0
		.amdhsa_tg_split 0
		.amdhsa_exception_fp_ieee_invalid_op 0
		.amdhsa_exception_fp_denorm_src 0
		.amdhsa_exception_fp_ieee_div_zero 0
		.amdhsa_exception_fp_ieee_overflow 0
		.amdhsa_exception_fp_ieee_underflow 0
		.amdhsa_exception_fp_ieee_inexact 0
		.amdhsa_exception_int_div_zero 0
	.end_amdhsa_kernel
	.section	.text._ZL29rocblas_internal_gemmt_kernelIiLi16ELi32ELi8ELc67ELc84ELc85ELb1ELb0E19rocblas_complex_numIdES1_PKS1_PS1_EviT_T9_T10_S5_lS7_S5_lS6_T11_S5_li,"axG",@progbits,_ZL29rocblas_internal_gemmt_kernelIiLi16ELi32ELi8ELc67ELc84ELc85ELb1ELb0E19rocblas_complex_numIdES1_PKS1_PS1_EviT_T9_T10_S5_lS7_S5_lS6_T11_S5_li,comdat
.Lfunc_end133:
	.size	_ZL29rocblas_internal_gemmt_kernelIiLi16ELi32ELi8ELc67ELc84ELc85ELb1ELb0E19rocblas_complex_numIdES1_PKS1_PS1_EviT_T9_T10_S5_lS7_S5_lS6_T11_S5_li, .Lfunc_end133-_ZL29rocblas_internal_gemmt_kernelIiLi16ELi32ELi8ELc67ELc84ELc85ELb1ELb0E19rocblas_complex_numIdES1_PKS1_PS1_EviT_T9_T10_S5_lS7_S5_lS6_T11_S5_li
                                        ; -- End function
	.set _ZL29rocblas_internal_gemmt_kernelIiLi16ELi32ELi8ELc67ELc84ELc85ELb1ELb0E19rocblas_complex_numIdES1_PKS1_PS1_EviT_T9_T10_S5_lS7_S5_lS6_T11_S5_li.num_vgpr, 62
	.set _ZL29rocblas_internal_gemmt_kernelIiLi16ELi32ELi8ELc67ELc84ELc85ELb1ELb0E19rocblas_complex_numIdES1_PKS1_PS1_EviT_T9_T10_S5_lS7_S5_lS6_T11_S5_li.num_agpr, 0
	.set _ZL29rocblas_internal_gemmt_kernelIiLi16ELi32ELi8ELc67ELc84ELc85ELb1ELb0E19rocblas_complex_numIdES1_PKS1_PS1_EviT_T9_T10_S5_lS7_S5_lS6_T11_S5_li.numbered_sgpr, 36
	.set _ZL29rocblas_internal_gemmt_kernelIiLi16ELi32ELi8ELc67ELc84ELc85ELb1ELb0E19rocblas_complex_numIdES1_PKS1_PS1_EviT_T9_T10_S5_lS7_S5_lS6_T11_S5_li.num_named_barrier, 0
	.set _ZL29rocblas_internal_gemmt_kernelIiLi16ELi32ELi8ELc67ELc84ELc85ELb1ELb0E19rocblas_complex_numIdES1_PKS1_PS1_EviT_T9_T10_S5_lS7_S5_lS6_T11_S5_li.private_seg_size, 0
	.set _ZL29rocblas_internal_gemmt_kernelIiLi16ELi32ELi8ELc67ELc84ELc85ELb1ELb0E19rocblas_complex_numIdES1_PKS1_PS1_EviT_T9_T10_S5_lS7_S5_lS6_T11_S5_li.uses_vcc, 1
	.set _ZL29rocblas_internal_gemmt_kernelIiLi16ELi32ELi8ELc67ELc84ELc85ELb1ELb0E19rocblas_complex_numIdES1_PKS1_PS1_EviT_T9_T10_S5_lS7_S5_lS6_T11_S5_li.uses_flat_scratch, 0
	.set _ZL29rocblas_internal_gemmt_kernelIiLi16ELi32ELi8ELc67ELc84ELc85ELb1ELb0E19rocblas_complex_numIdES1_PKS1_PS1_EviT_T9_T10_S5_lS7_S5_lS6_T11_S5_li.has_dyn_sized_stack, 0
	.set _ZL29rocblas_internal_gemmt_kernelIiLi16ELi32ELi8ELc67ELc84ELc85ELb1ELb0E19rocblas_complex_numIdES1_PKS1_PS1_EviT_T9_T10_S5_lS7_S5_lS6_T11_S5_li.has_recursion, 0
	.set _ZL29rocblas_internal_gemmt_kernelIiLi16ELi32ELi8ELc67ELc84ELc85ELb1ELb0E19rocblas_complex_numIdES1_PKS1_PS1_EviT_T9_T10_S5_lS7_S5_lS6_T11_S5_li.has_indirect_call, 0
	.section	.AMDGPU.csdata,"",@progbits
; Kernel info:
; codeLenInByte = 3116
; TotalNumSgprs: 42
; NumVgprs: 62
; NumAgprs: 0
; TotalNumVgprs: 62
; ScratchSize: 0
; MemoryBound: 1
; FloatMode: 240
; IeeeMode: 1
; LDSByteSize: 8192 bytes/workgroup (compile time only)
; SGPRBlocks: 5
; VGPRBlocks: 7
; NumSGPRsForWavesPerEU: 42
; NumVGPRsForWavesPerEU: 62
; AccumOffset: 64
; Occupancy: 8
; WaveLimiterHint : 0
; COMPUTE_PGM_RSRC2:SCRATCH_EN: 0
; COMPUTE_PGM_RSRC2:USER_SGPR: 2
; COMPUTE_PGM_RSRC2:TRAP_HANDLER: 0
; COMPUTE_PGM_RSRC2:TGID_X_EN: 1
; COMPUTE_PGM_RSRC2:TGID_Y_EN: 1
; COMPUTE_PGM_RSRC2:TGID_Z_EN: 1
; COMPUTE_PGM_RSRC2:TIDIG_COMP_CNT: 1
; COMPUTE_PGM_RSRC3_GFX90A:ACCUM_OFFSET: 15
; COMPUTE_PGM_RSRC3_GFX90A:TG_SPLIT: 0
	.section	.text._ZL29rocblas_internal_gemmt_kernelIiLi16ELi32ELi8ELc67ELc67ELc85ELb1ELb1E19rocblas_complex_numIdES1_PKS1_PS1_EviT_T9_T10_S5_lS7_S5_lS6_T11_S5_li,"axG",@progbits,_ZL29rocblas_internal_gemmt_kernelIiLi16ELi32ELi8ELc67ELc67ELc85ELb1ELb1E19rocblas_complex_numIdES1_PKS1_PS1_EviT_T9_T10_S5_lS7_S5_lS6_T11_S5_li,comdat
	.globl	_ZL29rocblas_internal_gemmt_kernelIiLi16ELi32ELi8ELc67ELc67ELc85ELb1ELb1E19rocblas_complex_numIdES1_PKS1_PS1_EviT_T9_T10_S5_lS7_S5_lS6_T11_S5_li ; -- Begin function _ZL29rocblas_internal_gemmt_kernelIiLi16ELi32ELi8ELc67ELc67ELc85ELb1ELb1E19rocblas_complex_numIdES1_PKS1_PS1_EviT_T9_T10_S5_lS7_S5_lS6_T11_S5_li
	.p2align	8
	.type	_ZL29rocblas_internal_gemmt_kernelIiLi16ELi32ELi8ELc67ELc67ELc85ELb1ELb1E19rocblas_complex_numIdES1_PKS1_PS1_EviT_T9_T10_S5_lS7_S5_lS6_T11_S5_li,@function
_ZL29rocblas_internal_gemmt_kernelIiLi16ELi32ELi8ELc67ELc67ELc85ELb1ELb1E19rocblas_complex_numIdES1_PKS1_PS1_EviT_T9_T10_S5_lS7_S5_lS6_T11_S5_li: ; @_ZL29rocblas_internal_gemmt_kernelIiLi16ELi32ELi8ELc67ELc67ELc85ELb1ELb1E19rocblas_complex_numIdES1_PKS1_PS1_EviT_T9_T10_S5_lS7_S5_lS6_T11_S5_li
; %bb.0:
	s_load_dwordx8 s[8:15], s[0:1], 0x40
	s_load_dwordx2 s[24:25], s[0:1], 0x0
	s_load_dwordx4 s[16:19], s[0:1], 0x8
	s_mov_b64 s[6:7], 0
	s_waitcnt lgkmcnt(0)
	v_cmp_eq_f64_e64 s[20:21], s[10:11], 1.0
	v_cmp_eq_f64_e64 s[26:27], s[12:13], 0
	s_and_b64 s[20:21], s[20:21], s[26:27]
	s_andn2_b64 vcc, exec, s[20:21]
	s_mov_b64 s[20:21], -1
	s_cbranch_vccnz .LBB134_4
; %bb.1:
	s_cmp_lg_u32 s25, 0
	s_cbranch_scc0 .LBB134_3
; %bb.2:
	v_cmp_neq_f64_e64 s[6:7], s[16:17], 0
	v_cmp_neq_f64_e64 s[20:21], s[18:19], 0
	s_or_b64 s[6:7], s[6:7], s[20:21]
.LBB134_3:
	s_mov_b64 s[20:21], s[6:7]
.LBB134_4:
	s_and_b64 vcc, exec, s[20:21]
	s_cbranch_vccz .LBB134_28
; %bb.5:
	s_lshl_b32 s5, s2, 5
	s_lshl_b32 s28, s3, 5
	v_cmp_eq_f64_e64 s[2:3], s[16:17], 0
	v_cmp_eq_f64_e64 s[6:7], s[18:19], 0
	s_and_b64 s[2:3], s[2:3], s[6:7]
	s_cmp_lt_i32 s25, 1
	s_cselect_b64 s[6:7], -1, 0
	s_or_b64 s[2:3], s[2:3], s[6:7]
	v_and_b32_e32 v25, 0x3ff, v0
	v_bfe_u32 v24, v0, 10, 10
	s_mov_b32 s29, 0
	v_mov_b64_e32 v[20:21], 0
	s_and_b64 vcc, exec, s[2:3]
	v_mov_b64_e32 v[22:23], 0
	v_mov_b64_e32 v[16:17], 0
	;; [unrolled: 1-line block ×7, first 2 shown]
	s_cbranch_vccnz .LBB134_12
; %bb.6:
	v_lshl_add_u32 v1, v24, 4, v25
	v_and_b32_e32 v3, 31, v1
	s_load_dwordx4 s[20:23], s[0:1], 0x28
	s_load_dword s6, s[0:1], 0x38
	v_lshrrev_b32_e32 v27, 5, v1
	s_load_dwordx2 s[30:31], s[0:1], 0x18
	s_load_dword s33, s[0:1], 0x20
	v_lshrrev_b32_e32 v2, 3, v1
	v_or_b32_e32 v1, s5, v3
	v_and_b32_e32 v26, 7, v25
	v_cmp_gt_i32_e32 vcc, s24, v1
	v_lshlrev_b32_e32 v1, 4, v3
	v_lshl_or_b32 v28, v27, 9, v1
	v_lshlrev_b32_e32 v1, 4, v26
	v_add_u32_e32 v0, s28, v2
	v_lshl_or_b32 v1, v2, 7, v1
	v_mov_b32_e32 v2, 0x1000
	v_lshl_add_u32 v31, v24, 7, v2
	v_add_u32_e32 v2, s5, v3
	s_waitcnt lgkmcnt(0)
	v_mad_i64_i32 v[2:3], s[34:35], s33, v2, 0
	s_mul_i32 s21, s21, s4
	s_mul_hi_u32 s33, s20, s4
	s_add_i32 s21, s33, s21
	s_mul_i32 s20, s20, s4
	s_lshl_b64 s[20:21], s[20:21], 4
	v_lshl_add_u64 v[2:3], v[2:3], 4, s[20:21]
	v_lshlrev_b32_e32 v4, 4, v27
	v_mov_b32_e32 v5, 0
	v_lshl_add_u64 v[2:3], v[2:3], 0, v[4:5]
	v_lshl_add_u64 v[2:3], s[30:31], 0, v[2:3]
	s_mul_i32 s9, s9, s4
	s_mul_hi_u32 s20, s8, s4
	v_lshl_add_u64 v[4:5], v[2:3], 0, 8
	s_add_i32 s9, s20, s9
	v_mad_i64_i32 v[2:3], s[20:21], s6, v26, 0
	s_mul_i32 s8, s8, s4
	v_lshlrev_b64 v[2:3], 4, v[2:3]
	v_add_u32_e32 v29, 0x1000, v1
	v_ashrrev_i32_e32 v1, 31, v0
	v_lshl_add_u64 v[2:3], s[8:9], 4, v[2:3]
	v_cmp_gt_i32_e64 s[2:3], s24, v0
	v_lshl_add_u64 v[0:1], v[0:1], 4, v[2:3]
	s_ashr_i32 s7, s6, 31
	v_lshl_add_u64 v[0:1], s[22:23], 0, v[0:1]
	v_lshlrev_b32_e32 v30, 4, v25
	v_lshl_add_u64 v[6:7], v[0:1], 0, 8
	s_lshl_b64 s[8:9], s[6:7], 7
	v_mov_b64_e32 v[8:9], 0
	s_mov_b64 s[20:21], 0x80
	v_mov_b64_e32 v[10:11], 0
	v_mov_b64_e32 v[14:15], 0
	;; [unrolled: 1-line block ×7, first 2 shown]
	s_branch .LBB134_8
.LBB134_7:                              ;   in Loop: Header=BB134_8 Depth=1
	s_or_b64 exec, exec, s[6:7]
	ds_write_b128 v29, v[0:3]
	s_waitcnt lgkmcnt(0)
	s_barrier
	ds_read_b128 v[0:3], v30
	ds_read_b128 v[32:35], v31
	ds_read_b128 v[36:39], v31 offset:16
	ds_read_b128 v[40:43], v31 offset:32
	;; [unrolled: 1-line block ×4, first 2 shown]
	s_waitcnt lgkmcnt(4)
	v_mul_f64 v[52:53], v[34:35], v[2:3]
	v_fma_f64 v[52:53], v[32:33], v[0:1], -v[52:53]
	v_mul_f64 v[54:55], v[32:33], v[2:3]
	v_fmac_f64_e32 v[54:55], v[34:35], v[0:1]
	v_add_f64 v[52:53], v[20:21], v[52:53]
	s_waitcnt lgkmcnt(0)
	v_mul_f64 v[20:21], v[34:35], v[50:51]
	v_add_f64 v[54:55], v[54:55], v[22:23]
	v_fma_f64 v[56:57], v[32:33], v[48:49], -v[20:21]
	ds_read_b128 v[20:23], v31 offset:2048
	v_mul_f64 v[32:33], v[32:33], v[50:51]
	v_fmac_f64_e32 v[32:33], v[34:35], v[48:49]
	v_add_f64 v[34:35], v[16:17], v[56:57]
	v_add_f64 v[32:33], v[32:33], v[18:19]
	ds_read_b128 v[16:19], v31 offset:2064
	s_waitcnt lgkmcnt(1)
	v_mul_f64 v[56:57], v[22:23], v[2:3]
	v_mul_f64 v[2:3], v[20:21], v[2:3]
	v_fma_f64 v[56:57], v[20:21], v[0:1], -v[56:57]
	v_fmac_f64_e32 v[2:3], v[22:23], v[0:1]
	v_mul_f64 v[0:1], v[22:23], v[50:51]
	v_add_f64 v[12:13], v[12:13], v[56:57]
	v_add_f64 v[14:15], v[2:3], v[14:15]
	v_fma_f64 v[56:57], v[20:21], v[48:49], -v[0:1]
	v_mul_f64 v[20:21], v[20:21], v[50:51]
	ds_read_b128 v[0:3], v30 offset:512
	v_fmac_f64_e32 v[20:21], v[22:23], v[48:49]
	v_add_f64 v[22:23], v[10:11], v[56:57]
	v_add_f64 v[20:21], v[20:21], v[8:9]
	ds_read_b128 v[8:11], v30 offset:768
	s_waitcnt lgkmcnt(1)
	v_mul_f64 v[48:49], v[38:39], v[2:3]
	v_fma_f64 v[48:49], v[36:37], v[0:1], -v[48:49]
	v_add_f64 v[48:49], v[52:53], v[48:49]
	v_mul_f64 v[50:51], v[36:37], v[2:3]
	s_waitcnt lgkmcnt(0)
	v_mul_f64 v[52:53], v[38:39], v[10:11]
	v_fma_f64 v[52:53], v[36:37], v[8:9], -v[52:53]
	v_mul_f64 v[36:37], v[36:37], v[10:11]
	v_fmac_f64_e32 v[36:37], v[38:39], v[8:9]
	v_add_f64 v[32:33], v[36:37], v[32:33]
	v_mul_f64 v[36:37], v[18:19], v[2:3]
	v_mul_f64 v[2:3], v[16:17], v[2:3]
	v_fmac_f64_e32 v[50:51], v[38:39], v[0:1]
	v_fma_f64 v[36:37], v[16:17], v[0:1], -v[36:37]
	v_fmac_f64_e32 v[2:3], v[18:19], v[0:1]
	v_mul_f64 v[0:1], v[18:19], v[10:11]
	v_add_f64 v[36:37], v[12:13], v[36:37]
	v_add_f64 v[38:39], v[2:3], v[14:15]
	v_fma_f64 v[12:13], v[16:17], v[8:9], -v[0:1]
	v_mul_f64 v[10:11], v[16:17], v[10:11]
	ds_read_b128 v[0:3], v30 offset:1024
	v_fmac_f64_e32 v[10:11], v[18:19], v[8:9]
	v_add_f64 v[20:21], v[10:11], v[20:21]
	ds_read_b128 v[8:11], v30 offset:1280
	v_add_f64 v[22:23], v[22:23], v[12:13]
	s_waitcnt lgkmcnt(1)
	v_mul_f64 v[12:13], v[42:43], v[2:3]
	v_fma_f64 v[12:13], v[40:41], v[0:1], -v[12:13]
	v_mul_f64 v[14:15], v[40:41], v[2:3]
	v_add_f64 v[50:51], v[50:51], v[54:55]
	v_fmac_f64_e32 v[14:15], v[42:43], v[0:1]
	v_add_f64 v[48:49], v[48:49], v[12:13]
	s_waitcnt lgkmcnt(0)
	v_mul_f64 v[12:13], v[42:43], v[10:11]
	v_add_f64 v[50:51], v[14:15], v[50:51]
	v_fma_f64 v[16:17], v[40:41], v[8:9], -v[12:13]
	ds_read_b128 v[12:15], v31 offset:2080
	v_mul_f64 v[18:19], v[40:41], v[10:11]
	v_add_f64 v[34:35], v[34:35], v[52:53]
	v_fmac_f64_e32 v[18:19], v[42:43], v[8:9]
	v_add_f64 v[34:35], v[34:35], v[16:17]
	v_add_f64 v[32:33], v[18:19], v[32:33]
	ds_read_b128 v[16:19], v31 offset:2096
	s_waitcnt lgkmcnt(1)
	v_mul_f64 v[40:41], v[14:15], v[2:3]
	v_mul_f64 v[2:3], v[12:13], v[2:3]
	v_fma_f64 v[40:41], v[12:13], v[0:1], -v[40:41]
	v_fmac_f64_e32 v[2:3], v[14:15], v[0:1]
	v_mul_f64 v[0:1], v[14:15], v[10:11]
	v_mul_f64 v[10:11], v[12:13], v[10:11]
	v_fmac_f64_e32 v[10:11], v[14:15], v[8:9]
	v_add_f64 v[36:37], v[36:37], v[40:41]
	v_add_f64 v[38:39], v[2:3], v[38:39]
	v_fma_f64 v[40:41], v[12:13], v[8:9], -v[0:1]
	ds_read_b128 v[0:3], v30 offset:1536
	v_add_f64 v[14:15], v[10:11], v[20:21]
	ds_read_b128 v[8:11], v30 offset:1792
	v_add_f64 v[12:13], v[22:23], v[40:41]
	s_add_i32 s29, s29, 8
	s_waitcnt lgkmcnt(1)
	v_mul_f64 v[20:21], v[46:47], v[2:3]
	v_mul_f64 v[22:23], v[44:45], v[2:3]
	s_waitcnt lgkmcnt(0)
	v_mul_f64 v[40:41], v[46:47], v[10:11]
	v_fma_f64 v[40:41], v[44:45], v[8:9], -v[40:41]
	v_add_f64 v[34:35], v[34:35], v[40:41]
	v_mul_f64 v[40:41], v[18:19], v[2:3]
	v_mul_f64 v[2:3], v[16:17], v[2:3]
	v_fma_f64 v[20:21], v[44:45], v[0:1], -v[20:21]
	v_fmac_f64_e32 v[22:23], v[46:47], v[0:1]
	v_fma_f64 v[40:41], v[16:17], v[0:1], -v[40:41]
	v_fmac_f64_e32 v[2:3], v[18:19], v[0:1]
	v_mul_f64 v[0:1], v[18:19], v[10:11]
	v_mul_f64 v[42:43], v[44:45], v[10:11]
	v_add_f64 v[36:37], v[36:37], v[40:41]
	v_fma_f64 v[40:41], v[16:17], v[8:9], -v[0:1]
	v_mul_f64 v[16:17], v[16:17], v[10:11]
	v_fmac_f64_e32 v[42:43], v[46:47], v[8:9]
	v_add_f64 v[38:39], v[2:3], v[38:39]
	v_fmac_f64_e32 v[16:17], v[18:19], v[8:9]
	ds_read_b128 v[0:3], v31 offset:64
	ds_read_b128 v[8:11], v30 offset:2048
	v_add_f64 v[32:33], v[42:43], v[32:33]
	v_add_f64 v[40:41], v[12:13], v[40:41]
	;; [unrolled: 1-line block ×3, first 2 shown]
	ds_read_b128 v[12:15], v30 offset:2304
	ds_read_b128 v[16:19], v31 offset:80
	s_waitcnt lgkmcnt(2)
	v_mul_f64 v[44:45], v[2:3], v[10:11]
	v_add_f64 v[20:21], v[48:49], v[20:21]
	v_fma_f64 v[44:45], v[0:1], v[8:9], -v[44:45]
	v_mul_f64 v[46:47], v[0:1], v[10:11]
	v_add_f64 v[22:23], v[22:23], v[50:51]
	v_fmac_f64_e32 v[46:47], v[2:3], v[8:9]
	v_add_f64 v[44:45], v[20:21], v[44:45]
	s_waitcnt lgkmcnt(1)
	v_mul_f64 v[20:21], v[2:3], v[14:15]
	v_add_f64 v[46:47], v[46:47], v[22:23]
	v_fma_f64 v[48:49], v[0:1], v[12:13], -v[20:21]
	ds_read_b128 v[20:23], v31 offset:2112
	v_mul_f64 v[0:1], v[0:1], v[14:15]
	v_fmac_f64_e32 v[0:1], v[2:3], v[12:13]
	v_add_f64 v[34:35], v[34:35], v[48:49]
	v_add_f64 v[32:33], v[0:1], v[32:33]
	ds_read_b128 v[0:3], v31 offset:2128
	s_waitcnt lgkmcnt(1)
	v_mul_f64 v[48:49], v[22:23], v[10:11]
	v_mul_f64 v[10:11], v[20:21], v[10:11]
	v_fma_f64 v[48:49], v[20:21], v[8:9], -v[48:49]
	v_fmac_f64_e32 v[10:11], v[22:23], v[8:9]
	v_mul_f64 v[8:9], v[22:23], v[14:15]
	v_add_f64 v[36:37], v[36:37], v[48:49]
	v_add_f64 v[38:39], v[10:11], v[38:39]
	v_fma_f64 v[48:49], v[20:21], v[12:13], -v[8:9]
	v_mul_f64 v[14:15], v[20:21], v[14:15]
	ds_read_b128 v[8:11], v30 offset:2560
	v_fmac_f64_e32 v[14:15], v[22:23], v[12:13]
	v_add_f64 v[22:23], v[14:15], v[42:43]
	ds_read_b128 v[12:15], v30 offset:2816
	v_add_f64 v[20:21], v[40:41], v[48:49]
	s_waitcnt lgkmcnt(1)
	v_mul_f64 v[40:41], v[18:19], v[10:11]
	v_fma_f64 v[40:41], v[16:17], v[8:9], -v[40:41]
	v_add_f64 v[40:41], v[44:45], v[40:41]
	s_waitcnt lgkmcnt(0)
	v_mul_f64 v[44:45], v[18:19], v[14:15]
	v_mul_f64 v[42:43], v[16:17], v[10:11]
	v_fma_f64 v[44:45], v[16:17], v[12:13], -v[44:45]
	v_mul_f64 v[16:17], v[16:17], v[14:15]
	v_fmac_f64_e32 v[16:17], v[18:19], v[12:13]
	v_add_f64 v[32:33], v[16:17], v[32:33]
	v_mul_f64 v[16:17], v[2:3], v[10:11]
	v_mul_f64 v[10:11], v[0:1], v[10:11]
	v_fmac_f64_e32 v[42:43], v[18:19], v[8:9]
	v_fma_f64 v[16:17], v[0:1], v[8:9], -v[16:17]
	v_fmac_f64_e32 v[10:11], v[2:3], v[8:9]
	v_mul_f64 v[8:9], v[2:3], v[14:15]
	v_mul_f64 v[14:15], v[0:1], v[14:15]
	v_add_f64 v[36:37], v[36:37], v[16:17]
	v_add_f64 v[38:39], v[10:11], v[38:39]
	v_fma_f64 v[16:17], v[0:1], v[12:13], -v[8:9]
	v_fmac_f64_e32 v[14:15], v[2:3], v[12:13]
	ds_read_b128 v[0:3], v31 offset:96
	ds_read_b128 v[8:11], v30 offset:3072
	v_add_f64 v[42:43], v[42:43], v[46:47]
	v_add_f64 v[34:35], v[34:35], v[44:45]
	;; [unrolled: 1-line block ×4, first 2 shown]
	ds_read_b128 v[12:15], v30 offset:3328
	ds_read_b128 v[16:19], v31 offset:112
	s_waitcnt lgkmcnt(2)
	v_mul_f64 v[20:21], v[2:3], v[10:11]
	v_fma_f64 v[20:21], v[0:1], v[8:9], -v[20:21]
	v_mul_f64 v[22:23], v[0:1], v[10:11]
	v_fmac_f64_e32 v[22:23], v[2:3], v[8:9]
	v_add_f64 v[40:41], v[40:41], v[20:21]
	s_waitcnt lgkmcnt(1)
	v_mul_f64 v[20:21], v[2:3], v[14:15]
	v_add_f64 v[42:43], v[22:23], v[42:43]
	v_fma_f64 v[48:49], v[0:1], v[12:13], -v[20:21]
	ds_read_b128 v[20:23], v31 offset:2144
	v_mul_f64 v[0:1], v[0:1], v[14:15]
	v_fmac_f64_e32 v[0:1], v[2:3], v[12:13]
	v_add_f64 v[50:51], v[0:1], v[32:33]
	ds_read_b128 v[0:3], v31 offset:2160
	s_waitcnt lgkmcnt(1)
	v_mul_f64 v[32:33], v[22:23], v[10:11]
	v_mul_f64 v[10:11], v[20:21], v[10:11]
	v_fma_f64 v[32:33], v[20:21], v[8:9], -v[32:33]
	v_fmac_f64_e32 v[10:11], v[22:23], v[8:9]
	v_mul_f64 v[8:9], v[22:23], v[14:15]
	v_add_f64 v[36:37], v[36:37], v[32:33]
	v_add_f64 v[38:39], v[10:11], v[38:39]
	v_fma_f64 v[32:33], v[20:21], v[12:13], -v[8:9]
	ds_read_b128 v[8:11], v30 offset:3584
	v_add_f64 v[48:49], v[34:35], v[48:49]
	v_add_f64 v[44:45], v[44:45], v[32:33]
	ds_read_b128 v[32:35], v30 offset:3840
	v_mul_f64 v[14:15], v[20:21], v[14:15]
	v_fmac_f64_e32 v[14:15], v[22:23], v[12:13]
	s_waitcnt lgkmcnt(1)
	v_mul_f64 v[12:13], v[18:19], v[10:11]
	v_fma_f64 v[12:13], v[16:17], v[8:9], -v[12:13]
	v_add_f64 v[46:47], v[14:15], v[46:47]
	v_mul_f64 v[14:15], v[16:17], v[10:11]
	v_add_f64 v[20:21], v[40:41], v[12:13]
	s_waitcnt lgkmcnt(0)
	v_mul_f64 v[12:13], v[18:19], v[34:35]
	v_fmac_f64_e32 v[14:15], v[18:19], v[8:9]
	v_fma_f64 v[12:13], v[16:17], v[32:33], -v[12:13]
	v_add_f64 v[22:23], v[14:15], v[42:43]
	v_mul_f64 v[14:15], v[16:17], v[34:35]
	v_add_f64 v[16:17], v[48:49], v[12:13]
	v_mul_f64 v[12:13], v[2:3], v[10:11]
	v_mul_f64 v[10:11], v[0:1], v[10:11]
	v_fma_f64 v[12:13], v[0:1], v[8:9], -v[12:13]
	v_fmac_f64_e32 v[10:11], v[2:3], v[8:9]
	v_mul_f64 v[8:9], v[2:3], v[34:35]
	v_fma_f64 v[8:9], v[0:1], v[32:33], -v[8:9]
	v_mul_f64 v[0:1], v[0:1], v[34:35]
	v_fmac_f64_e32 v[14:15], v[18:19], v[32:33]
	v_fmac_f64_e32 v[0:1], v[2:3], v[32:33]
	v_add_f64 v[18:19], v[14:15], v[50:51]
	v_add_f64 v[12:13], v[36:37], v[12:13]
	;; [unrolled: 1-line block ×5, first 2 shown]
	v_lshl_add_u64 v[4:5], v[4:5], 0, s[20:21]
	s_cmp_lt_i32 s29, s25
	v_lshl_add_u64 v[6:7], v[6:7], 0, s[8:9]
	s_barrier
	s_cbranch_scc0 .LBB134_12
.LBB134_8:                              ; =>This Inner Loop Header: Depth=1
	v_add_u32_e32 v0, s29, v27
	v_cmp_gt_i32_e64 s[6:7], s25, v0
	s_and_b64 s[22:23], vcc, s[6:7]
	v_mov_b64_e32 v[0:1], 0
	v_mov_b64_e32 v[2:3], 0
	s_and_saveexec_b64 s[6:7], s[22:23]
	s_cbranch_execz .LBB134_10
; %bb.9:                                ;   in Loop: Header=BB134_8 Depth=1
	global_load_dwordx4 v[0:3], v[4:5], off offset:-8
	s_waitcnt vmcnt(0)
	v_xor_b32_e32 v3, 0x80000000, v3
.LBB134_10:                             ;   in Loop: Header=BB134_8 Depth=1
	s_or_b64 exec, exec, s[6:7]
	ds_write_b128 v28, v[0:3]
	v_add_u32_e32 v0, s29, v26
	v_cmp_gt_i32_e64 s[6:7], s25, v0
	s_and_b64 s[22:23], s[6:7], s[2:3]
	v_mov_b64_e32 v[0:1], 0
	v_mov_b64_e32 v[2:3], 0
	s_and_saveexec_b64 s[6:7], s[22:23]
	s_cbranch_execz .LBB134_7
; %bb.11:                               ;   in Loop: Header=BB134_8 Depth=1
	global_load_dwordx4 v[0:3], v[6:7], off offset:-8
	s_waitcnt vmcnt(0)
	v_xor_b32_e32 v3, 0x80000000, v3
	s_branch .LBB134_7
.LBB134_12:
	s_load_dwordx2 s[2:3], s[0:1], 0x68
	s_load_dword s8, s[0:1], 0x60
	v_add_u32_e32 v4, s5, v25
	v_add_u32_e32 v26, s28, v24
	v_cmp_le_i32_e32 vcc, v4, v26
	s_waitcnt lgkmcnt(0)
	s_mul_i32 s1, s3, s4
	s_mul_hi_u32 s3, s2, s4
	s_mul_i32 s0, s2, s4
	s_add_i32 s1, s3, s1
	s_lshl_b64 s[0:1], s[0:1], 4
	s_add_u32 s4, s14, s0
	s_addc_u32 s5, s15, s1
	v_cmp_neq_f64_e64 s[0:1], s[10:11], 0
	s_xor_b64 s[6:7], s[26:27], -1
	v_mad_i64_i32 v[0:1], s[14:15], v26, s8, 0
	s_or_b64 s[0:1], s[0:1], s[6:7]
	v_cmp_gt_i32_e64 s[2:3], s24, v26
	v_lshl_add_u64 v[24:25], v[0:1], 4, s[4:5]
	v_cndmask_b32_e64 v0, 0, 1, s[0:1]
	s_and_b64 s[14:15], s[2:3], vcc
	v_ashrrev_i32_e32 v5, 31, v4
	v_cmp_ne_u32_e64 s[0:1], 1, v0
	s_and_saveexec_b64 s[6:7], s[14:15]
	s_cbranch_execz .LBB134_16
; %bb.13:
	v_mul_f64 v[0:1], s[18:19], v[22:23]
	v_mul_f64 v[2:3], s[16:17], v[22:23]
	v_fma_f64 v[0:1], s[16:17], v[20:21], -v[0:1]
	v_fmac_f64_e32 v[2:3], s[18:19], v[20:21]
	s_and_b64 vcc, exec, s[0:1]
	v_lshl_add_u64 v[6:7], v[4:5], 4, v[24:25]
	s_cbranch_vccnz .LBB134_15
; %bb.14:
	global_load_dwordx4 v[20:23], v[6:7], off
	s_waitcnt vmcnt(0)
	v_mul_f64 v[28:29], s[12:13], v[22:23]
	v_mul_f64 v[22:23], s[10:11], v[22:23]
	v_fma_f64 v[28:29], s[10:11], v[20:21], -v[28:29]
	v_fmac_f64_e32 v[22:23], s[12:13], v[20:21]
	v_add_f64 v[0:1], v[0:1], v[28:29]
	v_add_f64 v[2:3], v[2:3], v[22:23]
.LBB134_15:
	global_store_dwordx4 v[6:7], v[0:3], off
.LBB134_16:
	s_or_b64 exec, exec, s[6:7]
	v_add_u32_e32 v6, 16, v4
	v_cmp_le_i32_e32 vcc, v6, v26
	s_and_b64 s[6:7], s[2:3], vcc
	v_ashrrev_i32_e32 v7, 31, v6
	s_and_saveexec_b64 s[2:3], s[6:7]
	s_cbranch_execz .LBB134_20
; %bb.17:
	v_mul_f64 v[0:1], s[18:19], v[18:19]
	v_mul_f64 v[2:3], s[16:17], v[18:19]
	v_fma_f64 v[0:1], s[16:17], v[16:17], -v[0:1]
	v_fmac_f64_e32 v[2:3], s[18:19], v[16:17]
	s_and_b64 vcc, exec, s[0:1]
	v_lshl_add_u64 v[16:17], v[6:7], 4, v[24:25]
	s_cbranch_vccnz .LBB134_19
; %bb.18:
	global_load_dwordx4 v[18:21], v[16:17], off
	s_waitcnt vmcnt(0)
	v_mul_f64 v[22:23], s[12:13], v[20:21]
	v_mul_f64 v[20:21], s[10:11], v[20:21]
	v_fma_f64 v[22:23], s[10:11], v[18:19], -v[22:23]
	v_fmac_f64_e32 v[20:21], s[12:13], v[18:19]
	v_add_f64 v[0:1], v[0:1], v[22:23]
	v_add_f64 v[2:3], v[2:3], v[20:21]
.LBB134_19:
	global_store_dwordx4 v[16:17], v[0:3], off
.LBB134_20:
	s_or_b64 exec, exec, s[2:3]
	v_add_u32_e32 v18, 16, v26
	v_cmp_gt_i32_e64 s[2:3], s24, v18
	v_mad_i64_i32 v[0:1], s[6:7], v18, s8, 0
	v_cmp_le_i32_e32 vcc, v4, v18
	v_lshl_add_u64 v[16:17], v[0:1], 4, s[4:5]
	s_and_b64 s[6:7], s[2:3], vcc
	s_and_saveexec_b64 s[4:5], s[6:7]
	s_cbranch_execz .LBB134_24
; %bb.21:
	v_mul_f64 v[0:1], s[18:19], v[14:15]
	v_mul_f64 v[2:3], s[16:17], v[14:15]
	v_fma_f64 v[0:1], s[16:17], v[12:13], -v[0:1]
	v_fmac_f64_e32 v[2:3], s[18:19], v[12:13]
	s_and_b64 vcc, exec, s[0:1]
	v_lshl_add_u64 v[4:5], v[4:5], 4, v[16:17]
	s_cbranch_vccnz .LBB134_23
; %bb.22:
	global_load_dwordx4 v[12:15], v[4:5], off
	s_waitcnt vmcnt(0)
	v_mul_f64 v[20:21], s[12:13], v[14:15]
	v_mul_f64 v[14:15], s[10:11], v[14:15]
	v_fma_f64 v[20:21], s[10:11], v[12:13], -v[20:21]
	v_fmac_f64_e32 v[14:15], s[12:13], v[12:13]
	v_add_f64 v[0:1], v[0:1], v[20:21]
	v_add_f64 v[2:3], v[2:3], v[14:15]
.LBB134_23:
	global_store_dwordx4 v[4:5], v[0:3], off
.LBB134_24:
	s_or_b64 exec, exec, s[4:5]
	v_cmp_le_i32_e32 vcc, v6, v18
	s_and_b64 s[2:3], s[2:3], vcc
	s_and_saveexec_b64 s[4:5], s[2:3]
	s_cbranch_execz .LBB134_28
; %bb.25:
	v_mul_f64 v[0:1], s[18:19], v[8:9]
	v_mul_f64 v[2:3], s[16:17], v[8:9]
	v_fma_f64 v[0:1], s[16:17], v[10:11], -v[0:1]
	v_fmac_f64_e32 v[2:3], s[18:19], v[10:11]
	s_and_b64 vcc, exec, s[0:1]
	v_lshl_add_u64 v[4:5], v[6:7], 4, v[16:17]
	s_cbranch_vccnz .LBB134_27
; %bb.26:
	global_load_dwordx4 v[6:9], v[4:5], off
	s_waitcnt vmcnt(0)
	v_mul_f64 v[10:11], s[12:13], v[8:9]
	v_mul_f64 v[8:9], s[10:11], v[8:9]
	v_fma_f64 v[10:11], s[10:11], v[6:7], -v[10:11]
	v_fmac_f64_e32 v[8:9], s[12:13], v[6:7]
	v_add_f64 v[0:1], v[0:1], v[10:11]
	v_add_f64 v[2:3], v[2:3], v[8:9]
.LBB134_27:
	global_store_dwordx4 v[4:5], v[0:3], off
.LBB134_28:
	s_endpgm
	.section	.rodata,"a",@progbits
	.p2align	6, 0x0
	.amdhsa_kernel _ZL29rocblas_internal_gemmt_kernelIiLi16ELi32ELi8ELc67ELc67ELc85ELb1ELb1E19rocblas_complex_numIdES1_PKS1_PS1_EviT_T9_T10_S5_lS7_S5_lS6_T11_S5_li
		.amdhsa_group_segment_fixed_size 8192
		.amdhsa_private_segment_fixed_size 0
		.amdhsa_kernarg_size 116
		.amdhsa_user_sgpr_count 2
		.amdhsa_user_sgpr_dispatch_ptr 0
		.amdhsa_user_sgpr_queue_ptr 0
		.amdhsa_user_sgpr_kernarg_segment_ptr 1
		.amdhsa_user_sgpr_dispatch_id 0
		.amdhsa_user_sgpr_kernarg_preload_length 0
		.amdhsa_user_sgpr_kernarg_preload_offset 0
		.amdhsa_user_sgpr_private_segment_size 0
		.amdhsa_uses_dynamic_stack 0
		.amdhsa_enable_private_segment 0
		.amdhsa_system_sgpr_workgroup_id_x 1
		.amdhsa_system_sgpr_workgroup_id_y 1
		.amdhsa_system_sgpr_workgroup_id_z 1
		.amdhsa_system_sgpr_workgroup_info 0
		.amdhsa_system_vgpr_workitem_id 1
		.amdhsa_next_free_vgpr 58
		.amdhsa_next_free_sgpr 36
		.amdhsa_accum_offset 60
		.amdhsa_reserve_vcc 1
		.amdhsa_float_round_mode_32 0
		.amdhsa_float_round_mode_16_64 0
		.amdhsa_float_denorm_mode_32 3
		.amdhsa_float_denorm_mode_16_64 3
		.amdhsa_dx10_clamp 1
		.amdhsa_ieee_mode 1
		.amdhsa_fp16_overflow 0
		.amdhsa_tg_split 0
		.amdhsa_exception_fp_ieee_invalid_op 0
		.amdhsa_exception_fp_denorm_src 0
		.amdhsa_exception_fp_ieee_div_zero 0
		.amdhsa_exception_fp_ieee_overflow 0
		.amdhsa_exception_fp_ieee_underflow 0
		.amdhsa_exception_fp_ieee_inexact 0
		.amdhsa_exception_int_div_zero 0
	.end_amdhsa_kernel
	.section	.text._ZL29rocblas_internal_gemmt_kernelIiLi16ELi32ELi8ELc67ELc67ELc85ELb1ELb1E19rocblas_complex_numIdES1_PKS1_PS1_EviT_T9_T10_S5_lS7_S5_lS6_T11_S5_li,"axG",@progbits,_ZL29rocblas_internal_gemmt_kernelIiLi16ELi32ELi8ELc67ELc67ELc85ELb1ELb1E19rocblas_complex_numIdES1_PKS1_PS1_EviT_T9_T10_S5_lS7_S5_lS6_T11_S5_li,comdat
.Lfunc_end134:
	.size	_ZL29rocblas_internal_gemmt_kernelIiLi16ELi32ELi8ELc67ELc67ELc85ELb1ELb1E19rocblas_complex_numIdES1_PKS1_PS1_EviT_T9_T10_S5_lS7_S5_lS6_T11_S5_li, .Lfunc_end134-_ZL29rocblas_internal_gemmt_kernelIiLi16ELi32ELi8ELc67ELc67ELc85ELb1ELb1E19rocblas_complex_numIdES1_PKS1_PS1_EviT_T9_T10_S5_lS7_S5_lS6_T11_S5_li
                                        ; -- End function
	.set _ZL29rocblas_internal_gemmt_kernelIiLi16ELi32ELi8ELc67ELc67ELc85ELb1ELb1E19rocblas_complex_numIdES1_PKS1_PS1_EviT_T9_T10_S5_lS7_S5_lS6_T11_S5_li.num_vgpr, 58
	.set _ZL29rocblas_internal_gemmt_kernelIiLi16ELi32ELi8ELc67ELc67ELc85ELb1ELb1E19rocblas_complex_numIdES1_PKS1_PS1_EviT_T9_T10_S5_lS7_S5_lS6_T11_S5_li.num_agpr, 0
	.set _ZL29rocblas_internal_gemmt_kernelIiLi16ELi32ELi8ELc67ELc67ELc85ELb1ELb1E19rocblas_complex_numIdES1_PKS1_PS1_EviT_T9_T10_S5_lS7_S5_lS6_T11_S5_li.numbered_sgpr, 36
	.set _ZL29rocblas_internal_gemmt_kernelIiLi16ELi32ELi8ELc67ELc67ELc85ELb1ELb1E19rocblas_complex_numIdES1_PKS1_PS1_EviT_T9_T10_S5_lS7_S5_lS6_T11_S5_li.num_named_barrier, 0
	.set _ZL29rocblas_internal_gemmt_kernelIiLi16ELi32ELi8ELc67ELc67ELc85ELb1ELb1E19rocblas_complex_numIdES1_PKS1_PS1_EviT_T9_T10_S5_lS7_S5_lS6_T11_S5_li.private_seg_size, 0
	.set _ZL29rocblas_internal_gemmt_kernelIiLi16ELi32ELi8ELc67ELc67ELc85ELb1ELb1E19rocblas_complex_numIdES1_PKS1_PS1_EviT_T9_T10_S5_lS7_S5_lS6_T11_S5_li.uses_vcc, 1
	.set _ZL29rocblas_internal_gemmt_kernelIiLi16ELi32ELi8ELc67ELc67ELc85ELb1ELb1E19rocblas_complex_numIdES1_PKS1_PS1_EviT_T9_T10_S5_lS7_S5_lS6_T11_S5_li.uses_flat_scratch, 0
	.set _ZL29rocblas_internal_gemmt_kernelIiLi16ELi32ELi8ELc67ELc67ELc85ELb1ELb1E19rocblas_complex_numIdES1_PKS1_PS1_EviT_T9_T10_S5_lS7_S5_lS6_T11_S5_li.has_dyn_sized_stack, 0
	.set _ZL29rocblas_internal_gemmt_kernelIiLi16ELi32ELi8ELc67ELc67ELc85ELb1ELb1E19rocblas_complex_numIdES1_PKS1_PS1_EviT_T9_T10_S5_lS7_S5_lS6_T11_S5_li.has_recursion, 0
	.set _ZL29rocblas_internal_gemmt_kernelIiLi16ELi32ELi8ELc67ELc67ELc85ELb1ELb1E19rocblas_complex_numIdES1_PKS1_PS1_EviT_T9_T10_S5_lS7_S5_lS6_T11_S5_li.has_indirect_call, 0
	.section	.AMDGPU.csdata,"",@progbits
; Kernel info:
; codeLenInByte = 3108
; TotalNumSgprs: 42
; NumVgprs: 58
; NumAgprs: 0
; TotalNumVgprs: 58
; ScratchSize: 0
; MemoryBound: 1
; FloatMode: 240
; IeeeMode: 1
; LDSByteSize: 8192 bytes/workgroup (compile time only)
; SGPRBlocks: 5
; VGPRBlocks: 7
; NumSGPRsForWavesPerEU: 42
; NumVGPRsForWavesPerEU: 58
; AccumOffset: 60
; Occupancy: 8
; WaveLimiterHint : 0
; COMPUTE_PGM_RSRC2:SCRATCH_EN: 0
; COMPUTE_PGM_RSRC2:USER_SGPR: 2
; COMPUTE_PGM_RSRC2:TRAP_HANDLER: 0
; COMPUTE_PGM_RSRC2:TGID_X_EN: 1
; COMPUTE_PGM_RSRC2:TGID_Y_EN: 1
; COMPUTE_PGM_RSRC2:TGID_Z_EN: 1
; COMPUTE_PGM_RSRC2:TIDIG_COMP_CNT: 1
; COMPUTE_PGM_RSRC3_GFX90A:ACCUM_OFFSET: 14
; COMPUTE_PGM_RSRC3_GFX90A:TG_SPLIT: 0
	.section	.text._ZL29rocblas_internal_gemmt_kernelIiLi16ELi32ELi8ELc78ELc78ELc76ELb0ELb0E19rocblas_complex_numIdES1_PKS1_PS1_EviT_T9_T10_S5_lS7_S5_lS6_T11_S5_li,"axG",@progbits,_ZL29rocblas_internal_gemmt_kernelIiLi16ELi32ELi8ELc78ELc78ELc76ELb0ELb0E19rocblas_complex_numIdES1_PKS1_PS1_EviT_T9_T10_S5_lS7_S5_lS6_T11_S5_li,comdat
	.globl	_ZL29rocblas_internal_gemmt_kernelIiLi16ELi32ELi8ELc78ELc78ELc76ELb0ELb0E19rocblas_complex_numIdES1_PKS1_PS1_EviT_T9_T10_S5_lS7_S5_lS6_T11_S5_li ; -- Begin function _ZL29rocblas_internal_gemmt_kernelIiLi16ELi32ELi8ELc78ELc78ELc76ELb0ELb0E19rocblas_complex_numIdES1_PKS1_PS1_EviT_T9_T10_S5_lS7_S5_lS6_T11_S5_li
	.p2align	8
	.type	_ZL29rocblas_internal_gemmt_kernelIiLi16ELi32ELi8ELc78ELc78ELc76ELb0ELb0E19rocblas_complex_numIdES1_PKS1_PS1_EviT_T9_T10_S5_lS7_S5_lS6_T11_S5_li,@function
_ZL29rocblas_internal_gemmt_kernelIiLi16ELi32ELi8ELc78ELc78ELc76ELb0ELb0E19rocblas_complex_numIdES1_PKS1_PS1_EviT_T9_T10_S5_lS7_S5_lS6_T11_S5_li: ; @_ZL29rocblas_internal_gemmt_kernelIiLi16ELi32ELi8ELc78ELc78ELc76ELb0ELb0E19rocblas_complex_numIdES1_PKS1_PS1_EviT_T9_T10_S5_lS7_S5_lS6_T11_S5_li
; %bb.0:
	s_load_dwordx8 s[8:15], s[0:1], 0x40
	s_load_dwordx2 s[6:7], s[0:1], 0x0
	s_load_dwordx4 s[16:19], s[0:1], 0x8
	s_mov_b64 s[20:21], 0
	s_waitcnt lgkmcnt(0)
	v_cmp_eq_f64_e64 s[22:23], s[10:11], 1.0
	v_cmp_eq_f64_e64 s[24:25], s[12:13], 0
	s_and_b64 s[22:23], s[22:23], s[24:25]
	s_andn2_b64 vcc, exec, s[22:23]
	s_mov_b64 s[22:23], -1
	s_cbranch_vccnz .LBB135_4
; %bb.1:
	s_cmp_lg_u32 s7, 0
	s_cbranch_scc0 .LBB135_3
; %bb.2:
	v_cmp_neq_f64_e64 s[20:21], s[16:17], 0
	v_cmp_neq_f64_e64 s[22:23], s[18:19], 0
	s_or_b64 s[20:21], s[20:21], s[22:23]
.LBB135_3:
	s_mov_b64 s[22:23], s[20:21]
.LBB135_4:
	s_and_b64 vcc, exec, s[22:23]
	s_cbranch_vccz .LBB135_32
; %bb.5:
	s_lshl_b32 s28, s2, 5
	s_lshl_b32 s5, s3, 5
	v_cmp_eq_f64_e64 s[2:3], s[16:17], 0
	v_cmp_eq_f64_e64 s[20:21], s[18:19], 0
	s_and_b64 s[2:3], s[2:3], s[20:21]
	s_cmp_lt_i32 s7, 1
	s_cselect_b64 s[20:21], -1, 0
	s_or_b64 s[2:3], s[2:3], s[20:21]
	v_and_b32_e32 v25, 0x3ff, v0
	v_bfe_u32 v24, v0, 10, 10
	s_mov_b32 s29, 0
	v_mov_b64_e32 v[20:21], 0
	s_and_b64 vcc, exec, s[2:3]
	v_mov_b64_e32 v[22:23], 0
	v_mov_b64_e32 v[16:17], 0
	;; [unrolled: 1-line block ×7, first 2 shown]
	s_cbranch_vccnz .LBB135_16
; %bb.6:
	s_load_dwordx2 s[26:27], s[0:1], 0x18
	s_load_dword s30, s[0:1], 0x20
	s_load_dwordx4 s[20:23], s[0:1], 0x28
	s_load_dword s33, s[0:1], 0x38
	v_lshl_add_u32 v0, v24, 4, v25
	v_lshrrev_b32_e32 v27, 5, v0
	v_and_b32_e32 v4, 31, v0
	s_waitcnt lgkmcnt(0)
	v_mad_i64_i32 v[2:3], s[34:35], v27, s30, 0
	s_mul_i32 s21, s21, s4
	s_mul_hi_u32 s34, s20, s4
	v_lshrrev_b32_e32 v1, 3, v0
	v_or_b32_e32 v0, s28, v4
	s_add_i32 s21, s34, s21
	s_mul_i32 s20, s20, s4
	v_cmp_gt_i32_e32 vcc, s6, v0
	v_lshlrev_b32_e32 v0, 4, v4
	s_lshl_b64 s[20:21], s[20:21], 4
	v_add_u32_e32 v4, s28, v4
	v_lshl_add_u64 v[2:3], v[2:3], 4, s[20:21]
	v_ashrrev_i32_e32 v5, 31, v4
	v_add_u32_e32 v6, s5, v1
	v_lshl_add_u64 v[2:3], v[4:5], 4, v[2:3]
	v_and_b32_e32 v26, 7, v25
	v_lshl_add_u64 v[4:5], s[26:27], 0, v[2:3]
	v_mad_i64_i32 v[2:3], s[26:27], s33, v6, 0
	v_lshl_or_b32 v28, v27, 9, v0
	v_lshlrev_b32_e32 v0, 4, v26
	s_mul_i32 s9, s9, s4
	s_mul_hi_u32 s26, s8, s4
	v_lshl_or_b32 v1, v1, 7, v0
	s_add_i32 s9, s26, s9
	s_mul_i32 s8, s8, s4
	v_add_u32_e32 v29, 0x1000, v1
	v_mov_b32_e32 v1, 0x1000
	s_lshl_b64 s[8:9], s[8:9], 4
	v_lshl_add_u32 v31, v24, 7, v1
	v_lshl_add_u64 v[2:3], v[2:3], 4, s[8:9]
	v_mov_b32_e32 v1, 0
	s_ashr_i32 s31, s30, 31
	v_cmp_gt_i32_e64 s[2:3], s6, v6
	v_lshl_add_u64 v[2:3], v[2:3], 0, v[0:1]
	v_lshlrev_b32_e32 v30, 4, v25
	s_lshl_b64 s[20:21], s[30:31], 7
	v_lshl_add_u64 v[6:7], s[22:23], 0, v[2:3]
	v_mov_b64_e32 v[8:9], 0
	s_xor_b64 s[8:9], vcc, -1
	s_xor_b64 s[2:3], s[2:3], -1
	s_mov_b64 s[22:23], 0x80
	v_mov_b32_e32 v0, v1
	v_mov_b32_e32 v2, v1
	;; [unrolled: 1-line block ×3, first 2 shown]
	v_mov_b64_e32 v[10:11], 0
	v_mov_b64_e32 v[14:15], 0
	;; [unrolled: 1-line block ×7, first 2 shown]
	s_branch .LBB135_8
.LBB135_7:                              ;   in Loop: Header=BB135_8 Depth=1
	s_or_b64 exec, exec, s[26:27]
	s_waitcnt lgkmcnt(0)
	s_barrier
	ds_read_b128 v[32:35], v30
	ds_read_b128 v[36:39], v31
	ds_read_b128 v[40:43], v31 offset:16
	ds_read_b128 v[44:47], v31 offset:32
	ds_read_b128 v[48:51], v31 offset:48
	ds_read_b128 v[52:55], v30 offset:256
	s_waitcnt lgkmcnt(4)
	v_mul_f64 v[56:57], v[38:39], v[34:35]
	v_fma_f64 v[56:57], v[36:37], v[32:33], -v[56:57]
	v_mul_f64 v[58:59], v[36:37], v[34:35]
	v_fmac_f64_e32 v[58:59], v[38:39], v[32:33]
	v_add_f64 v[56:57], v[20:21], v[56:57]
	s_waitcnt lgkmcnt(0)
	v_mul_f64 v[20:21], v[38:39], v[54:55]
	v_add_f64 v[58:59], v[58:59], v[22:23]
	v_fma_f64 v[60:61], v[36:37], v[52:53], -v[20:21]
	ds_read_b128 v[20:23], v31 offset:2048
	v_mul_f64 v[36:37], v[36:37], v[54:55]
	v_fmac_f64_e32 v[36:37], v[38:39], v[52:53]
	v_add_f64 v[38:39], v[16:17], v[60:61]
	v_add_f64 v[36:37], v[36:37], v[18:19]
	ds_read_b128 v[16:19], v31 offset:2064
	s_waitcnt lgkmcnt(1)
	v_mul_f64 v[60:61], v[22:23], v[34:35]
	v_fma_f64 v[60:61], v[20:21], v[32:33], -v[60:61]
	v_mul_f64 v[34:35], v[20:21], v[34:35]
	v_fmac_f64_e32 v[34:35], v[22:23], v[32:33]
	v_add_f64 v[32:33], v[12:13], v[60:61]
	v_mul_f64 v[12:13], v[22:23], v[54:55]
	v_add_f64 v[34:35], v[34:35], v[14:15]
	v_fma_f64 v[60:61], v[20:21], v[52:53], -v[12:13]
	v_mul_f64 v[20:21], v[20:21], v[54:55]
	ds_read_b128 v[12:15], v30 offset:512
	v_fmac_f64_e32 v[20:21], v[22:23], v[52:53]
	v_add_f64 v[22:23], v[10:11], v[60:61]
	v_add_f64 v[20:21], v[20:21], v[8:9]
	ds_read_b128 v[8:11], v30 offset:768
	s_waitcnt lgkmcnt(1)
	v_mul_f64 v[52:53], v[42:43], v[14:15]
	v_fma_f64 v[52:53], v[40:41], v[12:13], -v[52:53]
	v_add_f64 v[52:53], v[56:57], v[52:53]
	v_mul_f64 v[54:55], v[40:41], v[14:15]
	s_waitcnt lgkmcnt(0)
	v_mul_f64 v[56:57], v[42:43], v[10:11]
	v_fma_f64 v[56:57], v[40:41], v[8:9], -v[56:57]
	v_mul_f64 v[40:41], v[40:41], v[10:11]
	v_fmac_f64_e32 v[40:41], v[42:43], v[8:9]
	v_add_f64 v[36:37], v[40:41], v[36:37]
	v_mul_f64 v[40:41], v[18:19], v[14:15]
	v_mul_f64 v[14:15], v[16:17], v[14:15]
	v_fmac_f64_e32 v[54:55], v[42:43], v[12:13]
	v_fma_f64 v[40:41], v[16:17], v[12:13], -v[40:41]
	v_fmac_f64_e32 v[14:15], v[18:19], v[12:13]
	v_mul_f64 v[12:13], v[18:19], v[10:11]
	v_add_f64 v[42:43], v[14:15], v[34:35]
	v_fma_f64 v[14:15], v[16:17], v[8:9], -v[12:13]
	v_mul_f64 v[16:17], v[16:17], v[10:11]
	ds_read_b128 v[10:13], v30 offset:1024
	v_fmac_f64_e32 v[16:17], v[18:19], v[8:9]
	v_add_f64 v[38:39], v[38:39], v[56:57]
	v_add_f64 v[22:23], v[22:23], v[14:15]
	;; [unrolled: 1-line block ×3, first 2 shown]
	ds_read_b128 v[14:17], v30 offset:1280
	s_waitcnt lgkmcnt(1)
	v_mul_f64 v[18:19], v[44:45], v[12:13]
	v_add_f64 v[54:55], v[54:55], v[58:59]
	v_fmac_f64_e32 v[18:19], v[46:47], v[10:11]
	v_add_f64 v[54:55], v[18:19], v[54:55]
	ds_read_b128 v[18:21], v31 offset:2080
	v_mul_f64 v[8:9], v[46:47], v[12:13]
	v_fma_f64 v[8:9], v[44:45], v[10:11], -v[8:9]
	v_add_f64 v[40:41], v[32:33], v[40:41]
	v_add_f64 v[52:53], v[52:53], v[8:9]
	s_waitcnt lgkmcnt(1)
	v_mul_f64 v[8:9], v[46:47], v[16:17]
	v_mul_f64 v[32:33], v[44:45], v[16:17]
	v_fma_f64 v[8:9], v[44:45], v[14:15], -v[8:9]
	v_fmac_f64_e32 v[32:33], v[46:47], v[14:15]
	v_add_f64 v[38:39], v[38:39], v[8:9]
	v_add_f64 v[36:37], v[32:33], v[36:37]
	ds_read_b128 v[32:35], v31 offset:2096
	s_waitcnt lgkmcnt(1)
	v_mul_f64 v[8:9], v[20:21], v[12:13]
	v_fma_f64 v[8:9], v[18:19], v[10:11], -v[8:9]
	v_mul_f64 v[12:13], v[18:19], v[12:13]
	v_fmac_f64_e32 v[12:13], v[20:21], v[10:11]
	v_add_f64 v[40:41], v[40:41], v[8:9]
	v_mul_f64 v[8:9], v[20:21], v[16:17]
	v_add_f64 v[42:43], v[12:13], v[42:43]
	v_fma_f64 v[12:13], v[18:19], v[14:15], -v[8:9]
	ds_read_b128 v[8:11], v30 offset:1536
	v_mul_f64 v[16:17], v[18:19], v[16:17]
	v_fmac_f64_e32 v[16:17], v[20:21], v[14:15]
	v_add_f64 v[18:19], v[22:23], v[12:13]
	ds_read_b128 v[12:15], v30 offset:1792
	s_waitcnt lgkmcnt(1)
	v_mul_f64 v[20:21], v[50:51], v[10:11]
	v_fma_f64 v[20:21], v[48:49], v[8:9], -v[20:21]
	v_mul_f64 v[22:23], v[48:49], v[10:11]
	v_fmac_f64_e32 v[22:23], v[50:51], v[8:9]
	v_add_f64 v[44:45], v[52:53], v[20:21]
	s_waitcnt lgkmcnt(0)
	v_mul_f64 v[20:21], v[50:51], v[14:15]
	v_add_f64 v[46:47], v[22:23], v[54:55]
	v_fma_f64 v[20:21], v[48:49], v[12:13], -v[20:21]
	v_mul_f64 v[22:23], v[48:49], v[14:15]
	v_fmac_f64_e32 v[22:23], v[50:51], v[12:13]
	v_add_f64 v[38:39], v[38:39], v[20:21]
	v_mul_f64 v[20:21], v[34:35], v[10:11]
	v_mul_f64 v[10:11], v[32:33], v[10:11]
	v_add_f64 v[36:37], v[22:23], v[36:37]
	v_fma_f64 v[20:21], v[32:33], v[8:9], -v[20:21]
	v_fmac_f64_e32 v[10:11], v[34:35], v[8:9]
	v_mul_f64 v[8:9], v[34:35], v[14:15]
	v_mul_f64 v[22:23], v[32:33], v[14:15]
	v_add_f64 v[40:41], v[40:41], v[20:21]
	v_add_f64 v[42:43], v[10:11], v[42:43]
	v_fma_f64 v[20:21], v[32:33], v[12:13], -v[8:9]
	v_fmac_f64_e32 v[22:23], v[34:35], v[12:13]
	ds_read_b128 v[8:11], v31 offset:64
	ds_read_b128 v[12:15], v30 offset:2048
	v_add_f64 v[16:17], v[16:17], v[56:57]
	v_add_f64 v[48:49], v[18:19], v[20:21]
	;; [unrolled: 1-line block ×3, first 2 shown]
	ds_read_b128 v[16:19], v30 offset:2304
	ds_read_b128 v[20:23], v31 offset:80
	s_waitcnt lgkmcnt(2)
	v_mul_f64 v[32:33], v[10:11], v[14:15]
	v_fma_f64 v[32:33], v[8:9], v[12:13], -v[32:33]
	v_mul_f64 v[34:35], v[8:9], v[14:15]
	v_fmac_f64_e32 v[34:35], v[10:11], v[12:13]
	v_add_f64 v[44:45], v[44:45], v[32:33]
	s_waitcnt lgkmcnt(1)
	v_mul_f64 v[32:33], v[10:11], v[18:19]
	v_add_f64 v[46:47], v[34:35], v[46:47]
	v_fma_f64 v[52:53], v[8:9], v[16:17], -v[32:33]
	ds_read_b128 v[32:35], v31 offset:2112
	v_mul_f64 v[8:9], v[8:9], v[18:19]
	v_fmac_f64_e32 v[8:9], v[10:11], v[16:17]
	v_add_f64 v[38:39], v[38:39], v[52:53]
	v_add_f64 v[36:37], v[8:9], v[36:37]
	ds_read_b128 v[8:11], v31 offset:2128
	s_waitcnt lgkmcnt(1)
	v_mul_f64 v[52:53], v[34:35], v[14:15]
	v_mul_f64 v[14:15], v[32:33], v[14:15]
	v_fma_f64 v[52:53], v[32:33], v[12:13], -v[52:53]
	v_fmac_f64_e32 v[14:15], v[34:35], v[12:13]
	v_mul_f64 v[12:13], v[34:35], v[18:19]
	v_add_f64 v[40:41], v[40:41], v[52:53]
	v_add_f64 v[42:43], v[14:15], v[42:43]
	v_fma_f64 v[52:53], v[32:33], v[16:17], -v[12:13]
	v_mul_f64 v[18:19], v[32:33], v[18:19]
	ds_read_b128 v[12:15], v30 offset:2560
	v_fmac_f64_e32 v[18:19], v[34:35], v[16:17]
	v_add_f64 v[34:35], v[18:19], v[50:51]
	ds_read_b128 v[16:19], v30 offset:2816
	v_add_f64 v[32:33], v[48:49], v[52:53]
	s_waitcnt lgkmcnt(1)
	v_mul_f64 v[48:49], v[22:23], v[14:15]
	v_fma_f64 v[48:49], v[20:21], v[12:13], -v[48:49]
	v_add_f64 v[44:45], v[44:45], v[48:49]
	s_waitcnt lgkmcnt(0)
	v_mul_f64 v[48:49], v[22:23], v[18:19]
	v_mul_f64 v[50:51], v[20:21], v[14:15]
	v_fma_f64 v[48:49], v[20:21], v[16:17], -v[48:49]
	v_mul_f64 v[20:21], v[20:21], v[18:19]
	v_fmac_f64_e32 v[20:21], v[22:23], v[16:17]
	v_add_f64 v[36:37], v[20:21], v[36:37]
	v_mul_f64 v[20:21], v[10:11], v[14:15]
	v_mul_f64 v[14:15], v[8:9], v[14:15]
	v_fmac_f64_e32 v[50:51], v[22:23], v[12:13]
	v_fma_f64 v[20:21], v[8:9], v[12:13], -v[20:21]
	v_fmac_f64_e32 v[14:15], v[10:11], v[12:13]
	v_mul_f64 v[12:13], v[10:11], v[18:19]
	v_mul_f64 v[18:19], v[8:9], v[18:19]
	v_add_f64 v[40:41], v[40:41], v[20:21]
	v_add_f64 v[42:43], v[14:15], v[42:43]
	v_fma_f64 v[20:21], v[8:9], v[16:17], -v[12:13]
	v_fmac_f64_e32 v[18:19], v[10:11], v[16:17]
	ds_read_b128 v[8:11], v31 offset:96
	ds_read_b128 v[12:15], v30 offset:3072
	v_add_f64 v[46:47], v[50:51], v[46:47]
	v_add_f64 v[38:39], v[38:39], v[48:49]
	;; [unrolled: 1-line block ×4, first 2 shown]
	ds_read_b128 v[16:19], v30 offset:3328
	ds_read_b128 v[32:35], v31 offset:112
	s_waitcnt lgkmcnt(2)
	v_mul_f64 v[20:21], v[10:11], v[14:15]
	v_fma_f64 v[20:21], v[8:9], v[12:13], -v[20:21]
	v_mul_f64 v[22:23], v[8:9], v[14:15]
	v_fmac_f64_e32 v[22:23], v[10:11], v[12:13]
	v_add_f64 v[44:45], v[44:45], v[20:21]
	s_waitcnt lgkmcnt(1)
	v_mul_f64 v[20:21], v[10:11], v[18:19]
	v_add_f64 v[46:47], v[22:23], v[46:47]
	v_fma_f64 v[52:53], v[8:9], v[16:17], -v[20:21]
	ds_read_b128 v[20:23], v31 offset:2144
	v_mul_f64 v[8:9], v[8:9], v[18:19]
	v_fmac_f64_e32 v[8:9], v[10:11], v[16:17]
	v_add_f64 v[54:55], v[8:9], v[36:37]
	ds_read_b128 v[8:11], v31 offset:2160
	s_waitcnt lgkmcnt(1)
	v_mul_f64 v[36:37], v[22:23], v[14:15]
	v_mul_f64 v[14:15], v[20:21], v[14:15]
	v_fma_f64 v[36:37], v[20:21], v[12:13], -v[36:37]
	v_fmac_f64_e32 v[14:15], v[22:23], v[12:13]
	v_mul_f64 v[12:13], v[22:23], v[18:19]
	v_add_f64 v[40:41], v[40:41], v[36:37]
	v_add_f64 v[42:43], v[14:15], v[42:43]
	v_fma_f64 v[36:37], v[20:21], v[16:17], -v[12:13]
	ds_read_b128 v[12:15], v30 offset:3584
	v_add_f64 v[52:53], v[38:39], v[52:53]
	v_add_f64 v[48:49], v[48:49], v[36:37]
	ds_read_b128 v[36:39], v30 offset:3840
	v_mul_f64 v[18:19], v[20:21], v[18:19]
	v_fmac_f64_e32 v[18:19], v[22:23], v[16:17]
	s_waitcnt lgkmcnt(1)
	v_mul_f64 v[16:17], v[34:35], v[14:15]
	v_add_f64 v[50:51], v[18:19], v[50:51]
	v_fma_f64 v[16:17], v[32:33], v[12:13], -v[16:17]
	v_mul_f64 v[18:19], v[32:33], v[14:15]
	v_fmac_f64_e32 v[18:19], v[34:35], v[12:13]
	v_add_f64 v[20:21], v[44:45], v[16:17]
	s_waitcnt lgkmcnt(0)
	v_mul_f64 v[16:17], v[34:35], v[38:39]
	v_add_f64 v[22:23], v[18:19], v[46:47]
	v_fma_f64 v[16:17], v[32:33], v[36:37], -v[16:17]
	v_mul_f64 v[18:19], v[32:33], v[38:39]
	v_mul_f64 v[32:33], v[10:11], v[14:15]
	v_fma_f64 v[32:33], v[8:9], v[12:13], -v[32:33]
	v_mul_f64 v[14:15], v[8:9], v[14:15]
	v_fmac_f64_e32 v[14:15], v[10:11], v[12:13]
	v_add_f64 v[12:13], v[40:41], v[32:33]
	v_mul_f64 v[32:33], v[10:11], v[38:39]
	v_fma_f64 v[32:33], v[8:9], v[36:37], -v[32:33]
	v_mul_f64 v[8:9], v[8:9], v[38:39]
	v_fmac_f64_e32 v[18:19], v[34:35], v[36:37]
	v_fmac_f64_e32 v[8:9], v[10:11], v[36:37]
	s_add_i32 s29, s29, 8
	v_add_f64 v[16:17], v[52:53], v[16:17]
	v_add_f64 v[18:19], v[18:19], v[54:55]
	;; [unrolled: 1-line block ×5, first 2 shown]
	v_lshl_add_u64 v[4:5], v[4:5], 0, s[20:21]
	s_cmp_lt_i32 s29, s7
	v_lshl_add_u64 v[6:7], v[6:7], 0, s[22:23]
	s_barrier
	s_cbranch_scc0 .LBB135_16
.LBB135_8:                              ; =>This Inner Loop Header: Depth=1
	v_add_u32_e32 v32, s29, v27
	v_cmp_le_i32_e32 vcc, s7, v32
	s_or_b64 s[26:27], s[8:9], vcc
	s_and_saveexec_b64 s[30:31], s[26:27]
	s_xor_b64 s[26:27], exec, s[30:31]
; %bb.9:                                ;   in Loop: Header=BB135_8 Depth=1
	ds_write_b128 v28, v[0:3]
; %bb.10:                               ;   in Loop: Header=BB135_8 Depth=1
	s_andn2_saveexec_b64 s[26:27], s[26:27]
	s_cbranch_execz .LBB135_12
; %bb.11:                               ;   in Loop: Header=BB135_8 Depth=1
	global_load_dwordx4 v[32:35], v[4:5], off
	s_waitcnt vmcnt(0)
	ds_write2_b64 v28, v[32:33], v[34:35] offset1:1
.LBB135_12:                             ;   in Loop: Header=BB135_8 Depth=1
	s_or_b64 exec, exec, s[26:27]
	v_add_u32_e32 v32, s29, v26
	v_cmp_le_i32_e32 vcc, s7, v32
	s_or_b64 s[26:27], vcc, s[2:3]
	s_and_saveexec_b64 s[30:31], s[26:27]
	s_xor_b64 s[26:27], exec, s[30:31]
; %bb.13:                               ;   in Loop: Header=BB135_8 Depth=1
	ds_write_b128 v29, v[0:3]
; %bb.14:                               ;   in Loop: Header=BB135_8 Depth=1
	s_andn2_saveexec_b64 s[26:27], s[26:27]
	s_cbranch_execz .LBB135_7
; %bb.15:                               ;   in Loop: Header=BB135_8 Depth=1
	global_load_dwordx4 v[32:35], v[6:7], off
	s_waitcnt vmcnt(0)
	ds_write2_b64 v29, v[32:33], v[34:35] offset1:1
	s_branch .LBB135_7
.LBB135_16:
	s_load_dwordx2 s[2:3], s[0:1], 0x68
	s_load_dword s20, s[0:1], 0x60
	v_add_u32_e32 v26, s5, v24
	v_add_u32_e32 v4, s28, v25
	v_cmp_le_i32_e32 vcc, v26, v4
	s_waitcnt lgkmcnt(0)
	s_mul_i32 s1, s3, s4
	s_mul_hi_u32 s3, s2, s4
	s_mul_i32 s0, s2, s4
	s_add_i32 s1, s3, s1
	s_lshl_b64 s[0:1], s[0:1], 4
	s_add_u32 s8, s14, s0
	s_addc_u32 s9, s15, s1
	v_cmp_neq_f64_e64 s[0:1], s[10:11], 0
	s_xor_b64 s[4:5], s[24:25], -1
	v_mad_i64_i32 v[0:1], s[2:3], v26, s20, 0
	s_or_b64 s[0:1], s[0:1], s[4:5]
	v_lshl_add_u64 v[24:25], v[0:1], 4, s[8:9]
	v_cmp_gt_i32_e64 s[2:3], s6, v4
	v_cndmask_b32_e64 v0, 0, 1, s[0:1]
	s_and_b64 s[14:15], vcc, s[2:3]
	v_ashrrev_i32_e32 v5, 31, v4
	v_cmp_ne_u32_e64 s[0:1], 1, v0
	s_and_saveexec_b64 s[4:5], s[14:15]
	s_cbranch_execz .LBB135_20
; %bb.17:
	v_mul_f64 v[0:1], s[18:19], v[22:23]
	v_mul_f64 v[2:3], s[16:17], v[22:23]
	v_fma_f64 v[0:1], s[16:17], v[20:21], -v[0:1]
	v_fmac_f64_e32 v[2:3], s[18:19], v[20:21]
	s_and_b64 vcc, exec, s[0:1]
	v_lshl_add_u64 v[6:7], v[4:5], 4, v[24:25]
	s_cbranch_vccnz .LBB135_19
; %bb.18:
	global_load_dwordx4 v[20:23], v[6:7], off
	s_waitcnt vmcnt(0)
	v_mul_f64 v[28:29], s[12:13], v[22:23]
	v_mul_f64 v[22:23], s[10:11], v[22:23]
	v_fma_f64 v[28:29], s[10:11], v[20:21], -v[28:29]
	v_fmac_f64_e32 v[22:23], s[12:13], v[20:21]
	v_add_f64 v[0:1], v[0:1], v[28:29]
	v_add_f64 v[2:3], v[2:3], v[22:23]
.LBB135_19:
	global_store_dwordx4 v[6:7], v[0:3], off
.LBB135_20:
	s_or_b64 exec, exec, s[4:5]
	v_add_u32_e32 v6, 16, v4
	v_cmp_le_i32_e32 vcc, v26, v6
	v_cmp_gt_i32_e64 s[4:5], s6, v6
	s_and_b64 s[14:15], vcc, s[4:5]
	v_ashrrev_i32_e32 v7, 31, v6
	s_and_saveexec_b64 s[6:7], s[14:15]
	s_cbranch_execz .LBB135_24
; %bb.21:
	v_mul_f64 v[0:1], s[18:19], v[18:19]
	v_mul_f64 v[2:3], s[16:17], v[18:19]
	v_fma_f64 v[0:1], s[16:17], v[16:17], -v[0:1]
	v_fmac_f64_e32 v[2:3], s[18:19], v[16:17]
	s_and_b64 vcc, exec, s[0:1]
	v_lshl_add_u64 v[16:17], v[6:7], 4, v[24:25]
	s_cbranch_vccnz .LBB135_23
; %bb.22:
	global_load_dwordx4 v[18:21], v[16:17], off
	s_waitcnt vmcnt(0)
	v_mul_f64 v[22:23], s[12:13], v[20:21]
	v_mul_f64 v[20:21], s[10:11], v[20:21]
	v_fma_f64 v[22:23], s[10:11], v[18:19], -v[22:23]
	v_fmac_f64_e32 v[20:21], s[12:13], v[18:19]
	v_add_f64 v[0:1], v[0:1], v[22:23]
	v_add_f64 v[2:3], v[2:3], v[20:21]
.LBB135_23:
	global_store_dwordx4 v[16:17], v[0:3], off
.LBB135_24:
	s_or_b64 exec, exec, s[6:7]
	v_add_u32_e32 v18, 16, v26
	v_mad_i64_i32 v[0:1], s[6:7], v18, s20, 0
	v_cmp_le_i32_e32 vcc, v18, v4
	v_lshl_add_u64 v[16:17], v[0:1], 4, s[8:9]
	s_and_b64 s[6:7], vcc, s[2:3]
	s_and_saveexec_b64 s[2:3], s[6:7]
	s_cbranch_execz .LBB135_28
; %bb.25:
	v_mul_f64 v[0:1], s[18:19], v[14:15]
	v_mul_f64 v[2:3], s[16:17], v[14:15]
	v_fma_f64 v[0:1], s[16:17], v[12:13], -v[0:1]
	v_fmac_f64_e32 v[2:3], s[18:19], v[12:13]
	s_and_b64 vcc, exec, s[0:1]
	v_lshl_add_u64 v[4:5], v[4:5], 4, v[16:17]
	s_cbranch_vccnz .LBB135_27
; %bb.26:
	global_load_dwordx4 v[12:15], v[4:5], off
	s_waitcnt vmcnt(0)
	v_mul_f64 v[20:21], s[12:13], v[14:15]
	v_mul_f64 v[14:15], s[10:11], v[14:15]
	v_fma_f64 v[20:21], s[10:11], v[12:13], -v[20:21]
	v_fmac_f64_e32 v[14:15], s[12:13], v[12:13]
	v_add_f64 v[0:1], v[0:1], v[20:21]
	v_add_f64 v[2:3], v[2:3], v[14:15]
.LBB135_27:
	global_store_dwordx4 v[4:5], v[0:3], off
.LBB135_28:
	s_or_b64 exec, exec, s[2:3]
	v_cmp_le_i32_e32 vcc, v18, v6
	s_and_b64 s[2:3], vcc, s[4:5]
	s_and_saveexec_b64 s[4:5], s[2:3]
	s_cbranch_execz .LBB135_32
; %bb.29:
	v_mul_f64 v[0:1], s[18:19], v[8:9]
	v_mul_f64 v[2:3], s[16:17], v[8:9]
	v_fma_f64 v[0:1], s[16:17], v[10:11], -v[0:1]
	v_fmac_f64_e32 v[2:3], s[18:19], v[10:11]
	s_and_b64 vcc, exec, s[0:1]
	v_lshl_add_u64 v[4:5], v[6:7], 4, v[16:17]
	s_cbranch_vccnz .LBB135_31
; %bb.30:
	global_load_dwordx4 v[6:9], v[4:5], off
	s_waitcnt vmcnt(0)
	v_mul_f64 v[10:11], s[12:13], v[8:9]
	v_mul_f64 v[8:9], s[10:11], v[8:9]
	v_fma_f64 v[10:11], s[10:11], v[6:7], -v[10:11]
	v_fmac_f64_e32 v[8:9], s[12:13], v[6:7]
	v_add_f64 v[0:1], v[0:1], v[10:11]
	v_add_f64 v[2:3], v[2:3], v[8:9]
.LBB135_31:
	global_store_dwordx4 v[4:5], v[0:3], off
.LBB135_32:
	s_endpgm
	.section	.rodata,"a",@progbits
	.p2align	6, 0x0
	.amdhsa_kernel _ZL29rocblas_internal_gemmt_kernelIiLi16ELi32ELi8ELc78ELc78ELc76ELb0ELb0E19rocblas_complex_numIdES1_PKS1_PS1_EviT_T9_T10_S5_lS7_S5_lS6_T11_S5_li
		.amdhsa_group_segment_fixed_size 8192
		.amdhsa_private_segment_fixed_size 0
		.amdhsa_kernarg_size 116
		.amdhsa_user_sgpr_count 2
		.amdhsa_user_sgpr_dispatch_ptr 0
		.amdhsa_user_sgpr_queue_ptr 0
		.amdhsa_user_sgpr_kernarg_segment_ptr 1
		.amdhsa_user_sgpr_dispatch_id 0
		.amdhsa_user_sgpr_kernarg_preload_length 0
		.amdhsa_user_sgpr_kernarg_preload_offset 0
		.amdhsa_user_sgpr_private_segment_size 0
		.amdhsa_uses_dynamic_stack 0
		.amdhsa_enable_private_segment 0
		.amdhsa_system_sgpr_workgroup_id_x 1
		.amdhsa_system_sgpr_workgroup_id_y 1
		.amdhsa_system_sgpr_workgroup_id_z 1
		.amdhsa_system_sgpr_workgroup_info 0
		.amdhsa_system_vgpr_workitem_id 1
		.amdhsa_next_free_vgpr 62
		.amdhsa_next_free_sgpr 36
		.amdhsa_accum_offset 64
		.amdhsa_reserve_vcc 1
		.amdhsa_float_round_mode_32 0
		.amdhsa_float_round_mode_16_64 0
		.amdhsa_float_denorm_mode_32 3
		.amdhsa_float_denorm_mode_16_64 3
		.amdhsa_dx10_clamp 1
		.amdhsa_ieee_mode 1
		.amdhsa_fp16_overflow 0
		.amdhsa_tg_split 0
		.amdhsa_exception_fp_ieee_invalid_op 0
		.amdhsa_exception_fp_denorm_src 0
		.amdhsa_exception_fp_ieee_div_zero 0
		.amdhsa_exception_fp_ieee_overflow 0
		.amdhsa_exception_fp_ieee_underflow 0
		.amdhsa_exception_fp_ieee_inexact 0
		.amdhsa_exception_int_div_zero 0
	.end_amdhsa_kernel
	.section	.text._ZL29rocblas_internal_gemmt_kernelIiLi16ELi32ELi8ELc78ELc78ELc76ELb0ELb0E19rocblas_complex_numIdES1_PKS1_PS1_EviT_T9_T10_S5_lS7_S5_lS6_T11_S5_li,"axG",@progbits,_ZL29rocblas_internal_gemmt_kernelIiLi16ELi32ELi8ELc78ELc78ELc76ELb0ELb0E19rocblas_complex_numIdES1_PKS1_PS1_EviT_T9_T10_S5_lS7_S5_lS6_T11_S5_li,comdat
.Lfunc_end135:
	.size	_ZL29rocblas_internal_gemmt_kernelIiLi16ELi32ELi8ELc78ELc78ELc76ELb0ELb0E19rocblas_complex_numIdES1_PKS1_PS1_EviT_T9_T10_S5_lS7_S5_lS6_T11_S5_li, .Lfunc_end135-_ZL29rocblas_internal_gemmt_kernelIiLi16ELi32ELi8ELc78ELc78ELc76ELb0ELb0E19rocblas_complex_numIdES1_PKS1_PS1_EviT_T9_T10_S5_lS7_S5_lS6_T11_S5_li
                                        ; -- End function
	.set _ZL29rocblas_internal_gemmt_kernelIiLi16ELi32ELi8ELc78ELc78ELc76ELb0ELb0E19rocblas_complex_numIdES1_PKS1_PS1_EviT_T9_T10_S5_lS7_S5_lS6_T11_S5_li.num_vgpr, 62
	.set _ZL29rocblas_internal_gemmt_kernelIiLi16ELi32ELi8ELc78ELc78ELc76ELb0ELb0E19rocblas_complex_numIdES1_PKS1_PS1_EviT_T9_T10_S5_lS7_S5_lS6_T11_S5_li.num_agpr, 0
	.set _ZL29rocblas_internal_gemmt_kernelIiLi16ELi32ELi8ELc78ELc78ELc76ELb0ELb0E19rocblas_complex_numIdES1_PKS1_PS1_EviT_T9_T10_S5_lS7_S5_lS6_T11_S5_li.numbered_sgpr, 36
	.set _ZL29rocblas_internal_gemmt_kernelIiLi16ELi32ELi8ELc78ELc78ELc76ELb0ELb0E19rocblas_complex_numIdES1_PKS1_PS1_EviT_T9_T10_S5_lS7_S5_lS6_T11_S5_li.num_named_barrier, 0
	.set _ZL29rocblas_internal_gemmt_kernelIiLi16ELi32ELi8ELc78ELc78ELc76ELb0ELb0E19rocblas_complex_numIdES1_PKS1_PS1_EviT_T9_T10_S5_lS7_S5_lS6_T11_S5_li.private_seg_size, 0
	.set _ZL29rocblas_internal_gemmt_kernelIiLi16ELi32ELi8ELc78ELc78ELc76ELb0ELb0E19rocblas_complex_numIdES1_PKS1_PS1_EviT_T9_T10_S5_lS7_S5_lS6_T11_S5_li.uses_vcc, 1
	.set _ZL29rocblas_internal_gemmt_kernelIiLi16ELi32ELi8ELc78ELc78ELc76ELb0ELb0E19rocblas_complex_numIdES1_PKS1_PS1_EviT_T9_T10_S5_lS7_S5_lS6_T11_S5_li.uses_flat_scratch, 0
	.set _ZL29rocblas_internal_gemmt_kernelIiLi16ELi32ELi8ELc78ELc78ELc76ELb0ELb0E19rocblas_complex_numIdES1_PKS1_PS1_EviT_T9_T10_S5_lS7_S5_lS6_T11_S5_li.has_dyn_sized_stack, 0
	.set _ZL29rocblas_internal_gemmt_kernelIiLi16ELi32ELi8ELc78ELc78ELc76ELb0ELb0E19rocblas_complex_numIdES1_PKS1_PS1_EviT_T9_T10_S5_lS7_S5_lS6_T11_S5_li.has_recursion, 0
	.set _ZL29rocblas_internal_gemmt_kernelIiLi16ELi32ELi8ELc78ELc78ELc76ELb0ELb0E19rocblas_complex_numIdES1_PKS1_PS1_EviT_T9_T10_S5_lS7_S5_lS6_T11_S5_li.has_indirect_call, 0
	.section	.AMDGPU.csdata,"",@progbits
; Kernel info:
; codeLenInByte = 3096
; TotalNumSgprs: 42
; NumVgprs: 62
; NumAgprs: 0
; TotalNumVgprs: 62
; ScratchSize: 0
; MemoryBound: 0
; FloatMode: 240
; IeeeMode: 1
; LDSByteSize: 8192 bytes/workgroup (compile time only)
; SGPRBlocks: 5
; VGPRBlocks: 7
; NumSGPRsForWavesPerEU: 42
; NumVGPRsForWavesPerEU: 62
; AccumOffset: 64
; Occupancy: 8
; WaveLimiterHint : 0
; COMPUTE_PGM_RSRC2:SCRATCH_EN: 0
; COMPUTE_PGM_RSRC2:USER_SGPR: 2
; COMPUTE_PGM_RSRC2:TRAP_HANDLER: 0
; COMPUTE_PGM_RSRC2:TGID_X_EN: 1
; COMPUTE_PGM_RSRC2:TGID_Y_EN: 1
; COMPUTE_PGM_RSRC2:TGID_Z_EN: 1
; COMPUTE_PGM_RSRC2:TIDIG_COMP_CNT: 1
; COMPUTE_PGM_RSRC3_GFX90A:ACCUM_OFFSET: 15
; COMPUTE_PGM_RSRC3_GFX90A:TG_SPLIT: 0
	.section	.text._ZL29rocblas_internal_gemmt_kernelIiLi16ELi32ELi8ELc78ELc84ELc76ELb0ELb0E19rocblas_complex_numIdES1_PKS1_PS1_EviT_T9_T10_S5_lS7_S5_lS6_T11_S5_li,"axG",@progbits,_ZL29rocblas_internal_gemmt_kernelIiLi16ELi32ELi8ELc78ELc84ELc76ELb0ELb0E19rocblas_complex_numIdES1_PKS1_PS1_EviT_T9_T10_S5_lS7_S5_lS6_T11_S5_li,comdat
	.globl	_ZL29rocblas_internal_gemmt_kernelIiLi16ELi32ELi8ELc78ELc84ELc76ELb0ELb0E19rocblas_complex_numIdES1_PKS1_PS1_EviT_T9_T10_S5_lS7_S5_lS6_T11_S5_li ; -- Begin function _ZL29rocblas_internal_gemmt_kernelIiLi16ELi32ELi8ELc78ELc84ELc76ELb0ELb0E19rocblas_complex_numIdES1_PKS1_PS1_EviT_T9_T10_S5_lS7_S5_lS6_T11_S5_li
	.p2align	8
	.type	_ZL29rocblas_internal_gemmt_kernelIiLi16ELi32ELi8ELc78ELc84ELc76ELb0ELb0E19rocblas_complex_numIdES1_PKS1_PS1_EviT_T9_T10_S5_lS7_S5_lS6_T11_S5_li,@function
_ZL29rocblas_internal_gemmt_kernelIiLi16ELi32ELi8ELc78ELc84ELc76ELb0ELb0E19rocblas_complex_numIdES1_PKS1_PS1_EviT_T9_T10_S5_lS7_S5_lS6_T11_S5_li: ; @_ZL29rocblas_internal_gemmt_kernelIiLi16ELi32ELi8ELc78ELc84ELc76ELb0ELb0E19rocblas_complex_numIdES1_PKS1_PS1_EviT_T9_T10_S5_lS7_S5_lS6_T11_S5_li
; %bb.0:
	s_load_dwordx8 s[8:15], s[0:1], 0x40
	s_load_dwordx2 s[6:7], s[0:1], 0x0
	s_load_dwordx4 s[16:19], s[0:1], 0x8
	s_mov_b64 s[20:21], 0
	s_waitcnt lgkmcnt(0)
	v_cmp_eq_f64_e64 s[22:23], s[10:11], 1.0
	v_cmp_eq_f64_e64 s[24:25], s[12:13], 0
	s_and_b64 s[22:23], s[22:23], s[24:25]
	s_andn2_b64 vcc, exec, s[22:23]
	s_mov_b64 s[22:23], -1
	s_cbranch_vccnz .LBB136_4
; %bb.1:
	s_cmp_lg_u32 s7, 0
	s_cbranch_scc0 .LBB136_3
; %bb.2:
	v_cmp_neq_f64_e64 s[20:21], s[16:17], 0
	v_cmp_neq_f64_e64 s[22:23], s[18:19], 0
	s_or_b64 s[20:21], s[20:21], s[22:23]
.LBB136_3:
	s_mov_b64 s[22:23], s[20:21]
.LBB136_4:
	s_and_b64 vcc, exec, s[22:23]
	s_cbranch_vccz .LBB136_32
; %bb.5:
	s_lshl_b32 s28, s2, 5
	s_lshl_b32 s5, s3, 5
	v_cmp_eq_f64_e64 s[2:3], s[16:17], 0
	v_cmp_eq_f64_e64 s[20:21], s[18:19], 0
	s_and_b64 s[2:3], s[2:3], s[20:21]
	s_cmp_lt_i32 s7, 1
	s_cselect_b64 s[20:21], -1, 0
	s_or_b64 s[2:3], s[2:3], s[20:21]
	v_and_b32_e32 v20, 0x3ff, v0
	v_bfe_u32 v21, v0, 10, 10
	s_mov_b32 s29, 0
	v_mov_b64_e32 v[16:17], 0
	s_and_b64 vcc, exec, s[2:3]
	v_mov_b64_e32 v[18:19], 0
	v_mov_b64_e32 v[12:13], 0
	;; [unrolled: 1-line block ×7, first 2 shown]
	s_cbranch_vccnz .LBB136_16
; %bb.6:
	v_lshl_add_u32 v0, v21, 4, v20
	s_load_dwordx2 s[26:27], s[0:1], 0x18
	s_load_dword s30, s[0:1], 0x20
	s_load_dwordx4 s[20:23], s[0:1], 0x28
	s_load_dword s34, s[0:1], 0x38
	v_and_b32_e32 v4, 31, v0
	v_lshrrev_b32_e32 v23, 5, v0
	v_lshrrev_b32_e32 v1, 3, v0
	v_or_b32_e32 v0, s28, v4
	v_and_b32_e32 v22, 7, v20
	v_cmp_gt_i32_e32 vcc, s6, v0
	v_lshlrev_b32_e32 v0, 4, v4
	v_lshl_or_b32 v24, v23, 9, v0
	v_lshlrev_b32_e32 v0, 4, v22
	v_lshl_or_b32 v0, v1, 7, v0
	s_waitcnt lgkmcnt(0)
	s_mul_i32 s21, s21, s4
	s_mul_hi_u32 s33, s20, s4
	v_add_u32_e32 v25, 0x1000, v0
	v_mov_b32_e32 v0, 0x1000
	s_add_i32 s21, s33, s21
	s_mul_i32 s20, s20, s4
	v_add_u32_e32 v2, s5, v1
	v_lshl_add_u32 v27, v21, 7, v0
	v_mad_i64_i32 v[0:1], s[36:37], v23, s30, 0
	s_lshl_b64 s[20:21], s[20:21], 4
	v_add_u32_e32 v4, s28, v4
	v_lshl_add_u64 v[0:1], v[0:1], 4, s[20:21]
	v_ashrrev_i32_e32 v5, 31, v4
	v_lshl_add_u64 v[0:1], v[4:5], 4, v[0:1]
	v_lshl_add_u64 v[0:1], s[26:27], 0, v[0:1]
	s_mul_i32 s9, s9, s4
	s_mul_hi_u32 s26, s8, s4
	s_add_i32 s9, s26, s9
	v_mad_i64_i32 v[4:5], s[26:27], s34, v22, 0
	s_mul_i32 s8, s8, s4
	v_lshlrev_b64 v[4:5], 4, v[4:5]
	v_ashrrev_i32_e32 v3, 31, v2
	v_lshl_add_u64 v[4:5], s[8:9], 4, v[4:5]
	s_ashr_i32 s31, s30, 31
	s_ashr_i32 s35, s34, 31
	v_cmp_gt_i32_e64 s[2:3], s6, v2
	v_lshl_add_u64 v[2:3], v[2:3], 4, v[4:5]
	v_mov_b32_e32 v28, 0
	v_lshlrev_b32_e32 v26, 4, v20
	s_lshl_b64 s[20:21], s[30:31], 7
	v_lshl_add_u64 v[2:3], s[22:23], 0, v[2:3]
	s_lshl_b64 s[8:9], s[34:35], 7
	v_mov_b64_e32 v[4:5], 0
	s_xor_b64 s[22:23], vcc, -1
	s_xor_b64 s[2:3], s[2:3], -1
	v_mov_b32_e32 v29, v28
	v_mov_b32_e32 v30, v28
	;; [unrolled: 1-line block ×3, first 2 shown]
	v_mov_b64_e32 v[6:7], 0
	v_mov_b64_e32 v[10:11], 0
	v_mov_b64_e32 v[8:9], 0
	v_mov_b64_e32 v[14:15], 0
	v_mov_b64_e32 v[12:13], 0
	v_mov_b64_e32 v[18:19], 0
	v_mov_b64_e32 v[16:17], 0
	s_branch .LBB136_8
.LBB136_7:                              ;   in Loop: Header=BB136_8 Depth=1
	s_or_b64 exec, exec, s[26:27]
	s_waitcnt lgkmcnt(0)
	s_barrier
	ds_read_b128 v[32:35], v26
	ds_read_b128 v[36:39], v27
	ds_read_b128 v[40:43], v27 offset:16
	ds_read_b128 v[44:47], v27 offset:32
	;; [unrolled: 1-line block ×4, first 2 shown]
	s_waitcnt lgkmcnt(4)
	v_mul_f64 v[56:57], v[38:39], v[34:35]
	v_fma_f64 v[56:57], v[36:37], v[32:33], -v[56:57]
	v_mul_f64 v[58:59], v[36:37], v[34:35]
	v_fmac_f64_e32 v[58:59], v[38:39], v[32:33]
	v_add_f64 v[56:57], v[16:17], v[56:57]
	s_waitcnt lgkmcnt(0)
	v_mul_f64 v[16:17], v[38:39], v[54:55]
	v_add_f64 v[58:59], v[58:59], v[18:19]
	v_fma_f64 v[60:61], v[36:37], v[52:53], -v[16:17]
	ds_read_b128 v[16:19], v27 offset:2048
	v_mul_f64 v[36:37], v[36:37], v[54:55]
	v_fmac_f64_e32 v[36:37], v[38:39], v[52:53]
	v_add_f64 v[38:39], v[12:13], v[60:61]
	v_add_f64 v[36:37], v[36:37], v[14:15]
	ds_read_b128 v[12:15], v27 offset:2064
	s_waitcnt lgkmcnt(1)
	v_mul_f64 v[60:61], v[18:19], v[34:35]
	v_fma_f64 v[60:61], v[16:17], v[32:33], -v[60:61]
	v_mul_f64 v[34:35], v[16:17], v[34:35]
	v_fmac_f64_e32 v[34:35], v[18:19], v[32:33]
	v_add_f64 v[32:33], v[8:9], v[60:61]
	v_mul_f64 v[8:9], v[18:19], v[54:55]
	v_add_f64 v[34:35], v[34:35], v[10:11]
	v_fma_f64 v[60:61], v[16:17], v[52:53], -v[8:9]
	v_mul_f64 v[16:17], v[16:17], v[54:55]
	ds_read_b128 v[8:11], v26 offset:512
	v_fmac_f64_e32 v[16:17], v[18:19], v[52:53]
	v_add_f64 v[18:19], v[6:7], v[60:61]
	v_add_f64 v[16:17], v[16:17], v[4:5]
	ds_read_b128 v[4:7], v26 offset:768
	s_waitcnt lgkmcnt(1)
	v_mul_f64 v[52:53], v[42:43], v[10:11]
	v_fma_f64 v[52:53], v[40:41], v[8:9], -v[52:53]
	v_add_f64 v[52:53], v[56:57], v[52:53]
	v_mul_f64 v[54:55], v[40:41], v[10:11]
	s_waitcnt lgkmcnt(0)
	v_mul_f64 v[56:57], v[42:43], v[6:7]
	v_fma_f64 v[56:57], v[40:41], v[4:5], -v[56:57]
	v_mul_f64 v[40:41], v[40:41], v[6:7]
	v_fmac_f64_e32 v[40:41], v[42:43], v[4:5]
	v_add_f64 v[36:37], v[40:41], v[36:37]
	v_mul_f64 v[40:41], v[14:15], v[10:11]
	v_mul_f64 v[10:11], v[12:13], v[10:11]
	v_fmac_f64_e32 v[54:55], v[42:43], v[8:9]
	v_fma_f64 v[40:41], v[12:13], v[8:9], -v[40:41]
	v_fmac_f64_e32 v[10:11], v[14:15], v[8:9]
	v_mul_f64 v[8:9], v[14:15], v[6:7]
	v_add_f64 v[42:43], v[10:11], v[34:35]
	v_fma_f64 v[10:11], v[12:13], v[4:5], -v[8:9]
	v_mul_f64 v[12:13], v[12:13], v[6:7]
	ds_read_b128 v[6:9], v26 offset:1024
	v_fmac_f64_e32 v[12:13], v[14:15], v[4:5]
	v_add_f64 v[38:39], v[38:39], v[56:57]
	v_add_f64 v[18:19], v[18:19], v[10:11]
	;; [unrolled: 1-line block ×3, first 2 shown]
	ds_read_b128 v[10:13], v26 offset:1280
	s_waitcnt lgkmcnt(1)
	v_mul_f64 v[14:15], v[44:45], v[8:9]
	v_add_f64 v[54:55], v[54:55], v[58:59]
	v_fmac_f64_e32 v[14:15], v[46:47], v[6:7]
	v_add_f64 v[54:55], v[14:15], v[54:55]
	ds_read_b128 v[14:17], v27 offset:2080
	v_mul_f64 v[4:5], v[46:47], v[8:9]
	v_fma_f64 v[4:5], v[44:45], v[6:7], -v[4:5]
	v_add_f64 v[40:41], v[32:33], v[40:41]
	v_add_f64 v[52:53], v[52:53], v[4:5]
	s_waitcnt lgkmcnt(1)
	v_mul_f64 v[4:5], v[46:47], v[12:13]
	v_mul_f64 v[32:33], v[44:45], v[12:13]
	v_fma_f64 v[4:5], v[44:45], v[10:11], -v[4:5]
	v_fmac_f64_e32 v[32:33], v[46:47], v[10:11]
	v_add_f64 v[38:39], v[38:39], v[4:5]
	v_add_f64 v[36:37], v[32:33], v[36:37]
	ds_read_b128 v[32:35], v27 offset:2096
	s_waitcnt lgkmcnt(1)
	v_mul_f64 v[4:5], v[16:17], v[8:9]
	v_fma_f64 v[4:5], v[14:15], v[6:7], -v[4:5]
	v_mul_f64 v[8:9], v[14:15], v[8:9]
	v_fmac_f64_e32 v[8:9], v[16:17], v[6:7]
	v_add_f64 v[40:41], v[40:41], v[4:5]
	v_mul_f64 v[4:5], v[16:17], v[12:13]
	v_add_f64 v[42:43], v[8:9], v[42:43]
	v_fma_f64 v[8:9], v[14:15], v[10:11], -v[4:5]
	ds_read_b128 v[4:7], v26 offset:1536
	v_mul_f64 v[12:13], v[14:15], v[12:13]
	v_fmac_f64_e32 v[12:13], v[16:17], v[10:11]
	v_add_f64 v[14:15], v[18:19], v[8:9]
	ds_read_b128 v[8:11], v26 offset:1792
	s_waitcnt lgkmcnt(1)
	v_mul_f64 v[16:17], v[50:51], v[6:7]
	v_fma_f64 v[16:17], v[48:49], v[4:5], -v[16:17]
	v_mul_f64 v[18:19], v[48:49], v[6:7]
	v_fmac_f64_e32 v[18:19], v[50:51], v[4:5]
	v_add_f64 v[44:45], v[52:53], v[16:17]
	s_waitcnt lgkmcnt(0)
	v_mul_f64 v[16:17], v[50:51], v[10:11]
	v_add_f64 v[46:47], v[18:19], v[54:55]
	v_fma_f64 v[16:17], v[48:49], v[8:9], -v[16:17]
	v_mul_f64 v[18:19], v[48:49], v[10:11]
	v_fmac_f64_e32 v[18:19], v[50:51], v[8:9]
	v_add_f64 v[38:39], v[38:39], v[16:17]
	v_mul_f64 v[16:17], v[34:35], v[6:7]
	v_mul_f64 v[6:7], v[32:33], v[6:7]
	v_add_f64 v[36:37], v[18:19], v[36:37]
	v_fma_f64 v[16:17], v[32:33], v[4:5], -v[16:17]
	v_fmac_f64_e32 v[6:7], v[34:35], v[4:5]
	v_mul_f64 v[4:5], v[34:35], v[10:11]
	v_mul_f64 v[18:19], v[32:33], v[10:11]
	v_add_f64 v[40:41], v[40:41], v[16:17]
	v_add_f64 v[42:43], v[6:7], v[42:43]
	v_fma_f64 v[16:17], v[32:33], v[8:9], -v[4:5]
	v_fmac_f64_e32 v[18:19], v[34:35], v[8:9]
	ds_read_b128 v[4:7], v27 offset:64
	ds_read_b128 v[8:11], v26 offset:2048
	v_add_f64 v[12:13], v[12:13], v[56:57]
	v_add_f64 v[48:49], v[14:15], v[16:17]
	;; [unrolled: 1-line block ×3, first 2 shown]
	ds_read_b128 v[12:15], v26 offset:2304
	ds_read_b128 v[16:19], v27 offset:80
	s_waitcnt lgkmcnt(2)
	v_mul_f64 v[32:33], v[6:7], v[10:11]
	v_fma_f64 v[32:33], v[4:5], v[8:9], -v[32:33]
	v_mul_f64 v[34:35], v[4:5], v[10:11]
	v_fmac_f64_e32 v[34:35], v[6:7], v[8:9]
	v_add_f64 v[44:45], v[44:45], v[32:33]
	s_waitcnt lgkmcnt(1)
	v_mul_f64 v[32:33], v[6:7], v[14:15]
	v_add_f64 v[46:47], v[34:35], v[46:47]
	v_fma_f64 v[52:53], v[4:5], v[12:13], -v[32:33]
	ds_read_b128 v[32:35], v27 offset:2112
	v_mul_f64 v[4:5], v[4:5], v[14:15]
	v_fmac_f64_e32 v[4:5], v[6:7], v[12:13]
	v_add_f64 v[38:39], v[38:39], v[52:53]
	v_add_f64 v[36:37], v[4:5], v[36:37]
	ds_read_b128 v[4:7], v27 offset:2128
	s_waitcnt lgkmcnt(1)
	v_mul_f64 v[52:53], v[34:35], v[10:11]
	v_mul_f64 v[10:11], v[32:33], v[10:11]
	v_fma_f64 v[52:53], v[32:33], v[8:9], -v[52:53]
	v_fmac_f64_e32 v[10:11], v[34:35], v[8:9]
	v_mul_f64 v[8:9], v[34:35], v[14:15]
	v_add_f64 v[40:41], v[40:41], v[52:53]
	v_add_f64 v[42:43], v[10:11], v[42:43]
	v_fma_f64 v[52:53], v[32:33], v[12:13], -v[8:9]
	v_mul_f64 v[14:15], v[32:33], v[14:15]
	ds_read_b128 v[8:11], v26 offset:2560
	v_fmac_f64_e32 v[14:15], v[34:35], v[12:13]
	v_add_f64 v[34:35], v[14:15], v[50:51]
	ds_read_b128 v[12:15], v26 offset:2816
	v_add_f64 v[32:33], v[48:49], v[52:53]
	s_waitcnt lgkmcnt(1)
	v_mul_f64 v[48:49], v[18:19], v[10:11]
	v_fma_f64 v[48:49], v[16:17], v[8:9], -v[48:49]
	v_add_f64 v[44:45], v[44:45], v[48:49]
	s_waitcnt lgkmcnt(0)
	v_mul_f64 v[48:49], v[18:19], v[14:15]
	v_mul_f64 v[50:51], v[16:17], v[10:11]
	v_fma_f64 v[48:49], v[16:17], v[12:13], -v[48:49]
	v_mul_f64 v[16:17], v[16:17], v[14:15]
	v_fmac_f64_e32 v[16:17], v[18:19], v[12:13]
	v_add_f64 v[36:37], v[16:17], v[36:37]
	v_mul_f64 v[16:17], v[6:7], v[10:11]
	v_mul_f64 v[10:11], v[4:5], v[10:11]
	v_fmac_f64_e32 v[50:51], v[18:19], v[8:9]
	v_fma_f64 v[16:17], v[4:5], v[8:9], -v[16:17]
	v_fmac_f64_e32 v[10:11], v[6:7], v[8:9]
	v_mul_f64 v[8:9], v[6:7], v[14:15]
	v_mul_f64 v[14:15], v[4:5], v[14:15]
	v_add_f64 v[40:41], v[40:41], v[16:17]
	v_add_f64 v[42:43], v[10:11], v[42:43]
	v_fma_f64 v[16:17], v[4:5], v[12:13], -v[8:9]
	v_fmac_f64_e32 v[14:15], v[6:7], v[12:13]
	ds_read_b128 v[4:7], v27 offset:96
	ds_read_b128 v[8:11], v26 offset:3072
	v_add_f64 v[46:47], v[50:51], v[46:47]
	v_add_f64 v[38:39], v[38:39], v[48:49]
	;; [unrolled: 1-line block ×4, first 2 shown]
	ds_read_b128 v[12:15], v26 offset:3328
	ds_read_b128 v[32:35], v27 offset:112
	s_waitcnt lgkmcnt(2)
	v_mul_f64 v[16:17], v[6:7], v[10:11]
	v_fma_f64 v[16:17], v[4:5], v[8:9], -v[16:17]
	v_mul_f64 v[18:19], v[4:5], v[10:11]
	v_fmac_f64_e32 v[18:19], v[6:7], v[8:9]
	v_add_f64 v[44:45], v[44:45], v[16:17]
	s_waitcnt lgkmcnt(1)
	v_mul_f64 v[16:17], v[6:7], v[14:15]
	v_add_f64 v[46:47], v[18:19], v[46:47]
	v_fma_f64 v[52:53], v[4:5], v[12:13], -v[16:17]
	ds_read_b128 v[16:19], v27 offset:2144
	v_mul_f64 v[4:5], v[4:5], v[14:15]
	v_fmac_f64_e32 v[4:5], v[6:7], v[12:13]
	v_add_f64 v[54:55], v[4:5], v[36:37]
	ds_read_b128 v[4:7], v27 offset:2160
	s_waitcnt lgkmcnt(1)
	v_mul_f64 v[36:37], v[18:19], v[10:11]
	v_mul_f64 v[10:11], v[16:17], v[10:11]
	v_fma_f64 v[36:37], v[16:17], v[8:9], -v[36:37]
	v_fmac_f64_e32 v[10:11], v[18:19], v[8:9]
	v_mul_f64 v[8:9], v[18:19], v[14:15]
	v_add_f64 v[40:41], v[40:41], v[36:37]
	v_add_f64 v[42:43], v[10:11], v[42:43]
	v_fma_f64 v[36:37], v[16:17], v[12:13], -v[8:9]
	ds_read_b128 v[8:11], v26 offset:3584
	v_add_f64 v[52:53], v[38:39], v[52:53]
	v_add_f64 v[48:49], v[48:49], v[36:37]
	ds_read_b128 v[36:39], v26 offset:3840
	v_mul_f64 v[14:15], v[16:17], v[14:15]
	v_fmac_f64_e32 v[14:15], v[18:19], v[12:13]
	s_waitcnt lgkmcnt(1)
	v_mul_f64 v[12:13], v[34:35], v[10:11]
	v_add_f64 v[50:51], v[14:15], v[50:51]
	v_fma_f64 v[12:13], v[32:33], v[8:9], -v[12:13]
	v_mul_f64 v[14:15], v[32:33], v[10:11]
	v_fmac_f64_e32 v[14:15], v[34:35], v[8:9]
	v_add_f64 v[16:17], v[44:45], v[12:13]
	s_waitcnt lgkmcnt(0)
	v_mul_f64 v[12:13], v[34:35], v[38:39]
	v_add_f64 v[18:19], v[14:15], v[46:47]
	v_fma_f64 v[12:13], v[32:33], v[36:37], -v[12:13]
	v_mul_f64 v[14:15], v[32:33], v[38:39]
	v_mul_f64 v[32:33], v[6:7], v[10:11]
	v_fma_f64 v[32:33], v[4:5], v[8:9], -v[32:33]
	v_mul_f64 v[10:11], v[4:5], v[10:11]
	v_fmac_f64_e32 v[10:11], v[6:7], v[8:9]
	v_add_f64 v[8:9], v[40:41], v[32:33]
	v_mul_f64 v[32:33], v[6:7], v[38:39]
	v_fma_f64 v[32:33], v[4:5], v[36:37], -v[32:33]
	v_mul_f64 v[4:5], v[4:5], v[38:39]
	v_fmac_f64_e32 v[14:15], v[34:35], v[36:37]
	v_fmac_f64_e32 v[4:5], v[6:7], v[36:37]
	s_add_i32 s29, s29, 8
	v_add_f64 v[12:13], v[52:53], v[12:13]
	v_add_f64 v[14:15], v[14:15], v[54:55]
	;; [unrolled: 1-line block ×5, first 2 shown]
	v_lshl_add_u64 v[0:1], v[0:1], 0, s[20:21]
	s_cmp_lt_i32 s29, s7
	v_lshl_add_u64 v[2:3], v[2:3], 0, s[8:9]
	s_barrier
	s_cbranch_scc0 .LBB136_16
.LBB136_8:                              ; =>This Inner Loop Header: Depth=1
	v_add_u32_e32 v32, s29, v23
	v_cmp_le_i32_e32 vcc, s7, v32
	s_or_b64 s[26:27], s[22:23], vcc
	s_and_saveexec_b64 s[30:31], s[26:27]
	s_xor_b64 s[26:27], exec, s[30:31]
; %bb.9:                                ;   in Loop: Header=BB136_8 Depth=1
	ds_write_b128 v24, v[28:31]
; %bb.10:                               ;   in Loop: Header=BB136_8 Depth=1
	s_andn2_saveexec_b64 s[26:27], s[26:27]
	s_cbranch_execz .LBB136_12
; %bb.11:                               ;   in Loop: Header=BB136_8 Depth=1
	global_load_dwordx4 v[32:35], v[0:1], off
	s_waitcnt vmcnt(0)
	ds_write2_b64 v24, v[32:33], v[34:35] offset1:1
.LBB136_12:                             ;   in Loop: Header=BB136_8 Depth=1
	s_or_b64 exec, exec, s[26:27]
	v_add_u32_e32 v32, s29, v22
	v_cmp_le_i32_e32 vcc, s7, v32
	s_or_b64 s[26:27], vcc, s[2:3]
	s_and_saveexec_b64 s[30:31], s[26:27]
	s_xor_b64 s[26:27], exec, s[30:31]
; %bb.13:                               ;   in Loop: Header=BB136_8 Depth=1
	ds_write_b128 v25, v[28:31]
; %bb.14:                               ;   in Loop: Header=BB136_8 Depth=1
	s_andn2_saveexec_b64 s[26:27], s[26:27]
	s_cbranch_execz .LBB136_7
; %bb.15:                               ;   in Loop: Header=BB136_8 Depth=1
	global_load_dwordx4 v[32:35], v[2:3], off
	s_waitcnt vmcnt(0)
	ds_write2_b64 v25, v[32:33], v[34:35] offset1:1
	s_branch .LBB136_7
.LBB136_16:
	s_load_dwordx2 s[2:3], s[0:1], 0x68
	s_load_dword s20, s[0:1], 0x60
	v_add_u32_e32 v24, s5, v21
	v_add_u32_e32 v20, s28, v20
	v_cmp_le_i32_e32 vcc, v24, v20
	s_waitcnt lgkmcnt(0)
	s_mul_i32 s1, s3, s4
	s_mul_hi_u32 s3, s2, s4
	s_mul_i32 s0, s2, s4
	s_add_i32 s1, s3, s1
	s_lshl_b64 s[0:1], s[0:1], 4
	s_add_u32 s8, s14, s0
	s_addc_u32 s9, s15, s1
	v_cmp_neq_f64_e64 s[0:1], s[10:11], 0
	s_xor_b64 s[4:5], s[24:25], -1
	v_mad_i64_i32 v[0:1], s[2:3], v24, s20, 0
	s_or_b64 s[0:1], s[0:1], s[4:5]
	v_lshl_add_u64 v[22:23], v[0:1], 4, s[8:9]
	v_cmp_gt_i32_e64 s[2:3], s6, v20
	v_cndmask_b32_e64 v0, 0, 1, s[0:1]
	s_and_b64 s[14:15], vcc, s[2:3]
	v_ashrrev_i32_e32 v21, 31, v20
	v_cmp_ne_u32_e64 s[0:1], 1, v0
	s_and_saveexec_b64 s[4:5], s[14:15]
	s_cbranch_execz .LBB136_20
; %bb.17:
	v_mul_f64 v[0:1], s[18:19], v[18:19]
	v_mul_f64 v[2:3], s[16:17], v[18:19]
	v_fma_f64 v[0:1], s[16:17], v[16:17], -v[0:1]
	v_fmac_f64_e32 v[2:3], s[18:19], v[16:17]
	s_and_b64 vcc, exec, s[0:1]
	v_lshl_add_u64 v[16:17], v[20:21], 4, v[22:23]
	s_cbranch_vccnz .LBB136_19
; %bb.18:
	global_load_dwordx4 v[26:29], v[16:17], off
	s_waitcnt vmcnt(0)
	v_mul_f64 v[18:19], s[12:13], v[28:29]
	v_mul_f64 v[28:29], s[10:11], v[28:29]
	v_fma_f64 v[18:19], s[10:11], v[26:27], -v[18:19]
	v_fmac_f64_e32 v[28:29], s[12:13], v[26:27]
	v_add_f64 v[0:1], v[0:1], v[18:19]
	v_add_f64 v[2:3], v[2:3], v[28:29]
.LBB136_19:
	global_store_dwordx4 v[16:17], v[0:3], off
.LBB136_20:
	s_or_b64 exec, exec, s[4:5]
	v_add_u32_e32 v16, 16, v20
	v_cmp_le_i32_e32 vcc, v24, v16
	v_cmp_gt_i32_e64 s[4:5], s6, v16
	s_and_b64 s[14:15], vcc, s[4:5]
	v_ashrrev_i32_e32 v17, 31, v16
	s_and_saveexec_b64 s[6:7], s[14:15]
	s_cbranch_execz .LBB136_24
; %bb.21:
	v_mul_f64 v[0:1], s[18:19], v[14:15]
	v_mul_f64 v[2:3], s[16:17], v[14:15]
	v_fma_f64 v[0:1], s[16:17], v[12:13], -v[0:1]
	v_fmac_f64_e32 v[2:3], s[18:19], v[12:13]
	s_and_b64 vcc, exec, s[0:1]
	v_lshl_add_u64 v[12:13], v[16:17], 4, v[22:23]
	s_cbranch_vccnz .LBB136_23
; %bb.22:
	global_load_dwordx4 v[26:29], v[12:13], off
	s_waitcnt vmcnt(0)
	v_mul_f64 v[14:15], s[12:13], v[28:29]
	v_mul_f64 v[18:19], s[10:11], v[28:29]
	v_fma_f64 v[14:15], s[10:11], v[26:27], -v[14:15]
	v_fmac_f64_e32 v[18:19], s[12:13], v[26:27]
	v_add_f64 v[0:1], v[0:1], v[14:15]
	v_add_f64 v[2:3], v[2:3], v[18:19]
.LBB136_23:
	global_store_dwordx4 v[12:13], v[0:3], off
.LBB136_24:
	s_or_b64 exec, exec, s[6:7]
	v_add_u32_e32 v14, 16, v24
	v_mad_i64_i32 v[0:1], s[6:7], v14, s20, 0
	v_cmp_le_i32_e32 vcc, v14, v20
	v_lshl_add_u64 v[12:13], v[0:1], 4, s[8:9]
	s_and_b64 s[6:7], vcc, s[2:3]
	s_and_saveexec_b64 s[2:3], s[6:7]
	s_cbranch_execz .LBB136_28
; %bb.25:
	v_mul_f64 v[0:1], s[18:19], v[10:11]
	v_mul_f64 v[2:3], s[16:17], v[10:11]
	v_fma_f64 v[0:1], s[16:17], v[8:9], -v[0:1]
	v_fmac_f64_e32 v[2:3], s[18:19], v[8:9]
	s_and_b64 vcc, exec, s[0:1]
	v_lshl_add_u64 v[8:9], v[20:21], 4, v[12:13]
	s_cbranch_vccnz .LBB136_27
; %bb.26:
	global_load_dwordx4 v[18:21], v[8:9], off
	s_waitcnt vmcnt(0)
	v_mul_f64 v[10:11], s[12:13], v[20:21]
	v_mul_f64 v[20:21], s[10:11], v[20:21]
	v_fma_f64 v[10:11], s[10:11], v[18:19], -v[10:11]
	v_fmac_f64_e32 v[20:21], s[12:13], v[18:19]
	v_add_f64 v[0:1], v[0:1], v[10:11]
	v_add_f64 v[2:3], v[2:3], v[20:21]
.LBB136_27:
	global_store_dwordx4 v[8:9], v[0:3], off
.LBB136_28:
	s_or_b64 exec, exec, s[2:3]
	v_cmp_le_i32_e32 vcc, v14, v16
	s_and_b64 s[2:3], vcc, s[4:5]
	s_and_saveexec_b64 s[4:5], s[2:3]
	s_cbranch_execz .LBB136_32
; %bb.29:
	v_mul_f64 v[0:1], s[18:19], v[4:5]
	v_mul_f64 v[2:3], s[16:17], v[4:5]
	v_fma_f64 v[0:1], s[16:17], v[6:7], -v[0:1]
	v_fmac_f64_e32 v[2:3], s[18:19], v[6:7]
	s_and_b64 vcc, exec, s[0:1]
	v_lshl_add_u64 v[4:5], v[16:17], 4, v[12:13]
	s_cbranch_vccnz .LBB136_31
; %bb.30:
	global_load_dwordx4 v[6:9], v[4:5], off
	s_waitcnt vmcnt(0)
	v_mul_f64 v[10:11], s[12:13], v[8:9]
	v_mul_f64 v[8:9], s[10:11], v[8:9]
	v_fma_f64 v[10:11], s[10:11], v[6:7], -v[10:11]
	v_fmac_f64_e32 v[8:9], s[12:13], v[6:7]
	v_add_f64 v[0:1], v[0:1], v[10:11]
	v_add_f64 v[2:3], v[2:3], v[8:9]
.LBB136_31:
	global_store_dwordx4 v[4:5], v[0:3], off
.LBB136_32:
	s_endpgm
	.section	.rodata,"a",@progbits
	.p2align	6, 0x0
	.amdhsa_kernel _ZL29rocblas_internal_gemmt_kernelIiLi16ELi32ELi8ELc78ELc84ELc76ELb0ELb0E19rocblas_complex_numIdES1_PKS1_PS1_EviT_T9_T10_S5_lS7_S5_lS6_T11_S5_li
		.amdhsa_group_segment_fixed_size 8192
		.amdhsa_private_segment_fixed_size 0
		.amdhsa_kernarg_size 116
		.amdhsa_user_sgpr_count 2
		.amdhsa_user_sgpr_dispatch_ptr 0
		.amdhsa_user_sgpr_queue_ptr 0
		.amdhsa_user_sgpr_kernarg_segment_ptr 1
		.amdhsa_user_sgpr_dispatch_id 0
		.amdhsa_user_sgpr_kernarg_preload_length 0
		.amdhsa_user_sgpr_kernarg_preload_offset 0
		.amdhsa_user_sgpr_private_segment_size 0
		.amdhsa_uses_dynamic_stack 0
		.amdhsa_enable_private_segment 0
		.amdhsa_system_sgpr_workgroup_id_x 1
		.amdhsa_system_sgpr_workgroup_id_y 1
		.amdhsa_system_sgpr_workgroup_id_z 1
		.amdhsa_system_sgpr_workgroup_info 0
		.amdhsa_system_vgpr_workitem_id 1
		.amdhsa_next_free_vgpr 62
		.amdhsa_next_free_sgpr 38
		.amdhsa_accum_offset 64
		.amdhsa_reserve_vcc 1
		.amdhsa_float_round_mode_32 0
		.amdhsa_float_round_mode_16_64 0
		.amdhsa_float_denorm_mode_32 3
		.amdhsa_float_denorm_mode_16_64 3
		.amdhsa_dx10_clamp 1
		.amdhsa_ieee_mode 1
		.amdhsa_fp16_overflow 0
		.amdhsa_tg_split 0
		.amdhsa_exception_fp_ieee_invalid_op 0
		.amdhsa_exception_fp_denorm_src 0
		.amdhsa_exception_fp_ieee_div_zero 0
		.amdhsa_exception_fp_ieee_overflow 0
		.amdhsa_exception_fp_ieee_underflow 0
		.amdhsa_exception_fp_ieee_inexact 0
		.amdhsa_exception_int_div_zero 0
	.end_amdhsa_kernel
	.section	.text._ZL29rocblas_internal_gemmt_kernelIiLi16ELi32ELi8ELc78ELc84ELc76ELb0ELb0E19rocblas_complex_numIdES1_PKS1_PS1_EviT_T9_T10_S5_lS7_S5_lS6_T11_S5_li,"axG",@progbits,_ZL29rocblas_internal_gemmt_kernelIiLi16ELi32ELi8ELc78ELc84ELc76ELb0ELb0E19rocblas_complex_numIdES1_PKS1_PS1_EviT_T9_T10_S5_lS7_S5_lS6_T11_S5_li,comdat
.Lfunc_end136:
	.size	_ZL29rocblas_internal_gemmt_kernelIiLi16ELi32ELi8ELc78ELc84ELc76ELb0ELb0E19rocblas_complex_numIdES1_PKS1_PS1_EviT_T9_T10_S5_lS7_S5_lS6_T11_S5_li, .Lfunc_end136-_ZL29rocblas_internal_gemmt_kernelIiLi16ELi32ELi8ELc78ELc84ELc76ELb0ELb0E19rocblas_complex_numIdES1_PKS1_PS1_EviT_T9_T10_S5_lS7_S5_lS6_T11_S5_li
                                        ; -- End function
	.set _ZL29rocblas_internal_gemmt_kernelIiLi16ELi32ELi8ELc78ELc84ELc76ELb0ELb0E19rocblas_complex_numIdES1_PKS1_PS1_EviT_T9_T10_S5_lS7_S5_lS6_T11_S5_li.num_vgpr, 62
	.set _ZL29rocblas_internal_gemmt_kernelIiLi16ELi32ELi8ELc78ELc84ELc76ELb0ELb0E19rocblas_complex_numIdES1_PKS1_PS1_EviT_T9_T10_S5_lS7_S5_lS6_T11_S5_li.num_agpr, 0
	.set _ZL29rocblas_internal_gemmt_kernelIiLi16ELi32ELi8ELc78ELc84ELc76ELb0ELb0E19rocblas_complex_numIdES1_PKS1_PS1_EviT_T9_T10_S5_lS7_S5_lS6_T11_S5_li.numbered_sgpr, 38
	.set _ZL29rocblas_internal_gemmt_kernelIiLi16ELi32ELi8ELc78ELc84ELc76ELb0ELb0E19rocblas_complex_numIdES1_PKS1_PS1_EviT_T9_T10_S5_lS7_S5_lS6_T11_S5_li.num_named_barrier, 0
	.set _ZL29rocblas_internal_gemmt_kernelIiLi16ELi32ELi8ELc78ELc84ELc76ELb0ELb0E19rocblas_complex_numIdES1_PKS1_PS1_EviT_T9_T10_S5_lS7_S5_lS6_T11_S5_li.private_seg_size, 0
	.set _ZL29rocblas_internal_gemmt_kernelIiLi16ELi32ELi8ELc78ELc84ELc76ELb0ELb0E19rocblas_complex_numIdES1_PKS1_PS1_EviT_T9_T10_S5_lS7_S5_lS6_T11_S5_li.uses_vcc, 1
	.set _ZL29rocblas_internal_gemmt_kernelIiLi16ELi32ELi8ELc78ELc84ELc76ELb0ELb0E19rocblas_complex_numIdES1_PKS1_PS1_EviT_T9_T10_S5_lS7_S5_lS6_T11_S5_li.uses_flat_scratch, 0
	.set _ZL29rocblas_internal_gemmt_kernelIiLi16ELi32ELi8ELc78ELc84ELc76ELb0ELb0E19rocblas_complex_numIdES1_PKS1_PS1_EviT_T9_T10_S5_lS7_S5_lS6_T11_S5_li.has_dyn_sized_stack, 0
	.set _ZL29rocblas_internal_gemmt_kernelIiLi16ELi32ELi8ELc78ELc84ELc76ELb0ELb0E19rocblas_complex_numIdES1_PKS1_PS1_EviT_T9_T10_S5_lS7_S5_lS6_T11_S5_li.has_recursion, 0
	.set _ZL29rocblas_internal_gemmt_kernelIiLi16ELi32ELi8ELc78ELc84ELc76ELb0ELb0E19rocblas_complex_numIdES1_PKS1_PS1_EviT_T9_T10_S5_lS7_S5_lS6_T11_S5_li.has_indirect_call, 0
	.section	.AMDGPU.csdata,"",@progbits
; Kernel info:
; codeLenInByte = 3104
; TotalNumSgprs: 44
; NumVgprs: 62
; NumAgprs: 0
; TotalNumVgprs: 62
; ScratchSize: 0
; MemoryBound: 0
; FloatMode: 240
; IeeeMode: 1
; LDSByteSize: 8192 bytes/workgroup (compile time only)
; SGPRBlocks: 5
; VGPRBlocks: 7
; NumSGPRsForWavesPerEU: 44
; NumVGPRsForWavesPerEU: 62
; AccumOffset: 64
; Occupancy: 8
; WaveLimiterHint : 0
; COMPUTE_PGM_RSRC2:SCRATCH_EN: 0
; COMPUTE_PGM_RSRC2:USER_SGPR: 2
; COMPUTE_PGM_RSRC2:TRAP_HANDLER: 0
; COMPUTE_PGM_RSRC2:TGID_X_EN: 1
; COMPUTE_PGM_RSRC2:TGID_Y_EN: 1
; COMPUTE_PGM_RSRC2:TGID_Z_EN: 1
; COMPUTE_PGM_RSRC2:TIDIG_COMP_CNT: 1
; COMPUTE_PGM_RSRC3_GFX90A:ACCUM_OFFSET: 15
; COMPUTE_PGM_RSRC3_GFX90A:TG_SPLIT: 0
	.section	.text._ZL29rocblas_internal_gemmt_kernelIiLi16ELi32ELi8ELc78ELc67ELc76ELb0ELb1E19rocblas_complex_numIdES1_PKS1_PS1_EviT_T9_T10_S5_lS7_S5_lS6_T11_S5_li,"axG",@progbits,_ZL29rocblas_internal_gemmt_kernelIiLi16ELi32ELi8ELc78ELc67ELc76ELb0ELb1E19rocblas_complex_numIdES1_PKS1_PS1_EviT_T9_T10_S5_lS7_S5_lS6_T11_S5_li,comdat
	.globl	_ZL29rocblas_internal_gemmt_kernelIiLi16ELi32ELi8ELc78ELc67ELc76ELb0ELb1E19rocblas_complex_numIdES1_PKS1_PS1_EviT_T9_T10_S5_lS7_S5_lS6_T11_S5_li ; -- Begin function _ZL29rocblas_internal_gemmt_kernelIiLi16ELi32ELi8ELc78ELc67ELc76ELb0ELb1E19rocblas_complex_numIdES1_PKS1_PS1_EviT_T9_T10_S5_lS7_S5_lS6_T11_S5_li
	.p2align	8
	.type	_ZL29rocblas_internal_gemmt_kernelIiLi16ELi32ELi8ELc78ELc67ELc76ELb0ELb1E19rocblas_complex_numIdES1_PKS1_PS1_EviT_T9_T10_S5_lS7_S5_lS6_T11_S5_li,@function
_ZL29rocblas_internal_gemmt_kernelIiLi16ELi32ELi8ELc78ELc67ELc76ELb0ELb1E19rocblas_complex_numIdES1_PKS1_PS1_EviT_T9_T10_S5_lS7_S5_lS6_T11_S5_li: ; @_ZL29rocblas_internal_gemmt_kernelIiLi16ELi32ELi8ELc78ELc67ELc76ELb0ELb1E19rocblas_complex_numIdES1_PKS1_PS1_EviT_T9_T10_S5_lS7_S5_lS6_T11_S5_li
; %bb.0:
	s_load_dwordx8 s[8:15], s[0:1], 0x40
	s_load_dwordx2 s[6:7], s[0:1], 0x0
	s_load_dwordx4 s[16:19], s[0:1], 0x8
	s_mov_b64 s[20:21], 0
	s_waitcnt lgkmcnt(0)
	v_cmp_eq_f64_e64 s[22:23], s[10:11], 1.0
	v_cmp_eq_f64_e64 s[24:25], s[12:13], 0
	s_and_b64 s[22:23], s[22:23], s[24:25]
	s_andn2_b64 vcc, exec, s[22:23]
	s_mov_b64 s[22:23], -1
	s_cbranch_vccnz .LBB137_4
; %bb.1:
	s_cmp_lg_u32 s7, 0
	s_cbranch_scc0 .LBB137_3
; %bb.2:
	v_cmp_neq_f64_e64 s[20:21], s[16:17], 0
	v_cmp_neq_f64_e64 s[22:23], s[18:19], 0
	s_or_b64 s[20:21], s[20:21], s[22:23]
.LBB137_3:
	s_mov_b64 s[22:23], s[20:21]
.LBB137_4:
	s_and_b64 vcc, exec, s[22:23]
	s_cbranch_vccz .LBB137_30
; %bb.5:
	s_lshl_b32 s26, s2, 5
	s_lshl_b32 s5, s3, 5
	v_cmp_eq_f64_e64 s[2:3], s[16:17], 0
	v_cmp_eq_f64_e64 s[20:21], s[18:19], 0
	s_and_b64 s[2:3], s[2:3], s[20:21]
	s_cmp_lt_i32 s7, 1
	s_cselect_b64 s[20:21], -1, 0
	s_or_b64 s[2:3], s[2:3], s[20:21]
	v_and_b32_e32 v25, 0x3ff, v0
	v_bfe_u32 v24, v0, 10, 10
	s_mov_b32 s27, 0
	v_mov_b64_e32 v[20:21], 0
	s_and_b64 vcc, exec, s[2:3]
	v_mov_b64_e32 v[22:23], 0
	v_mov_b64_e32 v[16:17], 0
	;; [unrolled: 1-line block ×7, first 2 shown]
	s_cbranch_vccnz .LBB137_14
; %bb.6:
	s_load_dwordx2 s[28:29], s[0:1], 0x18
	s_load_dword s30, s[0:1], 0x20
	s_load_dwordx4 s[20:23], s[0:1], 0x28
	s_load_dword s34, s[0:1], 0x38
	v_lshl_add_u32 v1, v24, 4, v25
	v_and_b32_e32 v4, 31, v1
	v_lshrrev_b32_e32 v27, 5, v1
	v_lshrrev_b32_e32 v2, 3, v1
	v_or_b32_e32 v1, s26, v4
	v_and_b32_e32 v26, 7, v25
	v_cmp_gt_i32_e64 s[2:3], s6, v1
	v_lshlrev_b32_e32 v1, 4, v4
	v_lshl_or_b32 v28, v27, 9, v1
	v_lshlrev_b32_e32 v1, 4, v26
	s_waitcnt lgkmcnt(0)
	s_mul_i32 s21, s21, s4
	s_mul_hi_u32 s33, s20, s4
	v_add_u32_e32 v0, s5, v2
	v_lshl_or_b32 v1, v2, 7, v1
	v_mov_b32_e32 v2, 0x1000
	s_add_i32 s21, s33, s21
	s_mul_i32 s20, s20, s4
	v_lshl_add_u32 v31, v24, 7, v2
	v_mad_i64_i32 v[2:3], s[36:37], v27, s30, 0
	s_lshl_b64 s[20:21], s[20:21], 4
	v_add_u32_e32 v4, s26, v4
	v_lshl_add_u64 v[2:3], v[2:3], 4, s[20:21]
	v_ashrrev_i32_e32 v5, 31, v4
	v_lshl_add_u64 v[2:3], v[4:5], 4, v[2:3]
	v_lshl_add_u64 v[4:5], s[28:29], 0, v[2:3]
	s_mul_i32 s9, s9, s4
	s_mul_hi_u32 s28, s8, s4
	s_add_i32 s9, s28, s9
	v_mad_i64_i32 v[2:3], s[28:29], s34, v26, 0
	s_mul_i32 s8, s8, s4
	v_lshlrev_b64 v[2:3], 4, v[2:3]
	v_add_u32_e32 v29, 0x1000, v1
	v_ashrrev_i32_e32 v1, 31, v0
	v_lshl_add_u64 v[2:3], s[8:9], 4, v[2:3]
	v_cmp_gt_i32_e32 vcc, s6, v0
	v_lshl_add_u64 v[0:1], v[0:1], 4, v[2:3]
	s_ashr_i32 s31, s30, 31
	s_ashr_i32 s35, s34, 31
	v_lshl_add_u64 v[0:1], s[22:23], 0, v[0:1]
	v_mov_b32_e32 v32, 0
	v_lshlrev_b32_e32 v30, 4, v25
	s_lshl_b64 s[20:21], s[30:31], 7
	v_lshl_add_u64 v[6:7], v[0:1], 0, 8
	s_lshl_b64 s[8:9], s[34:35], 7
	v_mov_b64_e32 v[8:9], 0
	s_xor_b64 s[22:23], s[2:3], -1
	v_mov_b32_e32 v33, v32
	v_mov_b32_e32 v34, v32
	;; [unrolled: 1-line block ×3, first 2 shown]
	v_mov_b64_e32 v[10:11], 0
	v_mov_b64_e32 v[14:15], 0
	;; [unrolled: 1-line block ×7, first 2 shown]
	s_branch .LBB137_8
.LBB137_7:                              ;   in Loop: Header=BB137_8 Depth=1
	s_or_b64 exec, exec, s[2:3]
	ds_write_b128 v29, v[0:3]
	s_waitcnt lgkmcnt(0)
	s_barrier
	ds_read_b128 v[0:3], v30
	ds_read_b128 v[36:39], v31
	ds_read_b128 v[40:43], v31 offset:16
	ds_read_b128 v[44:47], v31 offset:32
	;; [unrolled: 1-line block ×4, first 2 shown]
	s_waitcnt lgkmcnt(4)
	v_mul_f64 v[56:57], v[38:39], v[2:3]
	v_fma_f64 v[56:57], v[36:37], v[0:1], -v[56:57]
	v_mul_f64 v[58:59], v[36:37], v[2:3]
	v_fmac_f64_e32 v[58:59], v[38:39], v[0:1]
	v_add_f64 v[56:57], v[20:21], v[56:57]
	s_waitcnt lgkmcnt(0)
	v_mul_f64 v[20:21], v[38:39], v[54:55]
	v_add_f64 v[58:59], v[58:59], v[22:23]
	v_fma_f64 v[60:61], v[36:37], v[52:53], -v[20:21]
	ds_read_b128 v[20:23], v31 offset:2048
	v_mul_f64 v[36:37], v[36:37], v[54:55]
	v_fmac_f64_e32 v[36:37], v[38:39], v[52:53]
	v_add_f64 v[38:39], v[16:17], v[60:61]
	v_add_f64 v[36:37], v[36:37], v[18:19]
	ds_read_b128 v[16:19], v31 offset:2064
	s_waitcnt lgkmcnt(1)
	v_mul_f64 v[60:61], v[22:23], v[2:3]
	v_mul_f64 v[2:3], v[20:21], v[2:3]
	v_fma_f64 v[60:61], v[20:21], v[0:1], -v[60:61]
	v_fmac_f64_e32 v[2:3], v[22:23], v[0:1]
	v_mul_f64 v[0:1], v[22:23], v[54:55]
	v_add_f64 v[12:13], v[12:13], v[60:61]
	v_add_f64 v[14:15], v[2:3], v[14:15]
	v_fma_f64 v[60:61], v[20:21], v[52:53], -v[0:1]
	v_mul_f64 v[20:21], v[20:21], v[54:55]
	ds_read_b128 v[0:3], v30 offset:512
	v_fmac_f64_e32 v[20:21], v[22:23], v[52:53]
	v_add_f64 v[22:23], v[10:11], v[60:61]
	v_add_f64 v[20:21], v[20:21], v[8:9]
	ds_read_b128 v[8:11], v30 offset:768
	s_waitcnt lgkmcnt(1)
	v_mul_f64 v[52:53], v[42:43], v[2:3]
	v_fma_f64 v[52:53], v[40:41], v[0:1], -v[52:53]
	v_add_f64 v[52:53], v[56:57], v[52:53]
	v_mul_f64 v[54:55], v[40:41], v[2:3]
	s_waitcnt lgkmcnt(0)
	v_mul_f64 v[56:57], v[42:43], v[10:11]
	v_fma_f64 v[56:57], v[40:41], v[8:9], -v[56:57]
	v_mul_f64 v[40:41], v[40:41], v[10:11]
	v_fmac_f64_e32 v[40:41], v[42:43], v[8:9]
	v_add_f64 v[36:37], v[40:41], v[36:37]
	v_mul_f64 v[40:41], v[18:19], v[2:3]
	v_mul_f64 v[2:3], v[16:17], v[2:3]
	v_fmac_f64_e32 v[54:55], v[42:43], v[0:1]
	v_fma_f64 v[40:41], v[16:17], v[0:1], -v[40:41]
	v_fmac_f64_e32 v[2:3], v[18:19], v[0:1]
	v_mul_f64 v[0:1], v[18:19], v[10:11]
	v_add_f64 v[40:41], v[12:13], v[40:41]
	v_add_f64 v[42:43], v[2:3], v[14:15]
	v_fma_f64 v[12:13], v[16:17], v[8:9], -v[0:1]
	v_mul_f64 v[10:11], v[16:17], v[10:11]
	ds_read_b128 v[0:3], v30 offset:1024
	v_fmac_f64_e32 v[10:11], v[18:19], v[8:9]
	v_add_f64 v[20:21], v[10:11], v[20:21]
	ds_read_b128 v[8:11], v30 offset:1280
	v_add_f64 v[22:23], v[22:23], v[12:13]
	s_waitcnt lgkmcnt(1)
	v_mul_f64 v[12:13], v[46:47], v[2:3]
	v_fma_f64 v[12:13], v[44:45], v[0:1], -v[12:13]
	v_mul_f64 v[14:15], v[44:45], v[2:3]
	v_add_f64 v[54:55], v[54:55], v[58:59]
	v_fmac_f64_e32 v[14:15], v[46:47], v[0:1]
	v_add_f64 v[52:53], v[52:53], v[12:13]
	s_waitcnt lgkmcnt(0)
	v_mul_f64 v[12:13], v[46:47], v[10:11]
	v_add_f64 v[54:55], v[14:15], v[54:55]
	v_fma_f64 v[16:17], v[44:45], v[8:9], -v[12:13]
	ds_read_b128 v[12:15], v31 offset:2080
	v_mul_f64 v[18:19], v[44:45], v[10:11]
	v_add_f64 v[38:39], v[38:39], v[56:57]
	v_fmac_f64_e32 v[18:19], v[46:47], v[8:9]
	v_add_f64 v[38:39], v[38:39], v[16:17]
	v_add_f64 v[36:37], v[18:19], v[36:37]
	ds_read_b128 v[16:19], v31 offset:2096
	s_waitcnt lgkmcnt(1)
	v_mul_f64 v[44:45], v[14:15], v[2:3]
	v_mul_f64 v[2:3], v[12:13], v[2:3]
	v_fma_f64 v[44:45], v[12:13], v[0:1], -v[44:45]
	v_fmac_f64_e32 v[2:3], v[14:15], v[0:1]
	v_mul_f64 v[0:1], v[14:15], v[10:11]
	v_mul_f64 v[10:11], v[12:13], v[10:11]
	v_fmac_f64_e32 v[10:11], v[14:15], v[8:9]
	v_add_f64 v[40:41], v[40:41], v[44:45]
	v_add_f64 v[42:43], v[2:3], v[42:43]
	v_fma_f64 v[44:45], v[12:13], v[8:9], -v[0:1]
	ds_read_b128 v[0:3], v30 offset:1536
	v_add_f64 v[14:15], v[10:11], v[20:21]
	ds_read_b128 v[8:11], v30 offset:1792
	v_add_f64 v[12:13], v[22:23], v[44:45]
	s_add_i32 s27, s27, 8
	s_waitcnt lgkmcnt(1)
	v_mul_f64 v[20:21], v[50:51], v[2:3]
	v_mul_f64 v[22:23], v[48:49], v[2:3]
	s_waitcnt lgkmcnt(0)
	v_mul_f64 v[44:45], v[50:51], v[10:11]
	v_fma_f64 v[44:45], v[48:49], v[8:9], -v[44:45]
	v_add_f64 v[38:39], v[38:39], v[44:45]
	v_mul_f64 v[44:45], v[18:19], v[2:3]
	v_mul_f64 v[2:3], v[16:17], v[2:3]
	v_fma_f64 v[20:21], v[48:49], v[0:1], -v[20:21]
	v_fmac_f64_e32 v[22:23], v[50:51], v[0:1]
	v_fma_f64 v[44:45], v[16:17], v[0:1], -v[44:45]
	v_fmac_f64_e32 v[2:3], v[18:19], v[0:1]
	v_mul_f64 v[0:1], v[18:19], v[10:11]
	v_mul_f64 v[46:47], v[48:49], v[10:11]
	v_add_f64 v[40:41], v[40:41], v[44:45]
	v_fma_f64 v[44:45], v[16:17], v[8:9], -v[0:1]
	v_mul_f64 v[16:17], v[16:17], v[10:11]
	v_fmac_f64_e32 v[46:47], v[50:51], v[8:9]
	v_add_f64 v[42:43], v[2:3], v[42:43]
	v_fmac_f64_e32 v[16:17], v[18:19], v[8:9]
	ds_read_b128 v[0:3], v31 offset:64
	ds_read_b128 v[8:11], v30 offset:2048
	v_add_f64 v[36:37], v[46:47], v[36:37]
	v_add_f64 v[44:45], v[12:13], v[44:45]
	;; [unrolled: 1-line block ×3, first 2 shown]
	ds_read_b128 v[12:15], v30 offset:2304
	ds_read_b128 v[16:19], v31 offset:80
	s_waitcnt lgkmcnt(2)
	v_mul_f64 v[48:49], v[2:3], v[10:11]
	v_add_f64 v[20:21], v[52:53], v[20:21]
	v_fma_f64 v[48:49], v[0:1], v[8:9], -v[48:49]
	v_mul_f64 v[50:51], v[0:1], v[10:11]
	v_add_f64 v[22:23], v[22:23], v[54:55]
	v_fmac_f64_e32 v[50:51], v[2:3], v[8:9]
	v_add_f64 v[48:49], v[20:21], v[48:49]
	s_waitcnt lgkmcnt(1)
	v_mul_f64 v[20:21], v[2:3], v[14:15]
	v_add_f64 v[50:51], v[50:51], v[22:23]
	v_fma_f64 v[52:53], v[0:1], v[12:13], -v[20:21]
	ds_read_b128 v[20:23], v31 offset:2112
	v_mul_f64 v[0:1], v[0:1], v[14:15]
	v_fmac_f64_e32 v[0:1], v[2:3], v[12:13]
	v_add_f64 v[38:39], v[38:39], v[52:53]
	v_add_f64 v[36:37], v[0:1], v[36:37]
	ds_read_b128 v[0:3], v31 offset:2128
	s_waitcnt lgkmcnt(1)
	v_mul_f64 v[52:53], v[22:23], v[10:11]
	v_mul_f64 v[10:11], v[20:21], v[10:11]
	v_fma_f64 v[52:53], v[20:21], v[8:9], -v[52:53]
	v_fmac_f64_e32 v[10:11], v[22:23], v[8:9]
	v_mul_f64 v[8:9], v[22:23], v[14:15]
	v_add_f64 v[40:41], v[40:41], v[52:53]
	v_add_f64 v[42:43], v[10:11], v[42:43]
	v_fma_f64 v[52:53], v[20:21], v[12:13], -v[8:9]
	v_mul_f64 v[14:15], v[20:21], v[14:15]
	ds_read_b128 v[8:11], v30 offset:2560
	v_fmac_f64_e32 v[14:15], v[22:23], v[12:13]
	v_add_f64 v[22:23], v[14:15], v[46:47]
	ds_read_b128 v[12:15], v30 offset:2816
	v_add_f64 v[20:21], v[44:45], v[52:53]
	s_waitcnt lgkmcnt(1)
	v_mul_f64 v[44:45], v[18:19], v[10:11]
	v_fma_f64 v[44:45], v[16:17], v[8:9], -v[44:45]
	v_add_f64 v[44:45], v[48:49], v[44:45]
	s_waitcnt lgkmcnt(0)
	v_mul_f64 v[48:49], v[18:19], v[14:15]
	v_mul_f64 v[46:47], v[16:17], v[10:11]
	v_fma_f64 v[48:49], v[16:17], v[12:13], -v[48:49]
	v_mul_f64 v[16:17], v[16:17], v[14:15]
	v_fmac_f64_e32 v[16:17], v[18:19], v[12:13]
	v_add_f64 v[36:37], v[16:17], v[36:37]
	v_mul_f64 v[16:17], v[2:3], v[10:11]
	v_mul_f64 v[10:11], v[0:1], v[10:11]
	v_fmac_f64_e32 v[46:47], v[18:19], v[8:9]
	v_fma_f64 v[16:17], v[0:1], v[8:9], -v[16:17]
	v_fmac_f64_e32 v[10:11], v[2:3], v[8:9]
	v_mul_f64 v[8:9], v[2:3], v[14:15]
	v_mul_f64 v[14:15], v[0:1], v[14:15]
	v_add_f64 v[40:41], v[40:41], v[16:17]
	v_add_f64 v[42:43], v[10:11], v[42:43]
	v_fma_f64 v[16:17], v[0:1], v[12:13], -v[8:9]
	v_fmac_f64_e32 v[14:15], v[2:3], v[12:13]
	ds_read_b128 v[0:3], v31 offset:96
	ds_read_b128 v[8:11], v30 offset:3072
	v_add_f64 v[46:47], v[46:47], v[50:51]
	v_add_f64 v[38:39], v[38:39], v[48:49]
	;; [unrolled: 1-line block ×4, first 2 shown]
	ds_read_b128 v[12:15], v30 offset:3328
	ds_read_b128 v[16:19], v31 offset:112
	s_waitcnt lgkmcnt(2)
	v_mul_f64 v[20:21], v[2:3], v[10:11]
	v_fma_f64 v[20:21], v[0:1], v[8:9], -v[20:21]
	v_mul_f64 v[22:23], v[0:1], v[10:11]
	v_fmac_f64_e32 v[22:23], v[2:3], v[8:9]
	v_add_f64 v[44:45], v[44:45], v[20:21]
	s_waitcnt lgkmcnt(1)
	v_mul_f64 v[20:21], v[2:3], v[14:15]
	v_add_f64 v[46:47], v[22:23], v[46:47]
	v_fma_f64 v[52:53], v[0:1], v[12:13], -v[20:21]
	ds_read_b128 v[20:23], v31 offset:2144
	v_mul_f64 v[0:1], v[0:1], v[14:15]
	v_fmac_f64_e32 v[0:1], v[2:3], v[12:13]
	v_add_f64 v[54:55], v[0:1], v[36:37]
	ds_read_b128 v[0:3], v31 offset:2160
	s_waitcnt lgkmcnt(1)
	v_mul_f64 v[36:37], v[22:23], v[10:11]
	v_mul_f64 v[10:11], v[20:21], v[10:11]
	v_fma_f64 v[36:37], v[20:21], v[8:9], -v[36:37]
	v_fmac_f64_e32 v[10:11], v[22:23], v[8:9]
	v_mul_f64 v[8:9], v[22:23], v[14:15]
	v_add_f64 v[40:41], v[40:41], v[36:37]
	v_add_f64 v[42:43], v[10:11], v[42:43]
	v_fma_f64 v[36:37], v[20:21], v[12:13], -v[8:9]
	ds_read_b128 v[8:11], v30 offset:3584
	v_add_f64 v[52:53], v[38:39], v[52:53]
	v_add_f64 v[48:49], v[48:49], v[36:37]
	ds_read_b128 v[36:39], v30 offset:3840
	v_mul_f64 v[14:15], v[20:21], v[14:15]
	v_fmac_f64_e32 v[14:15], v[22:23], v[12:13]
	s_waitcnt lgkmcnt(1)
	v_mul_f64 v[12:13], v[18:19], v[10:11]
	v_fma_f64 v[12:13], v[16:17], v[8:9], -v[12:13]
	v_add_f64 v[50:51], v[14:15], v[50:51]
	v_mul_f64 v[14:15], v[16:17], v[10:11]
	v_add_f64 v[20:21], v[44:45], v[12:13]
	s_waitcnt lgkmcnt(0)
	v_mul_f64 v[12:13], v[18:19], v[38:39]
	v_fmac_f64_e32 v[14:15], v[18:19], v[8:9]
	v_fma_f64 v[12:13], v[16:17], v[36:37], -v[12:13]
	v_add_f64 v[22:23], v[14:15], v[46:47]
	v_mul_f64 v[14:15], v[16:17], v[38:39]
	v_add_f64 v[16:17], v[52:53], v[12:13]
	v_mul_f64 v[12:13], v[2:3], v[10:11]
	v_mul_f64 v[10:11], v[0:1], v[10:11]
	v_fma_f64 v[12:13], v[0:1], v[8:9], -v[12:13]
	v_fmac_f64_e32 v[10:11], v[2:3], v[8:9]
	v_mul_f64 v[8:9], v[2:3], v[38:39]
	v_fma_f64 v[8:9], v[0:1], v[36:37], -v[8:9]
	v_mul_f64 v[0:1], v[0:1], v[38:39]
	v_fmac_f64_e32 v[14:15], v[18:19], v[36:37]
	v_fmac_f64_e32 v[0:1], v[2:3], v[36:37]
	v_add_f64 v[18:19], v[14:15], v[54:55]
	v_add_f64 v[12:13], v[40:41], v[12:13]
	;; [unrolled: 1-line block ×5, first 2 shown]
	v_lshl_add_u64 v[4:5], v[4:5], 0, s[20:21]
	s_cmp_lt_i32 s27, s7
	v_lshl_add_u64 v[6:7], v[6:7], 0, s[8:9]
	s_barrier
	s_cbranch_scc0 .LBB137_14
.LBB137_8:                              ; =>This Inner Loop Header: Depth=1
	v_add_u32_e32 v0, s27, v27
	v_cmp_le_i32_e64 s[2:3], s7, v0
	s_or_b64 s[2:3], s[22:23], s[2:3]
	s_and_saveexec_b64 s[28:29], s[2:3]
	s_xor_b64 s[2:3], exec, s[28:29]
; %bb.9:                                ;   in Loop: Header=BB137_8 Depth=1
	ds_write_b128 v28, v[32:35]
; %bb.10:                               ;   in Loop: Header=BB137_8 Depth=1
	s_andn2_saveexec_b64 s[2:3], s[2:3]
	s_cbranch_execz .LBB137_12
; %bb.11:                               ;   in Loop: Header=BB137_8 Depth=1
	global_load_dwordx4 v[0:3], v[4:5], off
	s_waitcnt vmcnt(0)
	ds_write2_b64 v28, v[0:1], v[2:3] offset1:1
.LBB137_12:                             ;   in Loop: Header=BB137_8 Depth=1
	s_or_b64 exec, exec, s[2:3]
	v_add_u32_e32 v0, s27, v26
	v_cmp_gt_i32_e64 s[2:3], s7, v0
	s_and_b64 s[28:29], s[2:3], vcc
	v_mov_b64_e32 v[0:1], 0
	v_mov_b64_e32 v[2:3], 0
	s_and_saveexec_b64 s[2:3], s[28:29]
	s_cbranch_execz .LBB137_7
; %bb.13:                               ;   in Loop: Header=BB137_8 Depth=1
	global_load_dwordx4 v[0:3], v[6:7], off offset:-8
	s_waitcnt vmcnt(0)
	v_xor_b32_e32 v3, 0x80000000, v3
	s_branch .LBB137_7
.LBB137_14:
	s_load_dwordx2 s[2:3], s[0:1], 0x68
	s_load_dword s20, s[0:1], 0x60
	v_add_u32_e32 v26, s5, v24
	v_add_u32_e32 v4, s26, v25
	v_cmp_le_i32_e32 vcc, v26, v4
	s_waitcnt lgkmcnt(0)
	s_mul_i32 s1, s3, s4
	s_mul_hi_u32 s3, s2, s4
	s_mul_i32 s0, s2, s4
	s_add_i32 s1, s3, s1
	s_lshl_b64 s[0:1], s[0:1], 4
	s_add_u32 s8, s14, s0
	s_addc_u32 s9, s15, s1
	v_cmp_neq_f64_e64 s[0:1], s[10:11], 0
	s_xor_b64 s[4:5], s[24:25], -1
	v_mad_i64_i32 v[0:1], s[2:3], v26, s20, 0
	s_or_b64 s[0:1], s[0:1], s[4:5]
	v_lshl_add_u64 v[24:25], v[0:1], 4, s[8:9]
	v_cmp_gt_i32_e64 s[2:3], s6, v4
	v_cndmask_b32_e64 v0, 0, 1, s[0:1]
	s_and_b64 s[14:15], vcc, s[2:3]
	v_ashrrev_i32_e32 v5, 31, v4
	v_cmp_ne_u32_e64 s[0:1], 1, v0
	s_and_saveexec_b64 s[4:5], s[14:15]
	s_cbranch_execz .LBB137_18
; %bb.15:
	v_mul_f64 v[0:1], s[18:19], v[22:23]
	v_mul_f64 v[2:3], s[16:17], v[22:23]
	v_fma_f64 v[0:1], s[16:17], v[20:21], -v[0:1]
	v_fmac_f64_e32 v[2:3], s[18:19], v[20:21]
	s_and_b64 vcc, exec, s[0:1]
	v_lshl_add_u64 v[6:7], v[4:5], 4, v[24:25]
	s_cbranch_vccnz .LBB137_17
; %bb.16:
	global_load_dwordx4 v[20:23], v[6:7], off
	s_waitcnt vmcnt(0)
	v_mul_f64 v[28:29], s[12:13], v[22:23]
	v_mul_f64 v[22:23], s[10:11], v[22:23]
	v_fma_f64 v[28:29], s[10:11], v[20:21], -v[28:29]
	v_fmac_f64_e32 v[22:23], s[12:13], v[20:21]
	v_add_f64 v[0:1], v[0:1], v[28:29]
	v_add_f64 v[2:3], v[2:3], v[22:23]
.LBB137_17:
	global_store_dwordx4 v[6:7], v[0:3], off
.LBB137_18:
	s_or_b64 exec, exec, s[4:5]
	v_add_u32_e32 v6, 16, v4
	v_cmp_le_i32_e32 vcc, v26, v6
	v_cmp_gt_i32_e64 s[4:5], s6, v6
	s_and_b64 s[14:15], vcc, s[4:5]
	v_ashrrev_i32_e32 v7, 31, v6
	s_and_saveexec_b64 s[6:7], s[14:15]
	s_cbranch_execz .LBB137_22
; %bb.19:
	v_mul_f64 v[0:1], s[18:19], v[18:19]
	v_mul_f64 v[2:3], s[16:17], v[18:19]
	v_fma_f64 v[0:1], s[16:17], v[16:17], -v[0:1]
	v_fmac_f64_e32 v[2:3], s[18:19], v[16:17]
	s_and_b64 vcc, exec, s[0:1]
	v_lshl_add_u64 v[16:17], v[6:7], 4, v[24:25]
	s_cbranch_vccnz .LBB137_21
; %bb.20:
	global_load_dwordx4 v[18:21], v[16:17], off
	s_waitcnt vmcnt(0)
	v_mul_f64 v[22:23], s[12:13], v[20:21]
	v_mul_f64 v[20:21], s[10:11], v[20:21]
	v_fma_f64 v[22:23], s[10:11], v[18:19], -v[22:23]
	v_fmac_f64_e32 v[20:21], s[12:13], v[18:19]
	v_add_f64 v[0:1], v[0:1], v[22:23]
	v_add_f64 v[2:3], v[2:3], v[20:21]
.LBB137_21:
	global_store_dwordx4 v[16:17], v[0:3], off
.LBB137_22:
	s_or_b64 exec, exec, s[6:7]
	v_add_u32_e32 v18, 16, v26
	v_mad_i64_i32 v[0:1], s[6:7], v18, s20, 0
	v_cmp_le_i32_e32 vcc, v18, v4
	v_lshl_add_u64 v[16:17], v[0:1], 4, s[8:9]
	s_and_b64 s[6:7], vcc, s[2:3]
	s_and_saveexec_b64 s[2:3], s[6:7]
	s_cbranch_execz .LBB137_26
; %bb.23:
	v_mul_f64 v[0:1], s[18:19], v[14:15]
	v_mul_f64 v[2:3], s[16:17], v[14:15]
	v_fma_f64 v[0:1], s[16:17], v[12:13], -v[0:1]
	v_fmac_f64_e32 v[2:3], s[18:19], v[12:13]
	s_and_b64 vcc, exec, s[0:1]
	v_lshl_add_u64 v[4:5], v[4:5], 4, v[16:17]
	s_cbranch_vccnz .LBB137_25
; %bb.24:
	global_load_dwordx4 v[12:15], v[4:5], off
	s_waitcnt vmcnt(0)
	v_mul_f64 v[20:21], s[12:13], v[14:15]
	v_mul_f64 v[14:15], s[10:11], v[14:15]
	v_fma_f64 v[20:21], s[10:11], v[12:13], -v[20:21]
	v_fmac_f64_e32 v[14:15], s[12:13], v[12:13]
	v_add_f64 v[0:1], v[0:1], v[20:21]
	v_add_f64 v[2:3], v[2:3], v[14:15]
.LBB137_25:
	global_store_dwordx4 v[4:5], v[0:3], off
.LBB137_26:
	s_or_b64 exec, exec, s[2:3]
	v_cmp_le_i32_e32 vcc, v18, v6
	s_and_b64 s[2:3], vcc, s[4:5]
	s_and_saveexec_b64 s[4:5], s[2:3]
	s_cbranch_execz .LBB137_30
; %bb.27:
	v_mul_f64 v[0:1], s[18:19], v[8:9]
	v_mul_f64 v[2:3], s[16:17], v[8:9]
	v_fma_f64 v[0:1], s[16:17], v[10:11], -v[0:1]
	v_fmac_f64_e32 v[2:3], s[18:19], v[10:11]
	s_and_b64 vcc, exec, s[0:1]
	v_lshl_add_u64 v[4:5], v[6:7], 4, v[16:17]
	s_cbranch_vccnz .LBB137_29
; %bb.28:
	global_load_dwordx4 v[6:9], v[4:5], off
	s_waitcnt vmcnt(0)
	v_mul_f64 v[10:11], s[12:13], v[8:9]
	v_mul_f64 v[8:9], s[10:11], v[8:9]
	v_fma_f64 v[10:11], s[10:11], v[6:7], -v[10:11]
	v_fmac_f64_e32 v[8:9], s[12:13], v[6:7]
	v_add_f64 v[0:1], v[0:1], v[10:11]
	v_add_f64 v[2:3], v[2:3], v[8:9]
.LBB137_29:
	global_store_dwordx4 v[4:5], v[0:3], off
.LBB137_30:
	s_endpgm
	.section	.rodata,"a",@progbits
	.p2align	6, 0x0
	.amdhsa_kernel _ZL29rocblas_internal_gemmt_kernelIiLi16ELi32ELi8ELc78ELc67ELc76ELb0ELb1E19rocblas_complex_numIdES1_PKS1_PS1_EviT_T9_T10_S5_lS7_S5_lS6_T11_S5_li
		.amdhsa_group_segment_fixed_size 8192
		.amdhsa_private_segment_fixed_size 0
		.amdhsa_kernarg_size 116
		.amdhsa_user_sgpr_count 2
		.amdhsa_user_sgpr_dispatch_ptr 0
		.amdhsa_user_sgpr_queue_ptr 0
		.amdhsa_user_sgpr_kernarg_segment_ptr 1
		.amdhsa_user_sgpr_dispatch_id 0
		.amdhsa_user_sgpr_kernarg_preload_length 0
		.amdhsa_user_sgpr_kernarg_preload_offset 0
		.amdhsa_user_sgpr_private_segment_size 0
		.amdhsa_uses_dynamic_stack 0
		.amdhsa_enable_private_segment 0
		.amdhsa_system_sgpr_workgroup_id_x 1
		.amdhsa_system_sgpr_workgroup_id_y 1
		.amdhsa_system_sgpr_workgroup_id_z 1
		.amdhsa_system_sgpr_workgroup_info 0
		.amdhsa_system_vgpr_workitem_id 1
		.amdhsa_next_free_vgpr 62
		.amdhsa_next_free_sgpr 38
		.amdhsa_accum_offset 64
		.amdhsa_reserve_vcc 1
		.amdhsa_float_round_mode_32 0
		.amdhsa_float_round_mode_16_64 0
		.amdhsa_float_denorm_mode_32 3
		.amdhsa_float_denorm_mode_16_64 3
		.amdhsa_dx10_clamp 1
		.amdhsa_ieee_mode 1
		.amdhsa_fp16_overflow 0
		.amdhsa_tg_split 0
		.amdhsa_exception_fp_ieee_invalid_op 0
		.amdhsa_exception_fp_denorm_src 0
		.amdhsa_exception_fp_ieee_div_zero 0
		.amdhsa_exception_fp_ieee_overflow 0
		.amdhsa_exception_fp_ieee_underflow 0
		.amdhsa_exception_fp_ieee_inexact 0
		.amdhsa_exception_int_div_zero 0
	.end_amdhsa_kernel
	.section	.text._ZL29rocblas_internal_gemmt_kernelIiLi16ELi32ELi8ELc78ELc67ELc76ELb0ELb1E19rocblas_complex_numIdES1_PKS1_PS1_EviT_T9_T10_S5_lS7_S5_lS6_T11_S5_li,"axG",@progbits,_ZL29rocblas_internal_gemmt_kernelIiLi16ELi32ELi8ELc78ELc67ELc76ELb0ELb1E19rocblas_complex_numIdES1_PKS1_PS1_EviT_T9_T10_S5_lS7_S5_lS6_T11_S5_li,comdat
.Lfunc_end137:
	.size	_ZL29rocblas_internal_gemmt_kernelIiLi16ELi32ELi8ELc78ELc67ELc76ELb0ELb1E19rocblas_complex_numIdES1_PKS1_PS1_EviT_T9_T10_S5_lS7_S5_lS6_T11_S5_li, .Lfunc_end137-_ZL29rocblas_internal_gemmt_kernelIiLi16ELi32ELi8ELc78ELc67ELc76ELb0ELb1E19rocblas_complex_numIdES1_PKS1_PS1_EviT_T9_T10_S5_lS7_S5_lS6_T11_S5_li
                                        ; -- End function
	.set _ZL29rocblas_internal_gemmt_kernelIiLi16ELi32ELi8ELc78ELc67ELc76ELb0ELb1E19rocblas_complex_numIdES1_PKS1_PS1_EviT_T9_T10_S5_lS7_S5_lS6_T11_S5_li.num_vgpr, 62
	.set _ZL29rocblas_internal_gemmt_kernelIiLi16ELi32ELi8ELc78ELc67ELc76ELb0ELb1E19rocblas_complex_numIdES1_PKS1_PS1_EviT_T9_T10_S5_lS7_S5_lS6_T11_S5_li.num_agpr, 0
	.set _ZL29rocblas_internal_gemmt_kernelIiLi16ELi32ELi8ELc78ELc67ELc76ELb0ELb1E19rocblas_complex_numIdES1_PKS1_PS1_EviT_T9_T10_S5_lS7_S5_lS6_T11_S5_li.numbered_sgpr, 38
	.set _ZL29rocblas_internal_gemmt_kernelIiLi16ELi32ELi8ELc78ELc67ELc76ELb0ELb1E19rocblas_complex_numIdES1_PKS1_PS1_EviT_T9_T10_S5_lS7_S5_lS6_T11_S5_li.num_named_barrier, 0
	.set _ZL29rocblas_internal_gemmt_kernelIiLi16ELi32ELi8ELc78ELc67ELc76ELb0ELb1E19rocblas_complex_numIdES1_PKS1_PS1_EviT_T9_T10_S5_lS7_S5_lS6_T11_S5_li.private_seg_size, 0
	.set _ZL29rocblas_internal_gemmt_kernelIiLi16ELi32ELi8ELc78ELc67ELc76ELb0ELb1E19rocblas_complex_numIdES1_PKS1_PS1_EviT_T9_T10_S5_lS7_S5_lS6_T11_S5_li.uses_vcc, 1
	.set _ZL29rocblas_internal_gemmt_kernelIiLi16ELi32ELi8ELc78ELc67ELc76ELb0ELb1E19rocblas_complex_numIdES1_PKS1_PS1_EviT_T9_T10_S5_lS7_S5_lS6_T11_S5_li.uses_flat_scratch, 0
	.set _ZL29rocblas_internal_gemmt_kernelIiLi16ELi32ELi8ELc78ELc67ELc76ELb0ELb1E19rocblas_complex_numIdES1_PKS1_PS1_EviT_T9_T10_S5_lS7_S5_lS6_T11_S5_li.has_dyn_sized_stack, 0
	.set _ZL29rocblas_internal_gemmt_kernelIiLi16ELi32ELi8ELc78ELc67ELc76ELb0ELb1E19rocblas_complex_numIdES1_PKS1_PS1_EviT_T9_T10_S5_lS7_S5_lS6_T11_S5_li.has_recursion, 0
	.set _ZL29rocblas_internal_gemmt_kernelIiLi16ELi32ELi8ELc78ELc67ELc76ELb0ELb1E19rocblas_complex_numIdES1_PKS1_PS1_EviT_T9_T10_S5_lS7_S5_lS6_T11_S5_li.has_indirect_call, 0
	.section	.AMDGPU.csdata,"",@progbits
; Kernel info:
; codeLenInByte = 3116
; TotalNumSgprs: 44
; NumVgprs: 62
; NumAgprs: 0
; TotalNumVgprs: 62
; ScratchSize: 0
; MemoryBound: 1
; FloatMode: 240
; IeeeMode: 1
; LDSByteSize: 8192 bytes/workgroup (compile time only)
; SGPRBlocks: 5
; VGPRBlocks: 7
; NumSGPRsForWavesPerEU: 44
; NumVGPRsForWavesPerEU: 62
; AccumOffset: 64
; Occupancy: 8
; WaveLimiterHint : 0
; COMPUTE_PGM_RSRC2:SCRATCH_EN: 0
; COMPUTE_PGM_RSRC2:USER_SGPR: 2
; COMPUTE_PGM_RSRC2:TRAP_HANDLER: 0
; COMPUTE_PGM_RSRC2:TGID_X_EN: 1
; COMPUTE_PGM_RSRC2:TGID_Y_EN: 1
; COMPUTE_PGM_RSRC2:TGID_Z_EN: 1
; COMPUTE_PGM_RSRC2:TIDIG_COMP_CNT: 1
; COMPUTE_PGM_RSRC3_GFX90A:ACCUM_OFFSET: 15
; COMPUTE_PGM_RSRC3_GFX90A:TG_SPLIT: 0
	.section	.text._ZL29rocblas_internal_gemmt_kernelIiLi16ELi32ELi8ELc84ELc78ELc76ELb0ELb0E19rocblas_complex_numIdES1_PKS1_PS1_EviT_T9_T10_S5_lS7_S5_lS6_T11_S5_li,"axG",@progbits,_ZL29rocblas_internal_gemmt_kernelIiLi16ELi32ELi8ELc84ELc78ELc76ELb0ELb0E19rocblas_complex_numIdES1_PKS1_PS1_EviT_T9_T10_S5_lS7_S5_lS6_T11_S5_li,comdat
	.globl	_ZL29rocblas_internal_gemmt_kernelIiLi16ELi32ELi8ELc84ELc78ELc76ELb0ELb0E19rocblas_complex_numIdES1_PKS1_PS1_EviT_T9_T10_S5_lS7_S5_lS6_T11_S5_li ; -- Begin function _ZL29rocblas_internal_gemmt_kernelIiLi16ELi32ELi8ELc84ELc78ELc76ELb0ELb0E19rocblas_complex_numIdES1_PKS1_PS1_EviT_T9_T10_S5_lS7_S5_lS6_T11_S5_li
	.p2align	8
	.type	_ZL29rocblas_internal_gemmt_kernelIiLi16ELi32ELi8ELc84ELc78ELc76ELb0ELb0E19rocblas_complex_numIdES1_PKS1_PS1_EviT_T9_T10_S5_lS7_S5_lS6_T11_S5_li,@function
_ZL29rocblas_internal_gemmt_kernelIiLi16ELi32ELi8ELc84ELc78ELc76ELb0ELb0E19rocblas_complex_numIdES1_PKS1_PS1_EviT_T9_T10_S5_lS7_S5_lS6_T11_S5_li: ; @_ZL29rocblas_internal_gemmt_kernelIiLi16ELi32ELi8ELc84ELc78ELc76ELb0ELb0E19rocblas_complex_numIdES1_PKS1_PS1_EviT_T9_T10_S5_lS7_S5_lS6_T11_S5_li
; %bb.0:
	s_load_dwordx8 s[8:15], s[0:1], 0x40
	s_load_dwordx2 s[6:7], s[0:1], 0x0
	s_load_dwordx4 s[16:19], s[0:1], 0x8
	s_mov_b64 s[20:21], 0
	s_waitcnt lgkmcnt(0)
	v_cmp_eq_f64_e64 s[22:23], s[10:11], 1.0
	v_cmp_eq_f64_e64 s[24:25], s[12:13], 0
	s_and_b64 s[22:23], s[22:23], s[24:25]
	s_andn2_b64 vcc, exec, s[22:23]
	s_mov_b64 s[22:23], -1
	s_cbranch_vccnz .LBB138_4
; %bb.1:
	s_cmp_lg_u32 s7, 0
	s_cbranch_scc0 .LBB138_3
; %bb.2:
	v_cmp_neq_f64_e64 s[20:21], s[16:17], 0
	v_cmp_neq_f64_e64 s[22:23], s[18:19], 0
	s_or_b64 s[20:21], s[20:21], s[22:23]
.LBB138_3:
	s_mov_b64 s[22:23], s[20:21]
.LBB138_4:
	s_and_b64 vcc, exec, s[22:23]
	s_cbranch_vccz .LBB138_32
; %bb.5:
	s_lshl_b32 s26, s2, 5
	s_lshl_b32 s5, s3, 5
	v_cmp_eq_f64_e64 s[2:3], s[16:17], 0
	v_cmp_eq_f64_e64 s[20:21], s[18:19], 0
	s_and_b64 s[2:3], s[2:3], s[20:21]
	s_cmp_lt_i32 s7, 1
	s_cselect_b64 s[20:21], -1, 0
	s_or_b64 s[2:3], s[2:3], s[20:21]
	v_and_b32_e32 v25, 0x3ff, v0
	v_bfe_u32 v24, v0, 10, 10
	s_mov_b32 s27, 0
	v_mov_b64_e32 v[20:21], 0
	s_and_b64 vcc, exec, s[2:3]
	v_mov_b64_e32 v[22:23], 0
	v_mov_b64_e32 v[16:17], 0
	;; [unrolled: 1-line block ×7, first 2 shown]
	s_cbranch_vccnz .LBB138_16
; %bb.6:
	v_lshl_add_u32 v0, v24, 4, v25
	v_lshrrev_b32_e32 v27, 5, v0
	v_lshrrev_b32_e32 v1, 3, v0
	v_and_b32_e32 v0, 31, v0
	v_or_b32_e32 v2, s26, v0
	v_and_b32_e32 v26, 7, v25
	v_cmp_gt_i32_e32 vcc, s6, v2
	v_lshlrev_b32_e32 v2, 4, v0
	s_load_dwordx2 s[28:29], s[0:1], 0x18
	s_load_dword s30, s[0:1], 0x20
	s_load_dwordx4 s[20:23], s[0:1], 0x28
	s_load_dword s33, s[0:1], 0x38
	v_lshl_or_b32 v28, v27, 9, v2
	v_lshlrev_b32_e32 v2, 4, v26
	v_add_u32_e32 v3, s5, v1
	v_lshl_or_b32 v1, v1, 7, v2
	v_add_u32_e32 v29, 0x1000, v1
	v_mov_b32_e32 v1, 0x1000
	v_add_u32_e32 v0, s26, v0
	v_lshl_add_u32 v31, v24, 7, v1
	s_waitcnt lgkmcnt(0)
	v_mad_i64_i32 v[0:1], s[30:31], s30, v0, 0
	s_mul_i32 s21, s21, s4
	s_mul_hi_u32 s30, s20, s4
	s_add_i32 s21, s30, s21
	s_mul_i32 s20, s20, s4
	s_lshl_b64 s[20:21], s[20:21], 4
	v_lshl_add_u64 v[4:5], v[0:1], 4, s[20:21]
	v_mad_i64_i32 v[6:7], s[20:21], s33, v3, 0
	s_mul_i32 s9, s9, s4
	s_mul_hi_u32 s20, s8, s4
	s_add_i32 s9, s20, s9
	s_mul_i32 s8, s8, s4
	v_mov_b32_e32 v1, 0
	s_lshl_b64 s[8:9], s[8:9], 4
	v_cmp_gt_i32_e64 s[2:3], s6, v3
	v_lshlrev_b32_e32 v0, 4, v27
	v_lshl_add_u64 v[6:7], v[6:7], 4, s[8:9]
	v_mov_b32_e32 v3, v1
	v_lshl_add_u64 v[4:5], v[4:5], 0, v[0:1]
	v_lshl_add_u64 v[2:3], v[6:7], 0, v[2:3]
	v_lshlrev_b32_e32 v30, 4, v25
	v_lshl_add_u64 v[4:5], s[28:29], 0, v[4:5]
	v_lshl_add_u64 v[6:7], s[22:23], 0, v[2:3]
	v_mov_b64_e32 v[8:9], 0
	s_xor_b64 s[8:9], vcc, -1
	s_xor_b64 s[2:3], s[2:3], -1
	s_mov_b64 s[20:21], 0x80
	v_mov_b32_e32 v0, v1
	v_mov_b32_e32 v2, v1
	;; [unrolled: 1-line block ×3, first 2 shown]
	v_mov_b64_e32 v[10:11], 0
	v_mov_b64_e32 v[14:15], 0
	;; [unrolled: 1-line block ×7, first 2 shown]
	s_branch .LBB138_8
.LBB138_7:                              ;   in Loop: Header=BB138_8 Depth=1
	s_or_b64 exec, exec, s[22:23]
	s_waitcnt lgkmcnt(0)
	s_barrier
	ds_read_b128 v[32:35], v30
	ds_read_b128 v[36:39], v31
	ds_read_b128 v[40:43], v31 offset:16
	ds_read_b128 v[44:47], v31 offset:32
	;; [unrolled: 1-line block ×4, first 2 shown]
	s_waitcnt lgkmcnt(4)
	v_mul_f64 v[56:57], v[38:39], v[34:35]
	v_fma_f64 v[56:57], v[36:37], v[32:33], -v[56:57]
	v_mul_f64 v[58:59], v[36:37], v[34:35]
	v_fmac_f64_e32 v[58:59], v[38:39], v[32:33]
	v_add_f64 v[56:57], v[20:21], v[56:57]
	s_waitcnt lgkmcnt(0)
	v_mul_f64 v[20:21], v[38:39], v[54:55]
	v_add_f64 v[58:59], v[58:59], v[22:23]
	v_fma_f64 v[60:61], v[36:37], v[52:53], -v[20:21]
	ds_read_b128 v[20:23], v31 offset:2048
	v_mul_f64 v[36:37], v[36:37], v[54:55]
	v_fmac_f64_e32 v[36:37], v[38:39], v[52:53]
	v_add_f64 v[38:39], v[16:17], v[60:61]
	v_add_f64 v[36:37], v[36:37], v[18:19]
	ds_read_b128 v[16:19], v31 offset:2064
	s_waitcnt lgkmcnt(1)
	v_mul_f64 v[60:61], v[22:23], v[34:35]
	v_fma_f64 v[60:61], v[20:21], v[32:33], -v[60:61]
	v_mul_f64 v[34:35], v[20:21], v[34:35]
	v_fmac_f64_e32 v[34:35], v[22:23], v[32:33]
	v_add_f64 v[32:33], v[12:13], v[60:61]
	v_mul_f64 v[12:13], v[22:23], v[54:55]
	v_add_f64 v[34:35], v[34:35], v[14:15]
	v_fma_f64 v[60:61], v[20:21], v[52:53], -v[12:13]
	v_mul_f64 v[20:21], v[20:21], v[54:55]
	ds_read_b128 v[12:15], v30 offset:512
	v_fmac_f64_e32 v[20:21], v[22:23], v[52:53]
	v_add_f64 v[22:23], v[10:11], v[60:61]
	v_add_f64 v[20:21], v[20:21], v[8:9]
	ds_read_b128 v[8:11], v30 offset:768
	s_waitcnt lgkmcnt(1)
	v_mul_f64 v[52:53], v[42:43], v[14:15]
	v_fma_f64 v[52:53], v[40:41], v[12:13], -v[52:53]
	v_add_f64 v[52:53], v[56:57], v[52:53]
	v_mul_f64 v[54:55], v[40:41], v[14:15]
	s_waitcnt lgkmcnt(0)
	v_mul_f64 v[56:57], v[42:43], v[10:11]
	v_fma_f64 v[56:57], v[40:41], v[8:9], -v[56:57]
	v_mul_f64 v[40:41], v[40:41], v[10:11]
	v_fmac_f64_e32 v[40:41], v[42:43], v[8:9]
	v_add_f64 v[36:37], v[40:41], v[36:37]
	v_mul_f64 v[40:41], v[18:19], v[14:15]
	v_mul_f64 v[14:15], v[16:17], v[14:15]
	v_fmac_f64_e32 v[54:55], v[42:43], v[12:13]
	v_fma_f64 v[40:41], v[16:17], v[12:13], -v[40:41]
	v_fmac_f64_e32 v[14:15], v[18:19], v[12:13]
	v_mul_f64 v[12:13], v[18:19], v[10:11]
	v_add_f64 v[42:43], v[14:15], v[34:35]
	v_fma_f64 v[14:15], v[16:17], v[8:9], -v[12:13]
	v_mul_f64 v[16:17], v[16:17], v[10:11]
	ds_read_b128 v[10:13], v30 offset:1024
	v_fmac_f64_e32 v[16:17], v[18:19], v[8:9]
	v_add_f64 v[38:39], v[38:39], v[56:57]
	v_add_f64 v[22:23], v[22:23], v[14:15]
	;; [unrolled: 1-line block ×3, first 2 shown]
	ds_read_b128 v[14:17], v30 offset:1280
	s_waitcnt lgkmcnt(1)
	v_mul_f64 v[18:19], v[44:45], v[12:13]
	v_add_f64 v[54:55], v[54:55], v[58:59]
	v_fmac_f64_e32 v[18:19], v[46:47], v[10:11]
	v_add_f64 v[54:55], v[18:19], v[54:55]
	ds_read_b128 v[18:21], v31 offset:2080
	v_mul_f64 v[8:9], v[46:47], v[12:13]
	v_fma_f64 v[8:9], v[44:45], v[10:11], -v[8:9]
	v_add_f64 v[40:41], v[32:33], v[40:41]
	v_add_f64 v[52:53], v[52:53], v[8:9]
	s_waitcnt lgkmcnt(1)
	v_mul_f64 v[8:9], v[46:47], v[16:17]
	v_mul_f64 v[32:33], v[44:45], v[16:17]
	v_fma_f64 v[8:9], v[44:45], v[14:15], -v[8:9]
	v_fmac_f64_e32 v[32:33], v[46:47], v[14:15]
	v_add_f64 v[38:39], v[38:39], v[8:9]
	v_add_f64 v[36:37], v[32:33], v[36:37]
	ds_read_b128 v[32:35], v31 offset:2096
	s_waitcnt lgkmcnt(1)
	v_mul_f64 v[8:9], v[20:21], v[12:13]
	v_fma_f64 v[8:9], v[18:19], v[10:11], -v[8:9]
	v_mul_f64 v[12:13], v[18:19], v[12:13]
	v_fmac_f64_e32 v[12:13], v[20:21], v[10:11]
	v_add_f64 v[40:41], v[40:41], v[8:9]
	v_mul_f64 v[8:9], v[20:21], v[16:17]
	v_add_f64 v[42:43], v[12:13], v[42:43]
	v_fma_f64 v[12:13], v[18:19], v[14:15], -v[8:9]
	ds_read_b128 v[8:11], v30 offset:1536
	v_mul_f64 v[16:17], v[18:19], v[16:17]
	v_fmac_f64_e32 v[16:17], v[20:21], v[14:15]
	v_add_f64 v[18:19], v[22:23], v[12:13]
	ds_read_b128 v[12:15], v30 offset:1792
	s_waitcnt lgkmcnt(1)
	v_mul_f64 v[20:21], v[50:51], v[10:11]
	v_fma_f64 v[20:21], v[48:49], v[8:9], -v[20:21]
	v_mul_f64 v[22:23], v[48:49], v[10:11]
	v_fmac_f64_e32 v[22:23], v[50:51], v[8:9]
	v_add_f64 v[44:45], v[52:53], v[20:21]
	s_waitcnt lgkmcnt(0)
	v_mul_f64 v[20:21], v[50:51], v[14:15]
	v_add_f64 v[46:47], v[22:23], v[54:55]
	v_fma_f64 v[20:21], v[48:49], v[12:13], -v[20:21]
	v_mul_f64 v[22:23], v[48:49], v[14:15]
	v_fmac_f64_e32 v[22:23], v[50:51], v[12:13]
	v_add_f64 v[38:39], v[38:39], v[20:21]
	v_mul_f64 v[20:21], v[34:35], v[10:11]
	v_mul_f64 v[10:11], v[32:33], v[10:11]
	v_add_f64 v[36:37], v[22:23], v[36:37]
	v_fma_f64 v[20:21], v[32:33], v[8:9], -v[20:21]
	v_fmac_f64_e32 v[10:11], v[34:35], v[8:9]
	v_mul_f64 v[8:9], v[34:35], v[14:15]
	v_mul_f64 v[22:23], v[32:33], v[14:15]
	v_add_f64 v[40:41], v[40:41], v[20:21]
	v_add_f64 v[42:43], v[10:11], v[42:43]
	v_fma_f64 v[20:21], v[32:33], v[12:13], -v[8:9]
	v_fmac_f64_e32 v[22:23], v[34:35], v[12:13]
	ds_read_b128 v[8:11], v31 offset:64
	ds_read_b128 v[12:15], v30 offset:2048
	v_add_f64 v[16:17], v[16:17], v[56:57]
	v_add_f64 v[48:49], v[18:19], v[20:21]
	;; [unrolled: 1-line block ×3, first 2 shown]
	ds_read_b128 v[16:19], v30 offset:2304
	ds_read_b128 v[20:23], v31 offset:80
	s_waitcnt lgkmcnt(2)
	v_mul_f64 v[32:33], v[10:11], v[14:15]
	v_fma_f64 v[32:33], v[8:9], v[12:13], -v[32:33]
	v_mul_f64 v[34:35], v[8:9], v[14:15]
	v_fmac_f64_e32 v[34:35], v[10:11], v[12:13]
	v_add_f64 v[44:45], v[44:45], v[32:33]
	s_waitcnt lgkmcnt(1)
	v_mul_f64 v[32:33], v[10:11], v[18:19]
	v_add_f64 v[46:47], v[34:35], v[46:47]
	v_fma_f64 v[52:53], v[8:9], v[16:17], -v[32:33]
	ds_read_b128 v[32:35], v31 offset:2112
	v_mul_f64 v[8:9], v[8:9], v[18:19]
	v_fmac_f64_e32 v[8:9], v[10:11], v[16:17]
	v_add_f64 v[38:39], v[38:39], v[52:53]
	v_add_f64 v[36:37], v[8:9], v[36:37]
	ds_read_b128 v[8:11], v31 offset:2128
	s_waitcnt lgkmcnt(1)
	v_mul_f64 v[52:53], v[34:35], v[14:15]
	v_mul_f64 v[14:15], v[32:33], v[14:15]
	v_fma_f64 v[52:53], v[32:33], v[12:13], -v[52:53]
	v_fmac_f64_e32 v[14:15], v[34:35], v[12:13]
	v_mul_f64 v[12:13], v[34:35], v[18:19]
	v_add_f64 v[40:41], v[40:41], v[52:53]
	v_add_f64 v[42:43], v[14:15], v[42:43]
	v_fma_f64 v[52:53], v[32:33], v[16:17], -v[12:13]
	v_mul_f64 v[18:19], v[32:33], v[18:19]
	ds_read_b128 v[12:15], v30 offset:2560
	v_fmac_f64_e32 v[18:19], v[34:35], v[16:17]
	v_add_f64 v[34:35], v[18:19], v[50:51]
	ds_read_b128 v[16:19], v30 offset:2816
	v_add_f64 v[32:33], v[48:49], v[52:53]
	s_waitcnt lgkmcnt(1)
	v_mul_f64 v[48:49], v[22:23], v[14:15]
	v_fma_f64 v[48:49], v[20:21], v[12:13], -v[48:49]
	v_add_f64 v[44:45], v[44:45], v[48:49]
	s_waitcnt lgkmcnt(0)
	v_mul_f64 v[48:49], v[22:23], v[18:19]
	v_mul_f64 v[50:51], v[20:21], v[14:15]
	v_fma_f64 v[48:49], v[20:21], v[16:17], -v[48:49]
	v_mul_f64 v[20:21], v[20:21], v[18:19]
	v_fmac_f64_e32 v[20:21], v[22:23], v[16:17]
	v_add_f64 v[36:37], v[20:21], v[36:37]
	v_mul_f64 v[20:21], v[10:11], v[14:15]
	v_mul_f64 v[14:15], v[8:9], v[14:15]
	v_fmac_f64_e32 v[50:51], v[22:23], v[12:13]
	v_fma_f64 v[20:21], v[8:9], v[12:13], -v[20:21]
	v_fmac_f64_e32 v[14:15], v[10:11], v[12:13]
	v_mul_f64 v[12:13], v[10:11], v[18:19]
	v_mul_f64 v[18:19], v[8:9], v[18:19]
	v_add_f64 v[40:41], v[40:41], v[20:21]
	v_add_f64 v[42:43], v[14:15], v[42:43]
	v_fma_f64 v[20:21], v[8:9], v[16:17], -v[12:13]
	v_fmac_f64_e32 v[18:19], v[10:11], v[16:17]
	ds_read_b128 v[8:11], v31 offset:96
	ds_read_b128 v[12:15], v30 offset:3072
	v_add_f64 v[46:47], v[50:51], v[46:47]
	v_add_f64 v[38:39], v[38:39], v[48:49]
	;; [unrolled: 1-line block ×4, first 2 shown]
	ds_read_b128 v[16:19], v30 offset:3328
	ds_read_b128 v[32:35], v31 offset:112
	s_waitcnt lgkmcnt(2)
	v_mul_f64 v[20:21], v[10:11], v[14:15]
	v_fma_f64 v[20:21], v[8:9], v[12:13], -v[20:21]
	v_mul_f64 v[22:23], v[8:9], v[14:15]
	v_fmac_f64_e32 v[22:23], v[10:11], v[12:13]
	v_add_f64 v[44:45], v[44:45], v[20:21]
	s_waitcnt lgkmcnt(1)
	v_mul_f64 v[20:21], v[10:11], v[18:19]
	v_add_f64 v[46:47], v[22:23], v[46:47]
	v_fma_f64 v[52:53], v[8:9], v[16:17], -v[20:21]
	ds_read_b128 v[20:23], v31 offset:2144
	v_mul_f64 v[8:9], v[8:9], v[18:19]
	v_fmac_f64_e32 v[8:9], v[10:11], v[16:17]
	v_add_f64 v[54:55], v[8:9], v[36:37]
	ds_read_b128 v[8:11], v31 offset:2160
	s_waitcnt lgkmcnt(1)
	v_mul_f64 v[36:37], v[22:23], v[14:15]
	v_mul_f64 v[14:15], v[20:21], v[14:15]
	v_fma_f64 v[36:37], v[20:21], v[12:13], -v[36:37]
	v_fmac_f64_e32 v[14:15], v[22:23], v[12:13]
	v_mul_f64 v[12:13], v[22:23], v[18:19]
	v_add_f64 v[40:41], v[40:41], v[36:37]
	v_add_f64 v[42:43], v[14:15], v[42:43]
	v_fma_f64 v[36:37], v[20:21], v[16:17], -v[12:13]
	ds_read_b128 v[12:15], v30 offset:3584
	v_add_f64 v[52:53], v[38:39], v[52:53]
	v_add_f64 v[48:49], v[48:49], v[36:37]
	ds_read_b128 v[36:39], v30 offset:3840
	v_mul_f64 v[18:19], v[20:21], v[18:19]
	v_fmac_f64_e32 v[18:19], v[22:23], v[16:17]
	s_waitcnt lgkmcnt(1)
	v_mul_f64 v[16:17], v[34:35], v[14:15]
	v_add_f64 v[50:51], v[18:19], v[50:51]
	v_fma_f64 v[16:17], v[32:33], v[12:13], -v[16:17]
	v_mul_f64 v[18:19], v[32:33], v[14:15]
	v_fmac_f64_e32 v[18:19], v[34:35], v[12:13]
	v_add_f64 v[20:21], v[44:45], v[16:17]
	s_waitcnt lgkmcnt(0)
	v_mul_f64 v[16:17], v[34:35], v[38:39]
	v_add_f64 v[22:23], v[18:19], v[46:47]
	v_fma_f64 v[16:17], v[32:33], v[36:37], -v[16:17]
	v_mul_f64 v[18:19], v[32:33], v[38:39]
	v_mul_f64 v[32:33], v[10:11], v[14:15]
	v_fma_f64 v[32:33], v[8:9], v[12:13], -v[32:33]
	v_mul_f64 v[14:15], v[8:9], v[14:15]
	v_fmac_f64_e32 v[14:15], v[10:11], v[12:13]
	v_add_f64 v[12:13], v[40:41], v[32:33]
	v_mul_f64 v[32:33], v[10:11], v[38:39]
	v_fma_f64 v[32:33], v[8:9], v[36:37], -v[32:33]
	v_mul_f64 v[8:9], v[8:9], v[38:39]
	v_fmac_f64_e32 v[18:19], v[34:35], v[36:37]
	v_fmac_f64_e32 v[8:9], v[10:11], v[36:37]
	s_add_i32 s27, s27, 8
	v_add_f64 v[16:17], v[52:53], v[16:17]
	v_add_f64 v[18:19], v[18:19], v[54:55]
	v_add_f64 v[14:15], v[14:15], v[42:43]
	v_add_f64 v[10:11], v[48:49], v[32:33]
	v_add_f64 v[8:9], v[8:9], v[50:51]
	v_lshl_add_u64 v[4:5], v[4:5], 0, s[20:21]
	s_cmp_lt_i32 s27, s7
	v_lshl_add_u64 v[6:7], v[6:7], 0, s[20:21]
	s_barrier
	s_cbranch_scc0 .LBB138_16
.LBB138_8:                              ; =>This Inner Loop Header: Depth=1
	v_add_u32_e32 v32, s27, v27
	v_cmp_le_i32_e32 vcc, s7, v32
	s_or_b64 s[22:23], s[8:9], vcc
	s_and_saveexec_b64 s[28:29], s[22:23]
	s_xor_b64 s[22:23], exec, s[28:29]
; %bb.9:                                ;   in Loop: Header=BB138_8 Depth=1
	ds_write_b128 v28, v[0:3]
; %bb.10:                               ;   in Loop: Header=BB138_8 Depth=1
	s_andn2_saveexec_b64 s[22:23], s[22:23]
	s_cbranch_execz .LBB138_12
; %bb.11:                               ;   in Loop: Header=BB138_8 Depth=1
	global_load_dwordx4 v[32:35], v[4:5], off
	s_waitcnt vmcnt(0)
	ds_write2_b64 v28, v[32:33], v[34:35] offset1:1
.LBB138_12:                             ;   in Loop: Header=BB138_8 Depth=1
	s_or_b64 exec, exec, s[22:23]
	v_add_u32_e32 v32, s27, v26
	v_cmp_le_i32_e32 vcc, s7, v32
	s_or_b64 s[22:23], vcc, s[2:3]
	s_and_saveexec_b64 s[28:29], s[22:23]
	s_xor_b64 s[22:23], exec, s[28:29]
; %bb.13:                               ;   in Loop: Header=BB138_8 Depth=1
	ds_write_b128 v29, v[0:3]
; %bb.14:                               ;   in Loop: Header=BB138_8 Depth=1
	s_andn2_saveexec_b64 s[22:23], s[22:23]
	s_cbranch_execz .LBB138_7
; %bb.15:                               ;   in Loop: Header=BB138_8 Depth=1
	global_load_dwordx4 v[32:35], v[6:7], off
	s_waitcnt vmcnt(0)
	ds_write2_b64 v29, v[32:33], v[34:35] offset1:1
	s_branch .LBB138_7
.LBB138_16:
	s_load_dwordx2 s[2:3], s[0:1], 0x68
	s_load_dword s20, s[0:1], 0x60
	v_add_u32_e32 v26, s5, v24
	v_add_u32_e32 v4, s26, v25
	v_cmp_le_i32_e32 vcc, v26, v4
	s_waitcnt lgkmcnt(0)
	s_mul_i32 s1, s3, s4
	s_mul_hi_u32 s3, s2, s4
	s_mul_i32 s0, s2, s4
	s_add_i32 s1, s3, s1
	s_lshl_b64 s[0:1], s[0:1], 4
	s_add_u32 s8, s14, s0
	s_addc_u32 s9, s15, s1
	v_cmp_neq_f64_e64 s[0:1], s[10:11], 0
	s_xor_b64 s[4:5], s[24:25], -1
	v_mad_i64_i32 v[0:1], s[2:3], v26, s20, 0
	s_or_b64 s[0:1], s[0:1], s[4:5]
	v_lshl_add_u64 v[24:25], v[0:1], 4, s[8:9]
	v_cmp_gt_i32_e64 s[2:3], s6, v4
	v_cndmask_b32_e64 v0, 0, 1, s[0:1]
	s_and_b64 s[14:15], vcc, s[2:3]
	v_ashrrev_i32_e32 v5, 31, v4
	v_cmp_ne_u32_e64 s[0:1], 1, v0
	s_and_saveexec_b64 s[4:5], s[14:15]
	s_cbranch_execz .LBB138_20
; %bb.17:
	v_mul_f64 v[0:1], s[18:19], v[22:23]
	v_mul_f64 v[2:3], s[16:17], v[22:23]
	v_fma_f64 v[0:1], s[16:17], v[20:21], -v[0:1]
	v_fmac_f64_e32 v[2:3], s[18:19], v[20:21]
	s_and_b64 vcc, exec, s[0:1]
	v_lshl_add_u64 v[6:7], v[4:5], 4, v[24:25]
	s_cbranch_vccnz .LBB138_19
; %bb.18:
	global_load_dwordx4 v[20:23], v[6:7], off
	s_waitcnt vmcnt(0)
	v_mul_f64 v[28:29], s[12:13], v[22:23]
	v_mul_f64 v[22:23], s[10:11], v[22:23]
	v_fma_f64 v[28:29], s[10:11], v[20:21], -v[28:29]
	v_fmac_f64_e32 v[22:23], s[12:13], v[20:21]
	v_add_f64 v[0:1], v[0:1], v[28:29]
	v_add_f64 v[2:3], v[2:3], v[22:23]
.LBB138_19:
	global_store_dwordx4 v[6:7], v[0:3], off
.LBB138_20:
	s_or_b64 exec, exec, s[4:5]
	v_add_u32_e32 v6, 16, v4
	v_cmp_le_i32_e32 vcc, v26, v6
	v_cmp_gt_i32_e64 s[4:5], s6, v6
	s_and_b64 s[14:15], vcc, s[4:5]
	v_ashrrev_i32_e32 v7, 31, v6
	s_and_saveexec_b64 s[6:7], s[14:15]
	s_cbranch_execz .LBB138_24
; %bb.21:
	v_mul_f64 v[0:1], s[18:19], v[18:19]
	v_mul_f64 v[2:3], s[16:17], v[18:19]
	v_fma_f64 v[0:1], s[16:17], v[16:17], -v[0:1]
	v_fmac_f64_e32 v[2:3], s[18:19], v[16:17]
	s_and_b64 vcc, exec, s[0:1]
	v_lshl_add_u64 v[16:17], v[6:7], 4, v[24:25]
	s_cbranch_vccnz .LBB138_23
; %bb.22:
	global_load_dwordx4 v[18:21], v[16:17], off
	s_waitcnt vmcnt(0)
	v_mul_f64 v[22:23], s[12:13], v[20:21]
	v_mul_f64 v[20:21], s[10:11], v[20:21]
	v_fma_f64 v[22:23], s[10:11], v[18:19], -v[22:23]
	v_fmac_f64_e32 v[20:21], s[12:13], v[18:19]
	v_add_f64 v[0:1], v[0:1], v[22:23]
	v_add_f64 v[2:3], v[2:3], v[20:21]
.LBB138_23:
	global_store_dwordx4 v[16:17], v[0:3], off
.LBB138_24:
	s_or_b64 exec, exec, s[6:7]
	v_add_u32_e32 v18, 16, v26
	v_mad_i64_i32 v[0:1], s[6:7], v18, s20, 0
	v_cmp_le_i32_e32 vcc, v18, v4
	v_lshl_add_u64 v[16:17], v[0:1], 4, s[8:9]
	s_and_b64 s[6:7], vcc, s[2:3]
	s_and_saveexec_b64 s[2:3], s[6:7]
	s_cbranch_execz .LBB138_28
; %bb.25:
	v_mul_f64 v[0:1], s[18:19], v[14:15]
	v_mul_f64 v[2:3], s[16:17], v[14:15]
	v_fma_f64 v[0:1], s[16:17], v[12:13], -v[0:1]
	v_fmac_f64_e32 v[2:3], s[18:19], v[12:13]
	s_and_b64 vcc, exec, s[0:1]
	v_lshl_add_u64 v[4:5], v[4:5], 4, v[16:17]
	s_cbranch_vccnz .LBB138_27
; %bb.26:
	global_load_dwordx4 v[12:15], v[4:5], off
	s_waitcnt vmcnt(0)
	v_mul_f64 v[20:21], s[12:13], v[14:15]
	v_mul_f64 v[14:15], s[10:11], v[14:15]
	v_fma_f64 v[20:21], s[10:11], v[12:13], -v[20:21]
	v_fmac_f64_e32 v[14:15], s[12:13], v[12:13]
	v_add_f64 v[0:1], v[0:1], v[20:21]
	v_add_f64 v[2:3], v[2:3], v[14:15]
.LBB138_27:
	global_store_dwordx4 v[4:5], v[0:3], off
.LBB138_28:
	s_or_b64 exec, exec, s[2:3]
	v_cmp_le_i32_e32 vcc, v18, v6
	s_and_b64 s[2:3], vcc, s[4:5]
	s_and_saveexec_b64 s[4:5], s[2:3]
	s_cbranch_execz .LBB138_32
; %bb.29:
	v_mul_f64 v[0:1], s[18:19], v[8:9]
	v_mul_f64 v[2:3], s[16:17], v[8:9]
	v_fma_f64 v[0:1], s[16:17], v[10:11], -v[0:1]
	v_fmac_f64_e32 v[2:3], s[18:19], v[10:11]
	s_and_b64 vcc, exec, s[0:1]
	v_lshl_add_u64 v[4:5], v[6:7], 4, v[16:17]
	s_cbranch_vccnz .LBB138_31
; %bb.30:
	global_load_dwordx4 v[6:9], v[4:5], off
	s_waitcnt vmcnt(0)
	v_mul_f64 v[10:11], s[12:13], v[8:9]
	v_mul_f64 v[8:9], s[10:11], v[8:9]
	v_fma_f64 v[10:11], s[10:11], v[6:7], -v[10:11]
	v_fmac_f64_e32 v[8:9], s[12:13], v[6:7]
	v_add_f64 v[0:1], v[0:1], v[10:11]
	v_add_f64 v[2:3], v[2:3], v[8:9]
.LBB138_31:
	global_store_dwordx4 v[4:5], v[0:3], off
.LBB138_32:
	s_endpgm
	.section	.rodata,"a",@progbits
	.p2align	6, 0x0
	.amdhsa_kernel _ZL29rocblas_internal_gemmt_kernelIiLi16ELi32ELi8ELc84ELc78ELc76ELb0ELb0E19rocblas_complex_numIdES1_PKS1_PS1_EviT_T9_T10_S5_lS7_S5_lS6_T11_S5_li
		.amdhsa_group_segment_fixed_size 8192
		.amdhsa_private_segment_fixed_size 0
		.amdhsa_kernarg_size 116
		.amdhsa_user_sgpr_count 2
		.amdhsa_user_sgpr_dispatch_ptr 0
		.amdhsa_user_sgpr_queue_ptr 0
		.amdhsa_user_sgpr_kernarg_segment_ptr 1
		.amdhsa_user_sgpr_dispatch_id 0
		.amdhsa_user_sgpr_kernarg_preload_length 0
		.amdhsa_user_sgpr_kernarg_preload_offset 0
		.amdhsa_user_sgpr_private_segment_size 0
		.amdhsa_uses_dynamic_stack 0
		.amdhsa_enable_private_segment 0
		.amdhsa_system_sgpr_workgroup_id_x 1
		.amdhsa_system_sgpr_workgroup_id_y 1
		.amdhsa_system_sgpr_workgroup_id_z 1
		.amdhsa_system_sgpr_workgroup_info 0
		.amdhsa_system_vgpr_workitem_id 1
		.amdhsa_next_free_vgpr 62
		.amdhsa_next_free_sgpr 34
		.amdhsa_accum_offset 64
		.amdhsa_reserve_vcc 1
		.amdhsa_float_round_mode_32 0
		.amdhsa_float_round_mode_16_64 0
		.amdhsa_float_denorm_mode_32 3
		.amdhsa_float_denorm_mode_16_64 3
		.amdhsa_dx10_clamp 1
		.amdhsa_ieee_mode 1
		.amdhsa_fp16_overflow 0
		.amdhsa_tg_split 0
		.amdhsa_exception_fp_ieee_invalid_op 0
		.amdhsa_exception_fp_denorm_src 0
		.amdhsa_exception_fp_ieee_div_zero 0
		.amdhsa_exception_fp_ieee_overflow 0
		.amdhsa_exception_fp_ieee_underflow 0
		.amdhsa_exception_fp_ieee_inexact 0
		.amdhsa_exception_int_div_zero 0
	.end_amdhsa_kernel
	.section	.text._ZL29rocblas_internal_gemmt_kernelIiLi16ELi32ELi8ELc84ELc78ELc76ELb0ELb0E19rocblas_complex_numIdES1_PKS1_PS1_EviT_T9_T10_S5_lS7_S5_lS6_T11_S5_li,"axG",@progbits,_ZL29rocblas_internal_gemmt_kernelIiLi16ELi32ELi8ELc84ELc78ELc76ELb0ELb0E19rocblas_complex_numIdES1_PKS1_PS1_EviT_T9_T10_S5_lS7_S5_lS6_T11_S5_li,comdat
.Lfunc_end138:
	.size	_ZL29rocblas_internal_gemmt_kernelIiLi16ELi32ELi8ELc84ELc78ELc76ELb0ELb0E19rocblas_complex_numIdES1_PKS1_PS1_EviT_T9_T10_S5_lS7_S5_lS6_T11_S5_li, .Lfunc_end138-_ZL29rocblas_internal_gemmt_kernelIiLi16ELi32ELi8ELc84ELc78ELc76ELb0ELb0E19rocblas_complex_numIdES1_PKS1_PS1_EviT_T9_T10_S5_lS7_S5_lS6_T11_S5_li
                                        ; -- End function
	.set _ZL29rocblas_internal_gemmt_kernelIiLi16ELi32ELi8ELc84ELc78ELc76ELb0ELb0E19rocblas_complex_numIdES1_PKS1_PS1_EviT_T9_T10_S5_lS7_S5_lS6_T11_S5_li.num_vgpr, 62
	.set _ZL29rocblas_internal_gemmt_kernelIiLi16ELi32ELi8ELc84ELc78ELc76ELb0ELb0E19rocblas_complex_numIdES1_PKS1_PS1_EviT_T9_T10_S5_lS7_S5_lS6_T11_S5_li.num_agpr, 0
	.set _ZL29rocblas_internal_gemmt_kernelIiLi16ELi32ELi8ELc84ELc78ELc76ELb0ELb0E19rocblas_complex_numIdES1_PKS1_PS1_EviT_T9_T10_S5_lS7_S5_lS6_T11_S5_li.numbered_sgpr, 34
	.set _ZL29rocblas_internal_gemmt_kernelIiLi16ELi32ELi8ELc84ELc78ELc76ELb0ELb0E19rocblas_complex_numIdES1_PKS1_PS1_EviT_T9_T10_S5_lS7_S5_lS6_T11_S5_li.num_named_barrier, 0
	.set _ZL29rocblas_internal_gemmt_kernelIiLi16ELi32ELi8ELc84ELc78ELc76ELb0ELb0E19rocblas_complex_numIdES1_PKS1_PS1_EviT_T9_T10_S5_lS7_S5_lS6_T11_S5_li.private_seg_size, 0
	.set _ZL29rocblas_internal_gemmt_kernelIiLi16ELi32ELi8ELc84ELc78ELc76ELb0ELb0E19rocblas_complex_numIdES1_PKS1_PS1_EviT_T9_T10_S5_lS7_S5_lS6_T11_S5_li.uses_vcc, 1
	.set _ZL29rocblas_internal_gemmt_kernelIiLi16ELi32ELi8ELc84ELc78ELc76ELb0ELb0E19rocblas_complex_numIdES1_PKS1_PS1_EviT_T9_T10_S5_lS7_S5_lS6_T11_S5_li.uses_flat_scratch, 0
	.set _ZL29rocblas_internal_gemmt_kernelIiLi16ELi32ELi8ELc84ELc78ELc76ELb0ELb0E19rocblas_complex_numIdES1_PKS1_PS1_EviT_T9_T10_S5_lS7_S5_lS6_T11_S5_li.has_dyn_sized_stack, 0
	.set _ZL29rocblas_internal_gemmt_kernelIiLi16ELi32ELi8ELc84ELc78ELc76ELb0ELb0E19rocblas_complex_numIdES1_PKS1_PS1_EviT_T9_T10_S5_lS7_S5_lS6_T11_S5_li.has_recursion, 0
	.set _ZL29rocblas_internal_gemmt_kernelIiLi16ELi32ELi8ELc84ELc78ELc76ELb0ELb0E19rocblas_complex_numIdES1_PKS1_PS1_EviT_T9_T10_S5_lS7_S5_lS6_T11_S5_li.has_indirect_call, 0
	.section	.AMDGPU.csdata,"",@progbits
; Kernel info:
; codeLenInByte = 3092
; TotalNumSgprs: 40
; NumVgprs: 62
; NumAgprs: 0
; TotalNumVgprs: 62
; ScratchSize: 0
; MemoryBound: 0
; FloatMode: 240
; IeeeMode: 1
; LDSByteSize: 8192 bytes/workgroup (compile time only)
; SGPRBlocks: 4
; VGPRBlocks: 7
; NumSGPRsForWavesPerEU: 40
; NumVGPRsForWavesPerEU: 62
; AccumOffset: 64
; Occupancy: 8
; WaveLimiterHint : 0
; COMPUTE_PGM_RSRC2:SCRATCH_EN: 0
; COMPUTE_PGM_RSRC2:USER_SGPR: 2
; COMPUTE_PGM_RSRC2:TRAP_HANDLER: 0
; COMPUTE_PGM_RSRC2:TGID_X_EN: 1
; COMPUTE_PGM_RSRC2:TGID_Y_EN: 1
; COMPUTE_PGM_RSRC2:TGID_Z_EN: 1
; COMPUTE_PGM_RSRC2:TIDIG_COMP_CNT: 1
; COMPUTE_PGM_RSRC3_GFX90A:ACCUM_OFFSET: 15
; COMPUTE_PGM_RSRC3_GFX90A:TG_SPLIT: 0
	.section	.text._ZL29rocblas_internal_gemmt_kernelIiLi16ELi32ELi8ELc84ELc84ELc76ELb0ELb0E19rocblas_complex_numIdES1_PKS1_PS1_EviT_T9_T10_S5_lS7_S5_lS6_T11_S5_li,"axG",@progbits,_ZL29rocblas_internal_gemmt_kernelIiLi16ELi32ELi8ELc84ELc84ELc76ELb0ELb0E19rocblas_complex_numIdES1_PKS1_PS1_EviT_T9_T10_S5_lS7_S5_lS6_T11_S5_li,comdat
	.globl	_ZL29rocblas_internal_gemmt_kernelIiLi16ELi32ELi8ELc84ELc84ELc76ELb0ELb0E19rocblas_complex_numIdES1_PKS1_PS1_EviT_T9_T10_S5_lS7_S5_lS6_T11_S5_li ; -- Begin function _ZL29rocblas_internal_gemmt_kernelIiLi16ELi32ELi8ELc84ELc84ELc76ELb0ELb0E19rocblas_complex_numIdES1_PKS1_PS1_EviT_T9_T10_S5_lS7_S5_lS6_T11_S5_li
	.p2align	8
	.type	_ZL29rocblas_internal_gemmt_kernelIiLi16ELi32ELi8ELc84ELc84ELc76ELb0ELb0E19rocblas_complex_numIdES1_PKS1_PS1_EviT_T9_T10_S5_lS7_S5_lS6_T11_S5_li,@function
_ZL29rocblas_internal_gemmt_kernelIiLi16ELi32ELi8ELc84ELc84ELc76ELb0ELb0E19rocblas_complex_numIdES1_PKS1_PS1_EviT_T9_T10_S5_lS7_S5_lS6_T11_S5_li: ; @_ZL29rocblas_internal_gemmt_kernelIiLi16ELi32ELi8ELc84ELc84ELc76ELb0ELb0E19rocblas_complex_numIdES1_PKS1_PS1_EviT_T9_T10_S5_lS7_S5_lS6_T11_S5_li
; %bb.0:
	s_load_dwordx8 s[8:15], s[0:1], 0x40
	s_load_dwordx2 s[6:7], s[0:1], 0x0
	s_load_dwordx4 s[16:19], s[0:1], 0x8
	s_mov_b64 s[20:21], 0
	s_waitcnt lgkmcnt(0)
	v_cmp_eq_f64_e64 s[22:23], s[10:11], 1.0
	v_cmp_eq_f64_e64 s[24:25], s[12:13], 0
	s_and_b64 s[22:23], s[22:23], s[24:25]
	s_andn2_b64 vcc, exec, s[22:23]
	s_mov_b64 s[22:23], -1
	s_cbranch_vccnz .LBB139_4
; %bb.1:
	s_cmp_lg_u32 s7, 0
	s_cbranch_scc0 .LBB139_3
; %bb.2:
	v_cmp_neq_f64_e64 s[20:21], s[16:17], 0
	v_cmp_neq_f64_e64 s[22:23], s[18:19], 0
	s_or_b64 s[20:21], s[20:21], s[22:23]
.LBB139_3:
	s_mov_b64 s[22:23], s[20:21]
.LBB139_4:
	s_and_b64 vcc, exec, s[22:23]
	s_cbranch_vccz .LBB139_32
; %bb.5:
	s_lshl_b32 s28, s2, 5
	s_lshl_b32 s5, s3, 5
	v_cmp_eq_f64_e64 s[2:3], s[16:17], 0
	v_cmp_eq_f64_e64 s[20:21], s[18:19], 0
	s_and_b64 s[2:3], s[2:3], s[20:21]
	s_cmp_lt_i32 s7, 1
	s_cselect_b64 s[20:21], -1, 0
	s_or_b64 s[2:3], s[2:3], s[20:21]
	v_and_b32_e32 v25, 0x3ff, v0
	v_bfe_u32 v24, v0, 10, 10
	s_mov_b32 s29, 0
	v_mov_b64_e32 v[20:21], 0
	s_and_b64 vcc, exec, s[2:3]
	v_mov_b64_e32 v[22:23], 0
	v_mov_b64_e32 v[16:17], 0
	;; [unrolled: 1-line block ×7, first 2 shown]
	s_cbranch_vccnz .LBB139_16
; %bb.6:
	v_lshl_add_u32 v0, v24, 4, v25
	v_lshrrev_b32_e32 v27, 5, v0
	v_lshrrev_b32_e32 v1, 3, v0
	v_and_b32_e32 v0, 31, v0
	s_load_dwordx4 s[20:23], s[0:1], 0x28
	s_load_dword s26, s[0:1], 0x38
	s_load_dwordx2 s[30:31], s[0:1], 0x18
	s_load_dword s33, s[0:1], 0x20
	v_or_b32_e32 v3, s28, v0
	v_and_b32_e32 v26, 7, v25
	v_cmp_gt_i32_e32 vcc, s6, v3
	v_lshlrev_b32_e32 v3, 4, v0
	v_lshl_or_b32 v28, v27, 9, v3
	v_lshlrev_b32_e32 v3, 4, v26
	v_add_u32_e32 v2, s5, v1
	v_lshl_or_b32 v1, v1, 7, v3
	v_add_u32_e32 v29, 0x1000, v1
	v_mov_b32_e32 v1, 0x1000
	v_add_u32_e32 v0, s28, v0
	v_lshl_add_u32 v31, v24, 7, v1
	s_waitcnt lgkmcnt(0)
	v_mad_i64_i32 v[0:1], s[34:35], s33, v0, 0
	s_mul_i32 s21, s21, s4
	s_mul_hi_u32 s33, s20, s4
	s_add_i32 s21, s33, s21
	s_mul_i32 s20, s20, s4
	s_lshl_b64 s[20:21], s[20:21], 4
	v_lshl_add_u64 v[4:5], v[0:1], 4, s[20:21]
	s_mul_i32 s9, s9, s4
	s_mul_hi_u32 s20, s8, s4
	s_add_i32 s9, s20, s9
	v_mad_i64_i32 v[6:7], s[20:21], s26, v26, 0
	s_mul_i32 s8, s8, s4
	v_lshlrev_b64 v[6:7], 4, v[6:7]
	v_ashrrev_i32_e32 v3, 31, v2
	v_lshlrev_b32_e32 v0, 4, v27
	v_mov_b32_e32 v1, 0
	v_lshl_add_u64 v[6:7], s[8:9], 4, v[6:7]
	s_ashr_i32 s27, s26, 31
	v_cmp_gt_i32_e64 s[2:3], s6, v2
	v_lshl_add_u64 v[4:5], v[4:5], 0, v[0:1]
	v_lshl_add_u64 v[2:3], v[2:3], 4, v[6:7]
	v_lshlrev_b32_e32 v30, 4, v25
	v_lshl_add_u64 v[4:5], s[30:31], 0, v[4:5]
	v_lshl_add_u64 v[6:7], s[22:23], 0, v[2:3]
	s_lshl_b64 s[8:9], s[26:27], 7
	v_mov_b64_e32 v[8:9], 0
	s_xor_b64 s[20:21], vcc, -1
	s_xor_b64 s[2:3], s[2:3], -1
	s_mov_b64 s[22:23], 0x80
	v_mov_b32_e32 v0, v1
	v_mov_b32_e32 v2, v1
	;; [unrolled: 1-line block ×3, first 2 shown]
	v_mov_b64_e32 v[10:11], 0
	v_mov_b64_e32 v[14:15], 0
	;; [unrolled: 1-line block ×7, first 2 shown]
	s_branch .LBB139_8
.LBB139_7:                              ;   in Loop: Header=BB139_8 Depth=1
	s_or_b64 exec, exec, s[26:27]
	s_waitcnt lgkmcnt(0)
	s_barrier
	ds_read_b128 v[32:35], v30
	ds_read_b128 v[36:39], v31
	ds_read_b128 v[40:43], v31 offset:16
	ds_read_b128 v[44:47], v31 offset:32
	;; [unrolled: 1-line block ×4, first 2 shown]
	s_waitcnt lgkmcnt(4)
	v_mul_f64 v[56:57], v[38:39], v[34:35]
	v_fma_f64 v[56:57], v[36:37], v[32:33], -v[56:57]
	v_mul_f64 v[58:59], v[36:37], v[34:35]
	v_fmac_f64_e32 v[58:59], v[38:39], v[32:33]
	v_add_f64 v[56:57], v[20:21], v[56:57]
	s_waitcnt lgkmcnt(0)
	v_mul_f64 v[20:21], v[38:39], v[54:55]
	v_add_f64 v[58:59], v[58:59], v[22:23]
	v_fma_f64 v[60:61], v[36:37], v[52:53], -v[20:21]
	ds_read_b128 v[20:23], v31 offset:2048
	v_mul_f64 v[36:37], v[36:37], v[54:55]
	v_fmac_f64_e32 v[36:37], v[38:39], v[52:53]
	v_add_f64 v[38:39], v[16:17], v[60:61]
	v_add_f64 v[36:37], v[36:37], v[18:19]
	ds_read_b128 v[16:19], v31 offset:2064
	s_waitcnt lgkmcnt(1)
	v_mul_f64 v[60:61], v[22:23], v[34:35]
	v_fma_f64 v[60:61], v[20:21], v[32:33], -v[60:61]
	v_mul_f64 v[34:35], v[20:21], v[34:35]
	v_fmac_f64_e32 v[34:35], v[22:23], v[32:33]
	v_add_f64 v[32:33], v[12:13], v[60:61]
	v_mul_f64 v[12:13], v[22:23], v[54:55]
	v_add_f64 v[34:35], v[34:35], v[14:15]
	v_fma_f64 v[60:61], v[20:21], v[52:53], -v[12:13]
	v_mul_f64 v[20:21], v[20:21], v[54:55]
	ds_read_b128 v[12:15], v30 offset:512
	v_fmac_f64_e32 v[20:21], v[22:23], v[52:53]
	v_add_f64 v[22:23], v[10:11], v[60:61]
	v_add_f64 v[20:21], v[20:21], v[8:9]
	ds_read_b128 v[8:11], v30 offset:768
	s_waitcnt lgkmcnt(1)
	v_mul_f64 v[52:53], v[42:43], v[14:15]
	v_fma_f64 v[52:53], v[40:41], v[12:13], -v[52:53]
	v_add_f64 v[52:53], v[56:57], v[52:53]
	v_mul_f64 v[54:55], v[40:41], v[14:15]
	s_waitcnt lgkmcnt(0)
	v_mul_f64 v[56:57], v[42:43], v[10:11]
	v_fma_f64 v[56:57], v[40:41], v[8:9], -v[56:57]
	v_mul_f64 v[40:41], v[40:41], v[10:11]
	v_fmac_f64_e32 v[40:41], v[42:43], v[8:9]
	v_add_f64 v[36:37], v[40:41], v[36:37]
	v_mul_f64 v[40:41], v[18:19], v[14:15]
	v_mul_f64 v[14:15], v[16:17], v[14:15]
	v_fmac_f64_e32 v[54:55], v[42:43], v[12:13]
	v_fma_f64 v[40:41], v[16:17], v[12:13], -v[40:41]
	v_fmac_f64_e32 v[14:15], v[18:19], v[12:13]
	v_mul_f64 v[12:13], v[18:19], v[10:11]
	v_add_f64 v[42:43], v[14:15], v[34:35]
	v_fma_f64 v[14:15], v[16:17], v[8:9], -v[12:13]
	v_mul_f64 v[16:17], v[16:17], v[10:11]
	ds_read_b128 v[10:13], v30 offset:1024
	v_fmac_f64_e32 v[16:17], v[18:19], v[8:9]
	v_add_f64 v[38:39], v[38:39], v[56:57]
	v_add_f64 v[22:23], v[22:23], v[14:15]
	;; [unrolled: 1-line block ×3, first 2 shown]
	ds_read_b128 v[14:17], v30 offset:1280
	s_waitcnt lgkmcnt(1)
	v_mul_f64 v[18:19], v[44:45], v[12:13]
	v_add_f64 v[54:55], v[54:55], v[58:59]
	v_fmac_f64_e32 v[18:19], v[46:47], v[10:11]
	v_add_f64 v[54:55], v[18:19], v[54:55]
	ds_read_b128 v[18:21], v31 offset:2080
	v_mul_f64 v[8:9], v[46:47], v[12:13]
	v_fma_f64 v[8:9], v[44:45], v[10:11], -v[8:9]
	v_add_f64 v[40:41], v[32:33], v[40:41]
	v_add_f64 v[52:53], v[52:53], v[8:9]
	s_waitcnt lgkmcnt(1)
	v_mul_f64 v[8:9], v[46:47], v[16:17]
	v_mul_f64 v[32:33], v[44:45], v[16:17]
	v_fma_f64 v[8:9], v[44:45], v[14:15], -v[8:9]
	v_fmac_f64_e32 v[32:33], v[46:47], v[14:15]
	v_add_f64 v[38:39], v[38:39], v[8:9]
	v_add_f64 v[36:37], v[32:33], v[36:37]
	ds_read_b128 v[32:35], v31 offset:2096
	s_waitcnt lgkmcnt(1)
	v_mul_f64 v[8:9], v[20:21], v[12:13]
	v_fma_f64 v[8:9], v[18:19], v[10:11], -v[8:9]
	v_mul_f64 v[12:13], v[18:19], v[12:13]
	v_fmac_f64_e32 v[12:13], v[20:21], v[10:11]
	v_add_f64 v[40:41], v[40:41], v[8:9]
	v_mul_f64 v[8:9], v[20:21], v[16:17]
	v_add_f64 v[42:43], v[12:13], v[42:43]
	v_fma_f64 v[12:13], v[18:19], v[14:15], -v[8:9]
	ds_read_b128 v[8:11], v30 offset:1536
	v_mul_f64 v[16:17], v[18:19], v[16:17]
	v_fmac_f64_e32 v[16:17], v[20:21], v[14:15]
	v_add_f64 v[18:19], v[22:23], v[12:13]
	ds_read_b128 v[12:15], v30 offset:1792
	s_waitcnt lgkmcnt(1)
	v_mul_f64 v[20:21], v[50:51], v[10:11]
	v_fma_f64 v[20:21], v[48:49], v[8:9], -v[20:21]
	v_mul_f64 v[22:23], v[48:49], v[10:11]
	v_fmac_f64_e32 v[22:23], v[50:51], v[8:9]
	v_add_f64 v[44:45], v[52:53], v[20:21]
	s_waitcnt lgkmcnt(0)
	v_mul_f64 v[20:21], v[50:51], v[14:15]
	v_add_f64 v[46:47], v[22:23], v[54:55]
	v_fma_f64 v[20:21], v[48:49], v[12:13], -v[20:21]
	v_mul_f64 v[22:23], v[48:49], v[14:15]
	v_fmac_f64_e32 v[22:23], v[50:51], v[12:13]
	v_add_f64 v[38:39], v[38:39], v[20:21]
	v_mul_f64 v[20:21], v[34:35], v[10:11]
	v_mul_f64 v[10:11], v[32:33], v[10:11]
	v_add_f64 v[36:37], v[22:23], v[36:37]
	v_fma_f64 v[20:21], v[32:33], v[8:9], -v[20:21]
	v_fmac_f64_e32 v[10:11], v[34:35], v[8:9]
	v_mul_f64 v[8:9], v[34:35], v[14:15]
	v_mul_f64 v[22:23], v[32:33], v[14:15]
	v_add_f64 v[40:41], v[40:41], v[20:21]
	v_add_f64 v[42:43], v[10:11], v[42:43]
	v_fma_f64 v[20:21], v[32:33], v[12:13], -v[8:9]
	v_fmac_f64_e32 v[22:23], v[34:35], v[12:13]
	ds_read_b128 v[8:11], v31 offset:64
	ds_read_b128 v[12:15], v30 offset:2048
	v_add_f64 v[16:17], v[16:17], v[56:57]
	v_add_f64 v[48:49], v[18:19], v[20:21]
	;; [unrolled: 1-line block ×3, first 2 shown]
	ds_read_b128 v[16:19], v30 offset:2304
	ds_read_b128 v[20:23], v31 offset:80
	s_waitcnt lgkmcnt(2)
	v_mul_f64 v[32:33], v[10:11], v[14:15]
	v_fma_f64 v[32:33], v[8:9], v[12:13], -v[32:33]
	v_mul_f64 v[34:35], v[8:9], v[14:15]
	v_fmac_f64_e32 v[34:35], v[10:11], v[12:13]
	v_add_f64 v[44:45], v[44:45], v[32:33]
	s_waitcnt lgkmcnt(1)
	v_mul_f64 v[32:33], v[10:11], v[18:19]
	v_add_f64 v[46:47], v[34:35], v[46:47]
	v_fma_f64 v[52:53], v[8:9], v[16:17], -v[32:33]
	ds_read_b128 v[32:35], v31 offset:2112
	v_mul_f64 v[8:9], v[8:9], v[18:19]
	v_fmac_f64_e32 v[8:9], v[10:11], v[16:17]
	v_add_f64 v[38:39], v[38:39], v[52:53]
	v_add_f64 v[36:37], v[8:9], v[36:37]
	ds_read_b128 v[8:11], v31 offset:2128
	s_waitcnt lgkmcnt(1)
	v_mul_f64 v[52:53], v[34:35], v[14:15]
	v_mul_f64 v[14:15], v[32:33], v[14:15]
	v_fma_f64 v[52:53], v[32:33], v[12:13], -v[52:53]
	v_fmac_f64_e32 v[14:15], v[34:35], v[12:13]
	v_mul_f64 v[12:13], v[34:35], v[18:19]
	v_add_f64 v[40:41], v[40:41], v[52:53]
	v_add_f64 v[42:43], v[14:15], v[42:43]
	v_fma_f64 v[52:53], v[32:33], v[16:17], -v[12:13]
	v_mul_f64 v[18:19], v[32:33], v[18:19]
	ds_read_b128 v[12:15], v30 offset:2560
	v_fmac_f64_e32 v[18:19], v[34:35], v[16:17]
	v_add_f64 v[34:35], v[18:19], v[50:51]
	ds_read_b128 v[16:19], v30 offset:2816
	v_add_f64 v[32:33], v[48:49], v[52:53]
	s_waitcnt lgkmcnt(1)
	v_mul_f64 v[48:49], v[22:23], v[14:15]
	v_fma_f64 v[48:49], v[20:21], v[12:13], -v[48:49]
	v_add_f64 v[44:45], v[44:45], v[48:49]
	s_waitcnt lgkmcnt(0)
	v_mul_f64 v[48:49], v[22:23], v[18:19]
	v_mul_f64 v[50:51], v[20:21], v[14:15]
	v_fma_f64 v[48:49], v[20:21], v[16:17], -v[48:49]
	v_mul_f64 v[20:21], v[20:21], v[18:19]
	v_fmac_f64_e32 v[20:21], v[22:23], v[16:17]
	v_add_f64 v[36:37], v[20:21], v[36:37]
	v_mul_f64 v[20:21], v[10:11], v[14:15]
	v_mul_f64 v[14:15], v[8:9], v[14:15]
	v_fmac_f64_e32 v[50:51], v[22:23], v[12:13]
	v_fma_f64 v[20:21], v[8:9], v[12:13], -v[20:21]
	v_fmac_f64_e32 v[14:15], v[10:11], v[12:13]
	v_mul_f64 v[12:13], v[10:11], v[18:19]
	v_mul_f64 v[18:19], v[8:9], v[18:19]
	v_add_f64 v[40:41], v[40:41], v[20:21]
	v_add_f64 v[42:43], v[14:15], v[42:43]
	v_fma_f64 v[20:21], v[8:9], v[16:17], -v[12:13]
	v_fmac_f64_e32 v[18:19], v[10:11], v[16:17]
	ds_read_b128 v[8:11], v31 offset:96
	ds_read_b128 v[12:15], v30 offset:3072
	v_add_f64 v[46:47], v[50:51], v[46:47]
	v_add_f64 v[38:39], v[38:39], v[48:49]
	;; [unrolled: 1-line block ×4, first 2 shown]
	ds_read_b128 v[16:19], v30 offset:3328
	ds_read_b128 v[32:35], v31 offset:112
	s_waitcnt lgkmcnt(2)
	v_mul_f64 v[20:21], v[10:11], v[14:15]
	v_fma_f64 v[20:21], v[8:9], v[12:13], -v[20:21]
	v_mul_f64 v[22:23], v[8:9], v[14:15]
	v_fmac_f64_e32 v[22:23], v[10:11], v[12:13]
	v_add_f64 v[44:45], v[44:45], v[20:21]
	s_waitcnt lgkmcnt(1)
	v_mul_f64 v[20:21], v[10:11], v[18:19]
	v_add_f64 v[46:47], v[22:23], v[46:47]
	v_fma_f64 v[52:53], v[8:9], v[16:17], -v[20:21]
	ds_read_b128 v[20:23], v31 offset:2144
	v_mul_f64 v[8:9], v[8:9], v[18:19]
	v_fmac_f64_e32 v[8:9], v[10:11], v[16:17]
	v_add_f64 v[54:55], v[8:9], v[36:37]
	ds_read_b128 v[8:11], v31 offset:2160
	s_waitcnt lgkmcnt(1)
	v_mul_f64 v[36:37], v[22:23], v[14:15]
	v_mul_f64 v[14:15], v[20:21], v[14:15]
	v_fma_f64 v[36:37], v[20:21], v[12:13], -v[36:37]
	v_fmac_f64_e32 v[14:15], v[22:23], v[12:13]
	v_mul_f64 v[12:13], v[22:23], v[18:19]
	v_add_f64 v[40:41], v[40:41], v[36:37]
	v_add_f64 v[42:43], v[14:15], v[42:43]
	v_fma_f64 v[36:37], v[20:21], v[16:17], -v[12:13]
	ds_read_b128 v[12:15], v30 offset:3584
	v_add_f64 v[52:53], v[38:39], v[52:53]
	v_add_f64 v[48:49], v[48:49], v[36:37]
	ds_read_b128 v[36:39], v30 offset:3840
	v_mul_f64 v[18:19], v[20:21], v[18:19]
	v_fmac_f64_e32 v[18:19], v[22:23], v[16:17]
	s_waitcnt lgkmcnt(1)
	v_mul_f64 v[16:17], v[34:35], v[14:15]
	v_add_f64 v[50:51], v[18:19], v[50:51]
	v_fma_f64 v[16:17], v[32:33], v[12:13], -v[16:17]
	v_mul_f64 v[18:19], v[32:33], v[14:15]
	v_fmac_f64_e32 v[18:19], v[34:35], v[12:13]
	v_add_f64 v[20:21], v[44:45], v[16:17]
	s_waitcnt lgkmcnt(0)
	v_mul_f64 v[16:17], v[34:35], v[38:39]
	v_add_f64 v[22:23], v[18:19], v[46:47]
	v_fma_f64 v[16:17], v[32:33], v[36:37], -v[16:17]
	v_mul_f64 v[18:19], v[32:33], v[38:39]
	v_mul_f64 v[32:33], v[10:11], v[14:15]
	v_fma_f64 v[32:33], v[8:9], v[12:13], -v[32:33]
	v_mul_f64 v[14:15], v[8:9], v[14:15]
	v_fmac_f64_e32 v[14:15], v[10:11], v[12:13]
	v_add_f64 v[12:13], v[40:41], v[32:33]
	v_mul_f64 v[32:33], v[10:11], v[38:39]
	v_fma_f64 v[32:33], v[8:9], v[36:37], -v[32:33]
	v_mul_f64 v[8:9], v[8:9], v[38:39]
	v_fmac_f64_e32 v[18:19], v[34:35], v[36:37]
	v_fmac_f64_e32 v[8:9], v[10:11], v[36:37]
	s_add_i32 s29, s29, 8
	v_add_f64 v[16:17], v[52:53], v[16:17]
	v_add_f64 v[18:19], v[18:19], v[54:55]
	;; [unrolled: 1-line block ×5, first 2 shown]
	v_lshl_add_u64 v[4:5], v[4:5], 0, s[22:23]
	s_cmp_lt_i32 s29, s7
	v_lshl_add_u64 v[6:7], v[6:7], 0, s[8:9]
	s_barrier
	s_cbranch_scc0 .LBB139_16
.LBB139_8:                              ; =>This Inner Loop Header: Depth=1
	v_add_u32_e32 v32, s29, v27
	v_cmp_le_i32_e32 vcc, s7, v32
	s_or_b64 s[26:27], s[20:21], vcc
	s_and_saveexec_b64 s[30:31], s[26:27]
	s_xor_b64 s[26:27], exec, s[30:31]
; %bb.9:                                ;   in Loop: Header=BB139_8 Depth=1
	ds_write_b128 v28, v[0:3]
; %bb.10:                               ;   in Loop: Header=BB139_8 Depth=1
	s_andn2_saveexec_b64 s[26:27], s[26:27]
	s_cbranch_execz .LBB139_12
; %bb.11:                               ;   in Loop: Header=BB139_8 Depth=1
	global_load_dwordx4 v[32:35], v[4:5], off
	s_waitcnt vmcnt(0)
	ds_write2_b64 v28, v[32:33], v[34:35] offset1:1
.LBB139_12:                             ;   in Loop: Header=BB139_8 Depth=1
	s_or_b64 exec, exec, s[26:27]
	v_add_u32_e32 v32, s29, v26
	v_cmp_le_i32_e32 vcc, s7, v32
	s_or_b64 s[26:27], vcc, s[2:3]
	s_and_saveexec_b64 s[30:31], s[26:27]
	s_xor_b64 s[26:27], exec, s[30:31]
; %bb.13:                               ;   in Loop: Header=BB139_8 Depth=1
	ds_write_b128 v29, v[0:3]
; %bb.14:                               ;   in Loop: Header=BB139_8 Depth=1
	s_andn2_saveexec_b64 s[26:27], s[26:27]
	s_cbranch_execz .LBB139_7
; %bb.15:                               ;   in Loop: Header=BB139_8 Depth=1
	global_load_dwordx4 v[32:35], v[6:7], off
	s_waitcnt vmcnt(0)
	ds_write2_b64 v29, v[32:33], v[34:35] offset1:1
	s_branch .LBB139_7
.LBB139_16:
	s_load_dwordx2 s[2:3], s[0:1], 0x68
	s_load_dword s20, s[0:1], 0x60
	v_add_u32_e32 v26, s5, v24
	v_add_u32_e32 v4, s28, v25
	v_cmp_le_i32_e32 vcc, v26, v4
	s_waitcnt lgkmcnt(0)
	s_mul_i32 s1, s3, s4
	s_mul_hi_u32 s3, s2, s4
	s_mul_i32 s0, s2, s4
	s_add_i32 s1, s3, s1
	s_lshl_b64 s[0:1], s[0:1], 4
	s_add_u32 s8, s14, s0
	s_addc_u32 s9, s15, s1
	v_cmp_neq_f64_e64 s[0:1], s[10:11], 0
	s_xor_b64 s[4:5], s[24:25], -1
	v_mad_i64_i32 v[0:1], s[2:3], v26, s20, 0
	s_or_b64 s[0:1], s[0:1], s[4:5]
	v_lshl_add_u64 v[24:25], v[0:1], 4, s[8:9]
	v_cmp_gt_i32_e64 s[2:3], s6, v4
	v_cndmask_b32_e64 v0, 0, 1, s[0:1]
	s_and_b64 s[14:15], vcc, s[2:3]
	v_ashrrev_i32_e32 v5, 31, v4
	v_cmp_ne_u32_e64 s[0:1], 1, v0
	s_and_saveexec_b64 s[4:5], s[14:15]
	s_cbranch_execz .LBB139_20
; %bb.17:
	v_mul_f64 v[0:1], s[18:19], v[22:23]
	v_mul_f64 v[2:3], s[16:17], v[22:23]
	v_fma_f64 v[0:1], s[16:17], v[20:21], -v[0:1]
	v_fmac_f64_e32 v[2:3], s[18:19], v[20:21]
	s_and_b64 vcc, exec, s[0:1]
	v_lshl_add_u64 v[6:7], v[4:5], 4, v[24:25]
	s_cbranch_vccnz .LBB139_19
; %bb.18:
	global_load_dwordx4 v[20:23], v[6:7], off
	s_waitcnt vmcnt(0)
	v_mul_f64 v[28:29], s[12:13], v[22:23]
	v_mul_f64 v[22:23], s[10:11], v[22:23]
	v_fma_f64 v[28:29], s[10:11], v[20:21], -v[28:29]
	v_fmac_f64_e32 v[22:23], s[12:13], v[20:21]
	v_add_f64 v[0:1], v[0:1], v[28:29]
	v_add_f64 v[2:3], v[2:3], v[22:23]
.LBB139_19:
	global_store_dwordx4 v[6:7], v[0:3], off
.LBB139_20:
	s_or_b64 exec, exec, s[4:5]
	v_add_u32_e32 v6, 16, v4
	v_cmp_le_i32_e32 vcc, v26, v6
	v_cmp_gt_i32_e64 s[4:5], s6, v6
	s_and_b64 s[14:15], vcc, s[4:5]
	v_ashrrev_i32_e32 v7, 31, v6
	s_and_saveexec_b64 s[6:7], s[14:15]
	s_cbranch_execz .LBB139_24
; %bb.21:
	v_mul_f64 v[0:1], s[18:19], v[18:19]
	v_mul_f64 v[2:3], s[16:17], v[18:19]
	v_fma_f64 v[0:1], s[16:17], v[16:17], -v[0:1]
	v_fmac_f64_e32 v[2:3], s[18:19], v[16:17]
	s_and_b64 vcc, exec, s[0:1]
	v_lshl_add_u64 v[16:17], v[6:7], 4, v[24:25]
	s_cbranch_vccnz .LBB139_23
; %bb.22:
	global_load_dwordx4 v[18:21], v[16:17], off
	s_waitcnt vmcnt(0)
	v_mul_f64 v[22:23], s[12:13], v[20:21]
	v_mul_f64 v[20:21], s[10:11], v[20:21]
	v_fma_f64 v[22:23], s[10:11], v[18:19], -v[22:23]
	v_fmac_f64_e32 v[20:21], s[12:13], v[18:19]
	v_add_f64 v[0:1], v[0:1], v[22:23]
	v_add_f64 v[2:3], v[2:3], v[20:21]
.LBB139_23:
	global_store_dwordx4 v[16:17], v[0:3], off
.LBB139_24:
	s_or_b64 exec, exec, s[6:7]
	v_add_u32_e32 v18, 16, v26
	v_mad_i64_i32 v[0:1], s[6:7], v18, s20, 0
	v_cmp_le_i32_e32 vcc, v18, v4
	v_lshl_add_u64 v[16:17], v[0:1], 4, s[8:9]
	s_and_b64 s[6:7], vcc, s[2:3]
	s_and_saveexec_b64 s[2:3], s[6:7]
	s_cbranch_execz .LBB139_28
; %bb.25:
	v_mul_f64 v[0:1], s[18:19], v[14:15]
	v_mul_f64 v[2:3], s[16:17], v[14:15]
	v_fma_f64 v[0:1], s[16:17], v[12:13], -v[0:1]
	v_fmac_f64_e32 v[2:3], s[18:19], v[12:13]
	s_and_b64 vcc, exec, s[0:1]
	v_lshl_add_u64 v[4:5], v[4:5], 4, v[16:17]
	s_cbranch_vccnz .LBB139_27
; %bb.26:
	global_load_dwordx4 v[12:15], v[4:5], off
	s_waitcnt vmcnt(0)
	v_mul_f64 v[20:21], s[12:13], v[14:15]
	v_mul_f64 v[14:15], s[10:11], v[14:15]
	v_fma_f64 v[20:21], s[10:11], v[12:13], -v[20:21]
	v_fmac_f64_e32 v[14:15], s[12:13], v[12:13]
	v_add_f64 v[0:1], v[0:1], v[20:21]
	v_add_f64 v[2:3], v[2:3], v[14:15]
.LBB139_27:
	global_store_dwordx4 v[4:5], v[0:3], off
.LBB139_28:
	s_or_b64 exec, exec, s[2:3]
	v_cmp_le_i32_e32 vcc, v18, v6
	s_and_b64 s[2:3], vcc, s[4:5]
	s_and_saveexec_b64 s[4:5], s[2:3]
	s_cbranch_execz .LBB139_32
; %bb.29:
	v_mul_f64 v[0:1], s[18:19], v[8:9]
	v_mul_f64 v[2:3], s[16:17], v[8:9]
	v_fma_f64 v[0:1], s[16:17], v[10:11], -v[0:1]
	v_fmac_f64_e32 v[2:3], s[18:19], v[10:11]
	s_and_b64 vcc, exec, s[0:1]
	v_lshl_add_u64 v[4:5], v[6:7], 4, v[16:17]
	s_cbranch_vccnz .LBB139_31
; %bb.30:
	global_load_dwordx4 v[6:9], v[4:5], off
	s_waitcnt vmcnt(0)
	v_mul_f64 v[10:11], s[12:13], v[8:9]
	v_mul_f64 v[8:9], s[10:11], v[8:9]
	v_fma_f64 v[10:11], s[10:11], v[6:7], -v[10:11]
	v_fmac_f64_e32 v[8:9], s[12:13], v[6:7]
	v_add_f64 v[0:1], v[0:1], v[10:11]
	v_add_f64 v[2:3], v[2:3], v[8:9]
.LBB139_31:
	global_store_dwordx4 v[4:5], v[0:3], off
.LBB139_32:
	s_endpgm
	.section	.rodata,"a",@progbits
	.p2align	6, 0x0
	.amdhsa_kernel _ZL29rocblas_internal_gemmt_kernelIiLi16ELi32ELi8ELc84ELc84ELc76ELb0ELb0E19rocblas_complex_numIdES1_PKS1_PS1_EviT_T9_T10_S5_lS7_S5_lS6_T11_S5_li
		.amdhsa_group_segment_fixed_size 8192
		.amdhsa_private_segment_fixed_size 0
		.amdhsa_kernarg_size 116
		.amdhsa_user_sgpr_count 2
		.amdhsa_user_sgpr_dispatch_ptr 0
		.amdhsa_user_sgpr_queue_ptr 0
		.amdhsa_user_sgpr_kernarg_segment_ptr 1
		.amdhsa_user_sgpr_dispatch_id 0
		.amdhsa_user_sgpr_kernarg_preload_length 0
		.amdhsa_user_sgpr_kernarg_preload_offset 0
		.amdhsa_user_sgpr_private_segment_size 0
		.amdhsa_uses_dynamic_stack 0
		.amdhsa_enable_private_segment 0
		.amdhsa_system_sgpr_workgroup_id_x 1
		.amdhsa_system_sgpr_workgroup_id_y 1
		.amdhsa_system_sgpr_workgroup_id_z 1
		.amdhsa_system_sgpr_workgroup_info 0
		.amdhsa_system_vgpr_workitem_id 1
		.amdhsa_next_free_vgpr 62
		.amdhsa_next_free_sgpr 36
		.amdhsa_accum_offset 64
		.amdhsa_reserve_vcc 1
		.amdhsa_float_round_mode_32 0
		.amdhsa_float_round_mode_16_64 0
		.amdhsa_float_denorm_mode_32 3
		.amdhsa_float_denorm_mode_16_64 3
		.amdhsa_dx10_clamp 1
		.amdhsa_ieee_mode 1
		.amdhsa_fp16_overflow 0
		.amdhsa_tg_split 0
		.amdhsa_exception_fp_ieee_invalid_op 0
		.amdhsa_exception_fp_denorm_src 0
		.amdhsa_exception_fp_ieee_div_zero 0
		.amdhsa_exception_fp_ieee_overflow 0
		.amdhsa_exception_fp_ieee_underflow 0
		.amdhsa_exception_fp_ieee_inexact 0
		.amdhsa_exception_int_div_zero 0
	.end_amdhsa_kernel
	.section	.text._ZL29rocblas_internal_gemmt_kernelIiLi16ELi32ELi8ELc84ELc84ELc76ELb0ELb0E19rocblas_complex_numIdES1_PKS1_PS1_EviT_T9_T10_S5_lS7_S5_lS6_T11_S5_li,"axG",@progbits,_ZL29rocblas_internal_gemmt_kernelIiLi16ELi32ELi8ELc84ELc84ELc76ELb0ELb0E19rocblas_complex_numIdES1_PKS1_PS1_EviT_T9_T10_S5_lS7_S5_lS6_T11_S5_li,comdat
.Lfunc_end139:
	.size	_ZL29rocblas_internal_gemmt_kernelIiLi16ELi32ELi8ELc84ELc84ELc76ELb0ELb0E19rocblas_complex_numIdES1_PKS1_PS1_EviT_T9_T10_S5_lS7_S5_lS6_T11_S5_li, .Lfunc_end139-_ZL29rocblas_internal_gemmt_kernelIiLi16ELi32ELi8ELc84ELc84ELc76ELb0ELb0E19rocblas_complex_numIdES1_PKS1_PS1_EviT_T9_T10_S5_lS7_S5_lS6_T11_S5_li
                                        ; -- End function
	.set _ZL29rocblas_internal_gemmt_kernelIiLi16ELi32ELi8ELc84ELc84ELc76ELb0ELb0E19rocblas_complex_numIdES1_PKS1_PS1_EviT_T9_T10_S5_lS7_S5_lS6_T11_S5_li.num_vgpr, 62
	.set _ZL29rocblas_internal_gemmt_kernelIiLi16ELi32ELi8ELc84ELc84ELc76ELb0ELb0E19rocblas_complex_numIdES1_PKS1_PS1_EviT_T9_T10_S5_lS7_S5_lS6_T11_S5_li.num_agpr, 0
	.set _ZL29rocblas_internal_gemmt_kernelIiLi16ELi32ELi8ELc84ELc84ELc76ELb0ELb0E19rocblas_complex_numIdES1_PKS1_PS1_EviT_T9_T10_S5_lS7_S5_lS6_T11_S5_li.numbered_sgpr, 36
	.set _ZL29rocblas_internal_gemmt_kernelIiLi16ELi32ELi8ELc84ELc84ELc76ELb0ELb0E19rocblas_complex_numIdES1_PKS1_PS1_EviT_T9_T10_S5_lS7_S5_lS6_T11_S5_li.num_named_barrier, 0
	.set _ZL29rocblas_internal_gemmt_kernelIiLi16ELi32ELi8ELc84ELc84ELc76ELb0ELb0E19rocblas_complex_numIdES1_PKS1_PS1_EviT_T9_T10_S5_lS7_S5_lS6_T11_S5_li.private_seg_size, 0
	.set _ZL29rocblas_internal_gemmt_kernelIiLi16ELi32ELi8ELc84ELc84ELc76ELb0ELb0E19rocblas_complex_numIdES1_PKS1_PS1_EviT_T9_T10_S5_lS7_S5_lS6_T11_S5_li.uses_vcc, 1
	.set _ZL29rocblas_internal_gemmt_kernelIiLi16ELi32ELi8ELc84ELc84ELc76ELb0ELb0E19rocblas_complex_numIdES1_PKS1_PS1_EviT_T9_T10_S5_lS7_S5_lS6_T11_S5_li.uses_flat_scratch, 0
	.set _ZL29rocblas_internal_gemmt_kernelIiLi16ELi32ELi8ELc84ELc84ELc76ELb0ELb0E19rocblas_complex_numIdES1_PKS1_PS1_EviT_T9_T10_S5_lS7_S5_lS6_T11_S5_li.has_dyn_sized_stack, 0
	.set _ZL29rocblas_internal_gemmt_kernelIiLi16ELi32ELi8ELc84ELc84ELc76ELb0ELb0E19rocblas_complex_numIdES1_PKS1_PS1_EviT_T9_T10_S5_lS7_S5_lS6_T11_S5_li.has_recursion, 0
	.set _ZL29rocblas_internal_gemmt_kernelIiLi16ELi32ELi8ELc84ELc84ELc76ELb0ELb0E19rocblas_complex_numIdES1_PKS1_PS1_EviT_T9_T10_S5_lS7_S5_lS6_T11_S5_li.has_indirect_call, 0
	.section	.AMDGPU.csdata,"",@progbits
; Kernel info:
; codeLenInByte = 3104
; TotalNumSgprs: 42
; NumVgprs: 62
; NumAgprs: 0
; TotalNumVgprs: 62
; ScratchSize: 0
; MemoryBound: 0
; FloatMode: 240
; IeeeMode: 1
; LDSByteSize: 8192 bytes/workgroup (compile time only)
; SGPRBlocks: 5
; VGPRBlocks: 7
; NumSGPRsForWavesPerEU: 42
; NumVGPRsForWavesPerEU: 62
; AccumOffset: 64
; Occupancy: 8
; WaveLimiterHint : 0
; COMPUTE_PGM_RSRC2:SCRATCH_EN: 0
; COMPUTE_PGM_RSRC2:USER_SGPR: 2
; COMPUTE_PGM_RSRC2:TRAP_HANDLER: 0
; COMPUTE_PGM_RSRC2:TGID_X_EN: 1
; COMPUTE_PGM_RSRC2:TGID_Y_EN: 1
; COMPUTE_PGM_RSRC2:TGID_Z_EN: 1
; COMPUTE_PGM_RSRC2:TIDIG_COMP_CNT: 1
; COMPUTE_PGM_RSRC3_GFX90A:ACCUM_OFFSET: 15
; COMPUTE_PGM_RSRC3_GFX90A:TG_SPLIT: 0
	.section	.text._ZL29rocblas_internal_gemmt_kernelIiLi16ELi32ELi8ELc84ELc67ELc76ELb0ELb1E19rocblas_complex_numIdES1_PKS1_PS1_EviT_T9_T10_S5_lS7_S5_lS6_T11_S5_li,"axG",@progbits,_ZL29rocblas_internal_gemmt_kernelIiLi16ELi32ELi8ELc84ELc67ELc76ELb0ELb1E19rocblas_complex_numIdES1_PKS1_PS1_EviT_T9_T10_S5_lS7_S5_lS6_T11_S5_li,comdat
	.globl	_ZL29rocblas_internal_gemmt_kernelIiLi16ELi32ELi8ELc84ELc67ELc76ELb0ELb1E19rocblas_complex_numIdES1_PKS1_PS1_EviT_T9_T10_S5_lS7_S5_lS6_T11_S5_li ; -- Begin function _ZL29rocblas_internal_gemmt_kernelIiLi16ELi32ELi8ELc84ELc67ELc76ELb0ELb1E19rocblas_complex_numIdES1_PKS1_PS1_EviT_T9_T10_S5_lS7_S5_lS6_T11_S5_li
	.p2align	8
	.type	_ZL29rocblas_internal_gemmt_kernelIiLi16ELi32ELi8ELc84ELc67ELc76ELb0ELb1E19rocblas_complex_numIdES1_PKS1_PS1_EviT_T9_T10_S5_lS7_S5_lS6_T11_S5_li,@function
_ZL29rocblas_internal_gemmt_kernelIiLi16ELi32ELi8ELc84ELc67ELc76ELb0ELb1E19rocblas_complex_numIdES1_PKS1_PS1_EviT_T9_T10_S5_lS7_S5_lS6_T11_S5_li: ; @_ZL29rocblas_internal_gemmt_kernelIiLi16ELi32ELi8ELc84ELc67ELc76ELb0ELb1E19rocblas_complex_numIdES1_PKS1_PS1_EviT_T9_T10_S5_lS7_S5_lS6_T11_S5_li
; %bb.0:
	s_load_dwordx8 s[8:15], s[0:1], 0x40
	s_load_dwordx2 s[6:7], s[0:1], 0x0
	s_load_dwordx4 s[16:19], s[0:1], 0x8
	s_mov_b64 s[20:21], 0
	s_waitcnt lgkmcnt(0)
	v_cmp_eq_f64_e64 s[22:23], s[10:11], 1.0
	v_cmp_eq_f64_e64 s[24:25], s[12:13], 0
	s_and_b64 s[22:23], s[22:23], s[24:25]
	s_andn2_b64 vcc, exec, s[22:23]
	s_mov_b64 s[22:23], -1
	s_cbranch_vccnz .LBB140_4
; %bb.1:
	s_cmp_lg_u32 s7, 0
	s_cbranch_scc0 .LBB140_3
; %bb.2:
	v_cmp_neq_f64_e64 s[20:21], s[16:17], 0
	v_cmp_neq_f64_e64 s[22:23], s[18:19], 0
	s_or_b64 s[20:21], s[20:21], s[22:23]
.LBB140_3:
	s_mov_b64 s[22:23], s[20:21]
.LBB140_4:
	s_and_b64 vcc, exec, s[22:23]
	s_cbranch_vccz .LBB140_30
; %bb.5:
	s_lshl_b32 s26, s2, 5
	s_lshl_b32 s5, s3, 5
	v_cmp_eq_f64_e64 s[2:3], s[16:17], 0
	v_cmp_eq_f64_e64 s[20:21], s[18:19], 0
	s_and_b64 s[2:3], s[2:3], s[20:21]
	s_cmp_lt_i32 s7, 1
	s_cselect_b64 s[20:21], -1, 0
	s_or_b64 s[2:3], s[2:3], s[20:21]
	v_and_b32_e32 v29, 0x3ff, v0
	v_bfe_u32 v28, v0, 10, 10
	s_mov_b32 s27, 0
	v_mov_b64_e32 v[24:25], 0
	s_and_b64 vcc, exec, s[2:3]
	v_mov_b64_e32 v[26:27], 0
	v_mov_b64_e32 v[20:21], 0
	;; [unrolled: 1-line block ×7, first 2 shown]
	s_cbranch_vccnz .LBB140_14
; %bb.6:
	v_lshl_add_u32 v0, v28, 4, v29
	v_lshrrev_b32_e32 v31, 5, v0
	v_lshrrev_b32_e32 v1, 3, v0
	v_and_b32_e32 v0, 31, v0
	s_load_dwordx4 s[20:23], s[0:1], 0x28
	s_load_dword s28, s[0:1], 0x38
	s_load_dwordx2 s[30:31], s[0:1], 0x18
	s_load_dword s33, s[0:1], 0x20
	v_or_b32_e32 v3, s26, v0
	v_and_b32_e32 v30, 7, v29
	v_cmp_gt_i32_e64 s[2:3], s6, v3
	v_lshlrev_b32_e32 v3, 4, v0
	v_lshl_or_b32 v32, v31, 9, v3
	v_lshlrev_b32_e32 v3, 4, v30
	v_add_u32_e32 v2, s5, v1
	v_lshl_or_b32 v1, v1, 7, v3
	v_add_u32_e32 v33, 0x1000, v1
	v_mov_b32_e32 v1, 0x1000
	v_add_u32_e32 v0, s26, v0
	v_lshl_add_u32 v35, v28, 7, v1
	s_waitcnt lgkmcnt(0)
	v_mad_i64_i32 v[0:1], s[34:35], s33, v0, 0
	s_mul_i32 s21, s21, s4
	s_mul_hi_u32 s33, s20, s4
	s_add_i32 s21, s33, s21
	s_mul_i32 s20, s20, s4
	s_lshl_b64 s[20:21], s[20:21], 4
	v_lshl_add_u64 v[4:5], v[0:1], 4, s[20:21]
	v_lshlrev_b32_e32 v0, 4, v31
	v_mov_b32_e32 v1, 0
	v_lshl_add_u64 v[4:5], v[4:5], 0, v[0:1]
	s_mul_i32 s9, s9, s4
	s_mul_hi_u32 s20, s8, s4
	v_lshl_add_u64 v[8:9], s[30:31], 0, v[4:5]
	s_add_i32 s9, s20, s9
	v_mad_i64_i32 v[4:5], s[20:21], s28, v30, 0
	s_mul_i32 s8, s8, s4
	v_lshlrev_b64 v[4:5], 4, v[4:5]
	v_ashrrev_i32_e32 v3, 31, v2
	v_lshl_add_u64 v[4:5], s[8:9], 4, v[4:5]
	v_cmp_gt_i32_e32 vcc, s6, v2
	v_lshl_add_u64 v[2:3], v[2:3], 4, v[4:5]
	s_ashr_i32 s29, s28, 31
	v_lshl_add_u64 v[2:3], s[22:23], 0, v[2:3]
	v_lshlrev_b32_e32 v34, 4, v29
	v_lshl_add_u64 v[10:11], v[2:3], 0, 8
	s_lshl_b64 s[8:9], s[28:29], 7
	v_mov_b64_e32 v[12:13], 0
	s_xor_b64 s[20:21], s[2:3], -1
	s_mov_b64 s[22:23], 0x80
	v_mov_b32_e32 v0, v1
	v_mov_b32_e32 v2, v1
	;; [unrolled: 1-line block ×3, first 2 shown]
	v_mov_b64_e32 v[14:15], 0
	v_mov_b64_e32 v[18:19], 0
	;; [unrolled: 1-line block ×7, first 2 shown]
	s_branch .LBB140_8
.LBB140_7:                              ;   in Loop: Header=BB140_8 Depth=1
	s_or_b64 exec, exec, s[2:3]
	ds_write_b128 v33, v[4:7]
	s_waitcnt lgkmcnt(0)
	s_barrier
	ds_read_b128 v[4:7], v34
	ds_read_b128 v[36:39], v35
	ds_read_b128 v[40:43], v35 offset:16
	ds_read_b128 v[44:47], v35 offset:32
	;; [unrolled: 1-line block ×4, first 2 shown]
	s_waitcnt lgkmcnt(4)
	v_mul_f64 v[56:57], v[38:39], v[6:7]
	v_fma_f64 v[56:57], v[36:37], v[4:5], -v[56:57]
	v_mul_f64 v[58:59], v[36:37], v[6:7]
	v_fmac_f64_e32 v[58:59], v[38:39], v[4:5]
	v_add_f64 v[56:57], v[24:25], v[56:57]
	s_waitcnt lgkmcnt(0)
	v_mul_f64 v[24:25], v[38:39], v[54:55]
	v_add_f64 v[58:59], v[58:59], v[26:27]
	v_fma_f64 v[60:61], v[36:37], v[52:53], -v[24:25]
	ds_read_b128 v[24:27], v35 offset:2048
	v_mul_f64 v[36:37], v[36:37], v[54:55]
	v_fmac_f64_e32 v[36:37], v[38:39], v[52:53]
	v_add_f64 v[38:39], v[20:21], v[60:61]
	v_add_f64 v[36:37], v[36:37], v[22:23]
	ds_read_b128 v[20:23], v35 offset:2064
	s_waitcnt lgkmcnt(1)
	v_mul_f64 v[60:61], v[26:27], v[6:7]
	v_mul_f64 v[6:7], v[24:25], v[6:7]
	v_fma_f64 v[60:61], v[24:25], v[4:5], -v[60:61]
	v_fmac_f64_e32 v[6:7], v[26:27], v[4:5]
	v_mul_f64 v[4:5], v[26:27], v[54:55]
	v_add_f64 v[16:17], v[16:17], v[60:61]
	v_add_f64 v[18:19], v[6:7], v[18:19]
	v_fma_f64 v[60:61], v[24:25], v[52:53], -v[4:5]
	v_mul_f64 v[24:25], v[24:25], v[54:55]
	ds_read_b128 v[4:7], v34 offset:512
	v_fmac_f64_e32 v[24:25], v[26:27], v[52:53]
	v_add_f64 v[26:27], v[14:15], v[60:61]
	v_add_f64 v[24:25], v[24:25], v[12:13]
	ds_read_b128 v[12:15], v34 offset:768
	s_waitcnt lgkmcnt(1)
	v_mul_f64 v[52:53], v[42:43], v[6:7]
	v_fma_f64 v[52:53], v[40:41], v[4:5], -v[52:53]
	v_add_f64 v[52:53], v[56:57], v[52:53]
	v_mul_f64 v[54:55], v[40:41], v[6:7]
	s_waitcnt lgkmcnt(0)
	v_mul_f64 v[56:57], v[42:43], v[14:15]
	v_fma_f64 v[56:57], v[40:41], v[12:13], -v[56:57]
	v_mul_f64 v[40:41], v[40:41], v[14:15]
	v_fmac_f64_e32 v[40:41], v[42:43], v[12:13]
	v_add_f64 v[36:37], v[40:41], v[36:37]
	v_mul_f64 v[40:41], v[22:23], v[6:7]
	v_mul_f64 v[6:7], v[20:21], v[6:7]
	v_fmac_f64_e32 v[54:55], v[42:43], v[4:5]
	v_fma_f64 v[40:41], v[20:21], v[4:5], -v[40:41]
	v_fmac_f64_e32 v[6:7], v[22:23], v[4:5]
	v_mul_f64 v[4:5], v[22:23], v[14:15]
	v_add_f64 v[40:41], v[16:17], v[40:41]
	v_add_f64 v[42:43], v[6:7], v[18:19]
	v_fma_f64 v[16:17], v[20:21], v[12:13], -v[4:5]
	v_mul_f64 v[14:15], v[20:21], v[14:15]
	ds_read_b128 v[4:7], v34 offset:1024
	v_fmac_f64_e32 v[14:15], v[22:23], v[12:13]
	v_add_f64 v[24:25], v[14:15], v[24:25]
	ds_read_b128 v[12:15], v34 offset:1280
	v_add_f64 v[26:27], v[26:27], v[16:17]
	s_waitcnt lgkmcnt(1)
	v_mul_f64 v[16:17], v[46:47], v[6:7]
	v_fma_f64 v[16:17], v[44:45], v[4:5], -v[16:17]
	v_mul_f64 v[18:19], v[44:45], v[6:7]
	v_add_f64 v[54:55], v[54:55], v[58:59]
	v_fmac_f64_e32 v[18:19], v[46:47], v[4:5]
	v_add_f64 v[52:53], v[52:53], v[16:17]
	s_waitcnt lgkmcnt(0)
	v_mul_f64 v[16:17], v[46:47], v[14:15]
	v_add_f64 v[54:55], v[18:19], v[54:55]
	v_fma_f64 v[20:21], v[44:45], v[12:13], -v[16:17]
	ds_read_b128 v[16:19], v35 offset:2080
	v_mul_f64 v[22:23], v[44:45], v[14:15]
	v_add_f64 v[38:39], v[38:39], v[56:57]
	v_fmac_f64_e32 v[22:23], v[46:47], v[12:13]
	v_add_f64 v[38:39], v[38:39], v[20:21]
	v_add_f64 v[36:37], v[22:23], v[36:37]
	ds_read_b128 v[20:23], v35 offset:2096
	s_waitcnt lgkmcnt(1)
	v_mul_f64 v[44:45], v[18:19], v[6:7]
	v_mul_f64 v[6:7], v[16:17], v[6:7]
	v_fma_f64 v[44:45], v[16:17], v[4:5], -v[44:45]
	v_fmac_f64_e32 v[6:7], v[18:19], v[4:5]
	v_mul_f64 v[4:5], v[18:19], v[14:15]
	v_mul_f64 v[14:15], v[16:17], v[14:15]
	v_fmac_f64_e32 v[14:15], v[18:19], v[12:13]
	v_add_f64 v[40:41], v[40:41], v[44:45]
	v_add_f64 v[42:43], v[6:7], v[42:43]
	v_fma_f64 v[44:45], v[16:17], v[12:13], -v[4:5]
	ds_read_b128 v[4:7], v34 offset:1536
	v_add_f64 v[18:19], v[14:15], v[24:25]
	ds_read_b128 v[12:15], v34 offset:1792
	v_add_f64 v[16:17], v[26:27], v[44:45]
	s_add_i32 s27, s27, 8
	s_waitcnt lgkmcnt(1)
	v_mul_f64 v[24:25], v[50:51], v[6:7]
	v_mul_f64 v[26:27], v[48:49], v[6:7]
	s_waitcnt lgkmcnt(0)
	v_mul_f64 v[44:45], v[50:51], v[14:15]
	v_fma_f64 v[44:45], v[48:49], v[12:13], -v[44:45]
	v_add_f64 v[38:39], v[38:39], v[44:45]
	v_mul_f64 v[44:45], v[22:23], v[6:7]
	v_mul_f64 v[6:7], v[20:21], v[6:7]
	v_fma_f64 v[24:25], v[48:49], v[4:5], -v[24:25]
	v_fmac_f64_e32 v[26:27], v[50:51], v[4:5]
	v_fma_f64 v[44:45], v[20:21], v[4:5], -v[44:45]
	v_fmac_f64_e32 v[6:7], v[22:23], v[4:5]
	v_mul_f64 v[4:5], v[22:23], v[14:15]
	v_mul_f64 v[46:47], v[48:49], v[14:15]
	v_add_f64 v[40:41], v[40:41], v[44:45]
	v_fma_f64 v[44:45], v[20:21], v[12:13], -v[4:5]
	v_mul_f64 v[20:21], v[20:21], v[14:15]
	v_fmac_f64_e32 v[46:47], v[50:51], v[12:13]
	v_add_f64 v[42:43], v[6:7], v[42:43]
	v_fmac_f64_e32 v[20:21], v[22:23], v[12:13]
	ds_read_b128 v[4:7], v35 offset:64
	ds_read_b128 v[12:15], v34 offset:2048
	v_add_f64 v[36:37], v[46:47], v[36:37]
	v_add_f64 v[44:45], v[16:17], v[44:45]
	;; [unrolled: 1-line block ×3, first 2 shown]
	ds_read_b128 v[16:19], v34 offset:2304
	ds_read_b128 v[20:23], v35 offset:80
	s_waitcnt lgkmcnt(2)
	v_mul_f64 v[48:49], v[6:7], v[14:15]
	v_add_f64 v[24:25], v[52:53], v[24:25]
	v_fma_f64 v[48:49], v[4:5], v[12:13], -v[48:49]
	v_mul_f64 v[50:51], v[4:5], v[14:15]
	v_add_f64 v[26:27], v[26:27], v[54:55]
	v_fmac_f64_e32 v[50:51], v[6:7], v[12:13]
	v_add_f64 v[48:49], v[24:25], v[48:49]
	s_waitcnt lgkmcnt(1)
	v_mul_f64 v[24:25], v[6:7], v[18:19]
	v_add_f64 v[50:51], v[50:51], v[26:27]
	v_fma_f64 v[52:53], v[4:5], v[16:17], -v[24:25]
	ds_read_b128 v[24:27], v35 offset:2112
	v_mul_f64 v[4:5], v[4:5], v[18:19]
	v_fmac_f64_e32 v[4:5], v[6:7], v[16:17]
	v_add_f64 v[38:39], v[38:39], v[52:53]
	v_add_f64 v[36:37], v[4:5], v[36:37]
	ds_read_b128 v[4:7], v35 offset:2128
	s_waitcnt lgkmcnt(1)
	v_mul_f64 v[52:53], v[26:27], v[14:15]
	v_mul_f64 v[14:15], v[24:25], v[14:15]
	v_fma_f64 v[52:53], v[24:25], v[12:13], -v[52:53]
	v_fmac_f64_e32 v[14:15], v[26:27], v[12:13]
	v_mul_f64 v[12:13], v[26:27], v[18:19]
	v_add_f64 v[40:41], v[40:41], v[52:53]
	v_add_f64 v[42:43], v[14:15], v[42:43]
	v_fma_f64 v[52:53], v[24:25], v[16:17], -v[12:13]
	v_mul_f64 v[18:19], v[24:25], v[18:19]
	ds_read_b128 v[12:15], v34 offset:2560
	v_fmac_f64_e32 v[18:19], v[26:27], v[16:17]
	v_add_f64 v[26:27], v[18:19], v[46:47]
	ds_read_b128 v[16:19], v34 offset:2816
	v_add_f64 v[24:25], v[44:45], v[52:53]
	s_waitcnt lgkmcnt(1)
	v_mul_f64 v[44:45], v[22:23], v[14:15]
	v_fma_f64 v[44:45], v[20:21], v[12:13], -v[44:45]
	v_add_f64 v[44:45], v[48:49], v[44:45]
	s_waitcnt lgkmcnt(0)
	v_mul_f64 v[48:49], v[22:23], v[18:19]
	v_mul_f64 v[46:47], v[20:21], v[14:15]
	v_fma_f64 v[48:49], v[20:21], v[16:17], -v[48:49]
	v_mul_f64 v[20:21], v[20:21], v[18:19]
	v_fmac_f64_e32 v[20:21], v[22:23], v[16:17]
	v_add_f64 v[36:37], v[20:21], v[36:37]
	v_mul_f64 v[20:21], v[6:7], v[14:15]
	v_mul_f64 v[14:15], v[4:5], v[14:15]
	v_fmac_f64_e32 v[46:47], v[22:23], v[12:13]
	v_fma_f64 v[20:21], v[4:5], v[12:13], -v[20:21]
	v_fmac_f64_e32 v[14:15], v[6:7], v[12:13]
	v_mul_f64 v[12:13], v[6:7], v[18:19]
	v_mul_f64 v[18:19], v[4:5], v[18:19]
	v_add_f64 v[40:41], v[40:41], v[20:21]
	v_add_f64 v[42:43], v[14:15], v[42:43]
	v_fma_f64 v[20:21], v[4:5], v[16:17], -v[12:13]
	v_fmac_f64_e32 v[18:19], v[6:7], v[16:17]
	ds_read_b128 v[4:7], v35 offset:96
	ds_read_b128 v[12:15], v34 offset:3072
	v_add_f64 v[46:47], v[46:47], v[50:51]
	v_add_f64 v[38:39], v[38:39], v[48:49]
	;; [unrolled: 1-line block ×4, first 2 shown]
	ds_read_b128 v[16:19], v34 offset:3328
	ds_read_b128 v[20:23], v35 offset:112
	s_waitcnt lgkmcnt(2)
	v_mul_f64 v[24:25], v[6:7], v[14:15]
	v_fma_f64 v[24:25], v[4:5], v[12:13], -v[24:25]
	v_mul_f64 v[26:27], v[4:5], v[14:15]
	v_fmac_f64_e32 v[26:27], v[6:7], v[12:13]
	v_add_f64 v[44:45], v[44:45], v[24:25]
	s_waitcnt lgkmcnt(1)
	v_mul_f64 v[24:25], v[6:7], v[18:19]
	v_add_f64 v[46:47], v[26:27], v[46:47]
	v_fma_f64 v[52:53], v[4:5], v[16:17], -v[24:25]
	ds_read_b128 v[24:27], v35 offset:2144
	v_mul_f64 v[4:5], v[4:5], v[18:19]
	v_fmac_f64_e32 v[4:5], v[6:7], v[16:17]
	v_add_f64 v[54:55], v[4:5], v[36:37]
	ds_read_b128 v[4:7], v35 offset:2160
	s_waitcnt lgkmcnt(1)
	v_mul_f64 v[36:37], v[26:27], v[14:15]
	v_mul_f64 v[14:15], v[24:25], v[14:15]
	v_fma_f64 v[36:37], v[24:25], v[12:13], -v[36:37]
	v_fmac_f64_e32 v[14:15], v[26:27], v[12:13]
	v_mul_f64 v[12:13], v[26:27], v[18:19]
	v_add_f64 v[40:41], v[40:41], v[36:37]
	v_add_f64 v[42:43], v[14:15], v[42:43]
	v_fma_f64 v[36:37], v[24:25], v[16:17], -v[12:13]
	ds_read_b128 v[12:15], v34 offset:3584
	v_add_f64 v[52:53], v[38:39], v[52:53]
	v_add_f64 v[48:49], v[48:49], v[36:37]
	ds_read_b128 v[36:39], v34 offset:3840
	v_mul_f64 v[18:19], v[24:25], v[18:19]
	v_fmac_f64_e32 v[18:19], v[26:27], v[16:17]
	s_waitcnt lgkmcnt(1)
	v_mul_f64 v[16:17], v[22:23], v[14:15]
	v_fma_f64 v[16:17], v[20:21], v[12:13], -v[16:17]
	v_add_f64 v[50:51], v[18:19], v[50:51]
	v_mul_f64 v[18:19], v[20:21], v[14:15]
	v_add_f64 v[24:25], v[44:45], v[16:17]
	s_waitcnt lgkmcnt(0)
	v_mul_f64 v[16:17], v[22:23], v[38:39]
	v_fmac_f64_e32 v[18:19], v[22:23], v[12:13]
	v_fma_f64 v[16:17], v[20:21], v[36:37], -v[16:17]
	v_add_f64 v[26:27], v[18:19], v[46:47]
	v_mul_f64 v[18:19], v[20:21], v[38:39]
	v_add_f64 v[20:21], v[52:53], v[16:17]
	v_mul_f64 v[16:17], v[6:7], v[14:15]
	v_mul_f64 v[14:15], v[4:5], v[14:15]
	v_fma_f64 v[16:17], v[4:5], v[12:13], -v[16:17]
	v_fmac_f64_e32 v[14:15], v[6:7], v[12:13]
	v_mul_f64 v[12:13], v[6:7], v[38:39]
	v_fma_f64 v[12:13], v[4:5], v[36:37], -v[12:13]
	v_mul_f64 v[4:5], v[4:5], v[38:39]
	v_fmac_f64_e32 v[18:19], v[22:23], v[36:37]
	v_fmac_f64_e32 v[4:5], v[6:7], v[36:37]
	v_add_f64 v[22:23], v[18:19], v[54:55]
	v_add_f64 v[16:17], v[40:41], v[16:17]
	;; [unrolled: 1-line block ×5, first 2 shown]
	v_lshl_add_u64 v[8:9], v[8:9], 0, s[22:23]
	s_cmp_lt_i32 s27, s7
	v_lshl_add_u64 v[10:11], v[10:11], 0, s[8:9]
	s_barrier
	s_cbranch_scc0 .LBB140_14
.LBB140_8:                              ; =>This Inner Loop Header: Depth=1
	v_add_u32_e32 v4, s27, v31
	v_cmp_le_i32_e64 s[2:3], s7, v4
	s_or_b64 s[2:3], s[20:21], s[2:3]
	s_and_saveexec_b64 s[28:29], s[2:3]
	s_xor_b64 s[2:3], exec, s[28:29]
; %bb.9:                                ;   in Loop: Header=BB140_8 Depth=1
	ds_write_b128 v32, v[0:3]
; %bb.10:                               ;   in Loop: Header=BB140_8 Depth=1
	s_andn2_saveexec_b64 s[2:3], s[2:3]
	s_cbranch_execz .LBB140_12
; %bb.11:                               ;   in Loop: Header=BB140_8 Depth=1
	global_load_dwordx4 v[4:7], v[8:9], off
	s_waitcnt vmcnt(0)
	ds_write2_b64 v32, v[4:5], v[6:7] offset1:1
.LBB140_12:                             ;   in Loop: Header=BB140_8 Depth=1
	s_or_b64 exec, exec, s[2:3]
	v_add_u32_e32 v4, s27, v30
	v_cmp_gt_i32_e64 s[2:3], s7, v4
	s_and_b64 s[28:29], s[2:3], vcc
	v_mov_b64_e32 v[4:5], 0
	v_mov_b64_e32 v[6:7], 0
	s_and_saveexec_b64 s[2:3], s[28:29]
	s_cbranch_execz .LBB140_7
; %bb.13:                               ;   in Loop: Header=BB140_8 Depth=1
	global_load_dwordx4 v[4:7], v[10:11], off offset:-8
	s_waitcnt vmcnt(0)
	v_xor_b32_e32 v7, 0x80000000, v7
	s_branch .LBB140_7
.LBB140_14:
	s_load_dwordx2 s[2:3], s[0:1], 0x68
	s_load_dword s20, s[0:1], 0x60
	v_add_u32_e32 v10, s5, v28
	v_add_u32_e32 v4, s26, v29
	v_cmp_le_i32_e32 vcc, v10, v4
	s_waitcnt lgkmcnt(0)
	s_mul_i32 s1, s3, s4
	s_mul_hi_u32 s3, s2, s4
	s_mul_i32 s0, s2, s4
	s_add_i32 s1, s3, s1
	s_lshl_b64 s[0:1], s[0:1], 4
	s_add_u32 s8, s14, s0
	s_addc_u32 s9, s15, s1
	v_cmp_neq_f64_e64 s[0:1], s[10:11], 0
	s_xor_b64 s[4:5], s[24:25], -1
	v_mad_i64_i32 v[0:1], s[2:3], v10, s20, 0
	s_or_b64 s[0:1], s[0:1], s[4:5]
	v_lshl_add_u64 v[8:9], v[0:1], 4, s[8:9]
	v_cmp_gt_i32_e64 s[2:3], s6, v4
	v_cndmask_b32_e64 v0, 0, 1, s[0:1]
	s_and_b64 s[14:15], vcc, s[2:3]
	v_ashrrev_i32_e32 v5, 31, v4
	v_cmp_ne_u32_e64 s[0:1], 1, v0
	s_and_saveexec_b64 s[4:5], s[14:15]
	s_cbranch_execz .LBB140_18
; %bb.15:
	v_mul_f64 v[0:1], s[18:19], v[26:27]
	v_mul_f64 v[2:3], s[16:17], v[26:27]
	v_fma_f64 v[0:1], s[16:17], v[24:25], -v[0:1]
	v_fmac_f64_e32 v[2:3], s[18:19], v[24:25]
	s_and_b64 vcc, exec, s[0:1]
	v_lshl_add_u64 v[6:7], v[4:5], 4, v[8:9]
	s_cbranch_vccnz .LBB140_17
; %bb.16:
	global_load_dwordx4 v[24:27], v[6:7], off
	s_waitcnt vmcnt(0)
	v_mul_f64 v[28:29], s[12:13], v[26:27]
	v_mul_f64 v[26:27], s[10:11], v[26:27]
	v_fma_f64 v[28:29], s[10:11], v[24:25], -v[28:29]
	v_fmac_f64_e32 v[26:27], s[12:13], v[24:25]
	v_add_f64 v[0:1], v[0:1], v[28:29]
	v_add_f64 v[2:3], v[2:3], v[26:27]
.LBB140_17:
	global_store_dwordx4 v[6:7], v[0:3], off
.LBB140_18:
	s_or_b64 exec, exec, s[4:5]
	v_add_u32_e32 v6, 16, v4
	v_cmp_le_i32_e32 vcc, v10, v6
	v_cmp_gt_i32_e64 s[4:5], s6, v6
	s_and_b64 s[14:15], vcc, s[4:5]
	v_ashrrev_i32_e32 v7, 31, v6
	s_and_saveexec_b64 s[6:7], s[14:15]
	s_cbranch_execz .LBB140_22
; %bb.19:
	v_mul_f64 v[0:1], s[18:19], v[22:23]
	v_mul_f64 v[2:3], s[16:17], v[22:23]
	v_fma_f64 v[0:1], s[16:17], v[20:21], -v[0:1]
	v_fmac_f64_e32 v[2:3], s[18:19], v[20:21]
	s_and_b64 vcc, exec, s[0:1]
	v_lshl_add_u64 v[8:9], v[6:7], 4, v[8:9]
	s_cbranch_vccnz .LBB140_21
; %bb.20:
	global_load_dwordx4 v[20:23], v[8:9], off
	s_waitcnt vmcnt(0)
	v_mul_f64 v[24:25], s[12:13], v[22:23]
	v_mul_f64 v[22:23], s[10:11], v[22:23]
	v_fma_f64 v[24:25], s[10:11], v[20:21], -v[24:25]
	v_fmac_f64_e32 v[22:23], s[12:13], v[20:21]
	v_add_f64 v[0:1], v[0:1], v[24:25]
	v_add_f64 v[2:3], v[2:3], v[22:23]
.LBB140_21:
	global_store_dwordx4 v[8:9], v[0:3], off
.LBB140_22:
	s_or_b64 exec, exec, s[6:7]
	v_add_u32_e32 v10, 16, v10
	v_mad_i64_i32 v[0:1], s[6:7], v10, s20, 0
	v_cmp_le_i32_e32 vcc, v10, v4
	v_lshl_add_u64 v[8:9], v[0:1], 4, s[8:9]
	s_and_b64 s[6:7], vcc, s[2:3]
	s_and_saveexec_b64 s[2:3], s[6:7]
	s_cbranch_execz .LBB140_26
; %bb.23:
	v_mul_f64 v[0:1], s[18:19], v[18:19]
	v_mul_f64 v[2:3], s[16:17], v[18:19]
	v_fma_f64 v[0:1], s[16:17], v[16:17], -v[0:1]
	v_fmac_f64_e32 v[2:3], s[18:19], v[16:17]
	s_and_b64 vcc, exec, s[0:1]
	v_lshl_add_u64 v[4:5], v[4:5], 4, v[8:9]
	s_cbranch_vccnz .LBB140_25
; %bb.24:
	global_load_dwordx4 v[16:19], v[4:5], off
	s_waitcnt vmcnt(0)
	v_mul_f64 v[20:21], s[12:13], v[18:19]
	v_mul_f64 v[18:19], s[10:11], v[18:19]
	v_fma_f64 v[20:21], s[10:11], v[16:17], -v[20:21]
	v_fmac_f64_e32 v[18:19], s[12:13], v[16:17]
	v_add_f64 v[0:1], v[0:1], v[20:21]
	v_add_f64 v[2:3], v[2:3], v[18:19]
.LBB140_25:
	global_store_dwordx4 v[4:5], v[0:3], off
.LBB140_26:
	s_or_b64 exec, exec, s[2:3]
	v_cmp_le_i32_e32 vcc, v10, v6
	s_and_b64 s[2:3], vcc, s[4:5]
	s_and_saveexec_b64 s[4:5], s[2:3]
	s_cbranch_execz .LBB140_30
; %bb.27:
	v_mul_f64 v[0:1], s[18:19], v[12:13]
	v_mul_f64 v[2:3], s[16:17], v[12:13]
	v_fma_f64 v[0:1], s[16:17], v[14:15], -v[0:1]
	v_fmac_f64_e32 v[2:3], s[18:19], v[14:15]
	s_and_b64 vcc, exec, s[0:1]
	v_lshl_add_u64 v[4:5], v[6:7], 4, v[8:9]
	s_cbranch_vccnz .LBB140_29
; %bb.28:
	global_load_dwordx4 v[6:9], v[4:5], off
	s_waitcnt vmcnt(0)
	v_mul_f64 v[10:11], s[12:13], v[8:9]
	v_mul_f64 v[8:9], s[10:11], v[8:9]
	v_fma_f64 v[10:11], s[10:11], v[6:7], -v[10:11]
	v_fmac_f64_e32 v[8:9], s[12:13], v[6:7]
	v_add_f64 v[0:1], v[0:1], v[10:11]
	v_add_f64 v[2:3], v[2:3], v[8:9]
.LBB140_29:
	global_store_dwordx4 v[4:5], v[0:3], off
.LBB140_30:
	s_endpgm
	.section	.rodata,"a",@progbits
	.p2align	6, 0x0
	.amdhsa_kernel _ZL29rocblas_internal_gemmt_kernelIiLi16ELi32ELi8ELc84ELc67ELc76ELb0ELb1E19rocblas_complex_numIdES1_PKS1_PS1_EviT_T9_T10_S5_lS7_S5_lS6_T11_S5_li
		.amdhsa_group_segment_fixed_size 8192
		.amdhsa_private_segment_fixed_size 0
		.amdhsa_kernarg_size 116
		.amdhsa_user_sgpr_count 2
		.amdhsa_user_sgpr_dispatch_ptr 0
		.amdhsa_user_sgpr_queue_ptr 0
		.amdhsa_user_sgpr_kernarg_segment_ptr 1
		.amdhsa_user_sgpr_dispatch_id 0
		.amdhsa_user_sgpr_kernarg_preload_length 0
		.amdhsa_user_sgpr_kernarg_preload_offset 0
		.amdhsa_user_sgpr_private_segment_size 0
		.amdhsa_uses_dynamic_stack 0
		.amdhsa_enable_private_segment 0
		.amdhsa_system_sgpr_workgroup_id_x 1
		.amdhsa_system_sgpr_workgroup_id_y 1
		.amdhsa_system_sgpr_workgroup_id_z 1
		.amdhsa_system_sgpr_workgroup_info 0
		.amdhsa_system_vgpr_workitem_id 1
		.amdhsa_next_free_vgpr 62
		.amdhsa_next_free_sgpr 36
		.amdhsa_accum_offset 64
		.amdhsa_reserve_vcc 1
		.amdhsa_float_round_mode_32 0
		.amdhsa_float_round_mode_16_64 0
		.amdhsa_float_denorm_mode_32 3
		.amdhsa_float_denorm_mode_16_64 3
		.amdhsa_dx10_clamp 1
		.amdhsa_ieee_mode 1
		.amdhsa_fp16_overflow 0
		.amdhsa_tg_split 0
		.amdhsa_exception_fp_ieee_invalid_op 0
		.amdhsa_exception_fp_denorm_src 0
		.amdhsa_exception_fp_ieee_div_zero 0
		.amdhsa_exception_fp_ieee_overflow 0
		.amdhsa_exception_fp_ieee_underflow 0
		.amdhsa_exception_fp_ieee_inexact 0
		.amdhsa_exception_int_div_zero 0
	.end_amdhsa_kernel
	.section	.text._ZL29rocblas_internal_gemmt_kernelIiLi16ELi32ELi8ELc84ELc67ELc76ELb0ELb1E19rocblas_complex_numIdES1_PKS1_PS1_EviT_T9_T10_S5_lS7_S5_lS6_T11_S5_li,"axG",@progbits,_ZL29rocblas_internal_gemmt_kernelIiLi16ELi32ELi8ELc84ELc67ELc76ELb0ELb1E19rocblas_complex_numIdES1_PKS1_PS1_EviT_T9_T10_S5_lS7_S5_lS6_T11_S5_li,comdat
.Lfunc_end140:
	.size	_ZL29rocblas_internal_gemmt_kernelIiLi16ELi32ELi8ELc84ELc67ELc76ELb0ELb1E19rocblas_complex_numIdES1_PKS1_PS1_EviT_T9_T10_S5_lS7_S5_lS6_T11_S5_li, .Lfunc_end140-_ZL29rocblas_internal_gemmt_kernelIiLi16ELi32ELi8ELc84ELc67ELc76ELb0ELb1E19rocblas_complex_numIdES1_PKS1_PS1_EviT_T9_T10_S5_lS7_S5_lS6_T11_S5_li
                                        ; -- End function
	.set _ZL29rocblas_internal_gemmt_kernelIiLi16ELi32ELi8ELc84ELc67ELc76ELb0ELb1E19rocblas_complex_numIdES1_PKS1_PS1_EviT_T9_T10_S5_lS7_S5_lS6_T11_S5_li.num_vgpr, 62
	.set _ZL29rocblas_internal_gemmt_kernelIiLi16ELi32ELi8ELc84ELc67ELc76ELb0ELb1E19rocblas_complex_numIdES1_PKS1_PS1_EviT_T9_T10_S5_lS7_S5_lS6_T11_S5_li.num_agpr, 0
	.set _ZL29rocblas_internal_gemmt_kernelIiLi16ELi32ELi8ELc84ELc67ELc76ELb0ELb1E19rocblas_complex_numIdES1_PKS1_PS1_EviT_T9_T10_S5_lS7_S5_lS6_T11_S5_li.numbered_sgpr, 36
	.set _ZL29rocblas_internal_gemmt_kernelIiLi16ELi32ELi8ELc84ELc67ELc76ELb0ELb1E19rocblas_complex_numIdES1_PKS1_PS1_EviT_T9_T10_S5_lS7_S5_lS6_T11_S5_li.num_named_barrier, 0
	.set _ZL29rocblas_internal_gemmt_kernelIiLi16ELi32ELi8ELc84ELc67ELc76ELb0ELb1E19rocblas_complex_numIdES1_PKS1_PS1_EviT_T9_T10_S5_lS7_S5_lS6_T11_S5_li.private_seg_size, 0
	.set _ZL29rocblas_internal_gemmt_kernelIiLi16ELi32ELi8ELc84ELc67ELc76ELb0ELb1E19rocblas_complex_numIdES1_PKS1_PS1_EviT_T9_T10_S5_lS7_S5_lS6_T11_S5_li.uses_vcc, 1
	.set _ZL29rocblas_internal_gemmt_kernelIiLi16ELi32ELi8ELc84ELc67ELc76ELb0ELb1E19rocblas_complex_numIdES1_PKS1_PS1_EviT_T9_T10_S5_lS7_S5_lS6_T11_S5_li.uses_flat_scratch, 0
	.set _ZL29rocblas_internal_gemmt_kernelIiLi16ELi32ELi8ELc84ELc67ELc76ELb0ELb1E19rocblas_complex_numIdES1_PKS1_PS1_EviT_T9_T10_S5_lS7_S5_lS6_T11_S5_li.has_dyn_sized_stack, 0
	.set _ZL29rocblas_internal_gemmt_kernelIiLi16ELi32ELi8ELc84ELc67ELc76ELb0ELb1E19rocblas_complex_numIdES1_PKS1_PS1_EviT_T9_T10_S5_lS7_S5_lS6_T11_S5_li.has_recursion, 0
	.set _ZL29rocblas_internal_gemmt_kernelIiLi16ELi32ELi8ELc84ELc67ELc76ELb0ELb1E19rocblas_complex_numIdES1_PKS1_PS1_EviT_T9_T10_S5_lS7_S5_lS6_T11_S5_li.has_indirect_call, 0
	.section	.AMDGPU.csdata,"",@progbits
; Kernel info:
; codeLenInByte = 3116
; TotalNumSgprs: 42
; NumVgprs: 62
; NumAgprs: 0
; TotalNumVgprs: 62
; ScratchSize: 0
; MemoryBound: 1
; FloatMode: 240
; IeeeMode: 1
; LDSByteSize: 8192 bytes/workgroup (compile time only)
; SGPRBlocks: 5
; VGPRBlocks: 7
; NumSGPRsForWavesPerEU: 42
; NumVGPRsForWavesPerEU: 62
; AccumOffset: 64
; Occupancy: 8
; WaveLimiterHint : 0
; COMPUTE_PGM_RSRC2:SCRATCH_EN: 0
; COMPUTE_PGM_RSRC2:USER_SGPR: 2
; COMPUTE_PGM_RSRC2:TRAP_HANDLER: 0
; COMPUTE_PGM_RSRC2:TGID_X_EN: 1
; COMPUTE_PGM_RSRC2:TGID_Y_EN: 1
; COMPUTE_PGM_RSRC2:TGID_Z_EN: 1
; COMPUTE_PGM_RSRC2:TIDIG_COMP_CNT: 1
; COMPUTE_PGM_RSRC3_GFX90A:ACCUM_OFFSET: 15
; COMPUTE_PGM_RSRC3_GFX90A:TG_SPLIT: 0
	.section	.text._ZL29rocblas_internal_gemmt_kernelIiLi16ELi32ELi8ELc67ELc78ELc76ELb1ELb0E19rocblas_complex_numIdES1_PKS1_PS1_EviT_T9_T10_S5_lS7_S5_lS6_T11_S5_li,"axG",@progbits,_ZL29rocblas_internal_gemmt_kernelIiLi16ELi32ELi8ELc67ELc78ELc76ELb1ELb0E19rocblas_complex_numIdES1_PKS1_PS1_EviT_T9_T10_S5_lS7_S5_lS6_T11_S5_li,comdat
	.globl	_ZL29rocblas_internal_gemmt_kernelIiLi16ELi32ELi8ELc67ELc78ELc76ELb1ELb0E19rocblas_complex_numIdES1_PKS1_PS1_EviT_T9_T10_S5_lS7_S5_lS6_T11_S5_li ; -- Begin function _ZL29rocblas_internal_gemmt_kernelIiLi16ELi32ELi8ELc67ELc78ELc76ELb1ELb0E19rocblas_complex_numIdES1_PKS1_PS1_EviT_T9_T10_S5_lS7_S5_lS6_T11_S5_li
	.p2align	8
	.type	_ZL29rocblas_internal_gemmt_kernelIiLi16ELi32ELi8ELc67ELc78ELc76ELb1ELb0E19rocblas_complex_numIdES1_PKS1_PS1_EviT_T9_T10_S5_lS7_S5_lS6_T11_S5_li,@function
_ZL29rocblas_internal_gemmt_kernelIiLi16ELi32ELi8ELc67ELc78ELc76ELb1ELb0E19rocblas_complex_numIdES1_PKS1_PS1_EviT_T9_T10_S5_lS7_S5_lS6_T11_S5_li: ; @_ZL29rocblas_internal_gemmt_kernelIiLi16ELi32ELi8ELc67ELc78ELc76ELb1ELb0E19rocblas_complex_numIdES1_PKS1_PS1_EviT_T9_T10_S5_lS7_S5_lS6_T11_S5_li
; %bb.0:
	s_load_dwordx8 s[8:15], s[0:1], 0x40
	s_load_dwordx2 s[6:7], s[0:1], 0x0
	s_load_dwordx4 s[16:19], s[0:1], 0x8
	s_mov_b64 s[20:21], 0
	s_waitcnt lgkmcnt(0)
	v_cmp_eq_f64_e64 s[22:23], s[10:11], 1.0
	v_cmp_eq_f64_e64 s[24:25], s[12:13], 0
	s_and_b64 s[22:23], s[22:23], s[24:25]
	s_andn2_b64 vcc, exec, s[22:23]
	s_mov_b64 s[22:23], -1
	s_cbranch_vccnz .LBB141_4
; %bb.1:
	s_cmp_lg_u32 s7, 0
	s_cbranch_scc0 .LBB141_3
; %bb.2:
	v_cmp_neq_f64_e64 s[20:21], s[16:17], 0
	v_cmp_neq_f64_e64 s[22:23], s[18:19], 0
	s_or_b64 s[20:21], s[20:21], s[22:23]
.LBB141_3:
	s_mov_b64 s[22:23], s[20:21]
.LBB141_4:
	s_and_b64 vcc, exec, s[22:23]
	s_cbranch_vccz .LBB141_30
; %bb.5:
	s_lshl_b32 s26, s2, 5
	s_lshl_b32 s5, s3, 5
	v_cmp_eq_f64_e64 s[2:3], s[16:17], 0
	v_cmp_eq_f64_e64 s[20:21], s[18:19], 0
	s_and_b64 s[2:3], s[2:3], s[20:21]
	s_cmp_lt_i32 s7, 1
	s_cselect_b64 s[20:21], -1, 0
	s_or_b64 s[2:3], s[2:3], s[20:21]
	v_and_b32_e32 v29, 0x3ff, v0
	v_bfe_u32 v28, v0, 10, 10
	s_mov_b32 s27, 0
	v_mov_b64_e32 v[24:25], 0
	s_and_b64 vcc, exec, s[2:3]
	v_mov_b64_e32 v[26:27], 0
	v_mov_b64_e32 v[20:21], 0
	;; [unrolled: 1-line block ×7, first 2 shown]
	s_cbranch_vccnz .LBB141_14
; %bb.6:
	v_lshl_add_u32 v0, v28, 4, v29
	v_lshrrev_b32_e32 v31, 5, v0
	v_lshrrev_b32_e32 v1, 3, v0
	v_and_b32_e32 v0, 31, v0
	v_or_b32_e32 v2, s26, v0
	v_and_b32_e32 v30, 7, v29
	v_cmp_gt_i32_e32 vcc, s6, v2
	v_lshlrev_b32_e32 v2, 4, v0
	s_load_dwordx2 s[28:29], s[0:1], 0x18
	s_load_dword s30, s[0:1], 0x20
	s_load_dwordx4 s[20:23], s[0:1], 0x28
	s_load_dword s33, s[0:1], 0x38
	v_lshl_or_b32 v32, v31, 9, v2
	v_lshlrev_b32_e32 v2, 4, v30
	v_add_u32_e32 v3, s5, v1
	v_lshl_or_b32 v1, v1, 7, v2
	v_add_u32_e32 v33, 0x1000, v1
	v_mov_b32_e32 v1, 0x1000
	v_add_u32_e32 v0, s26, v0
	v_lshl_add_u32 v35, v28, 7, v1
	s_waitcnt lgkmcnt(0)
	v_mad_i64_i32 v[0:1], s[30:31], s30, v0, 0
	s_mul_i32 s21, s21, s4
	s_mul_hi_u32 s30, s20, s4
	s_add_i32 s21, s30, s21
	s_mul_i32 s20, s20, s4
	s_lshl_b64 s[20:21], s[20:21], 4
	v_lshl_add_u64 v[4:5], v[0:1], 4, s[20:21]
	v_lshlrev_b32_e32 v0, 4, v31
	v_mov_b32_e32 v1, 0
	v_lshl_add_u64 v[4:5], v[4:5], 0, v[0:1]
	v_lshl_add_u64 v[4:5], s[28:29], 0, v[4:5]
	;; [unrolled: 1-line block ×3, first 2 shown]
	v_mad_i64_i32 v[4:5], s[20:21], s33, v3, 0
	s_mul_i32 s9, s9, s4
	s_mul_hi_u32 s20, s8, s4
	s_add_i32 s9, s20, s9
	s_mul_i32 s8, s8, s4
	s_lshl_b64 s[8:9], s[8:9], 4
	v_cmp_gt_i32_e64 s[2:3], s6, v3
	v_lshl_add_u64 v[4:5], v[4:5], 4, s[8:9]
	v_mov_b32_e32 v3, v1
	v_lshl_add_u64 v[2:3], v[4:5], 0, v[2:3]
	v_lshlrev_b32_e32 v34, 4, v29
	v_lshl_add_u64 v[10:11], s[22:23], 0, v[2:3]
	v_mov_b64_e32 v[12:13], 0
	s_xor_b64 s[8:9], s[2:3], -1
	s_mov_b64 s[20:21], 0x80
	v_mov_b32_e32 v0, v1
	v_mov_b32_e32 v2, v1
	;; [unrolled: 1-line block ×3, first 2 shown]
	v_mov_b64_e32 v[14:15], 0
	v_mov_b64_e32 v[18:19], 0
	;; [unrolled: 1-line block ×7, first 2 shown]
	s_branch .LBB141_8
.LBB141_7:                              ;   in Loop: Header=BB141_8 Depth=1
	s_or_b64 exec, exec, s[2:3]
	s_waitcnt lgkmcnt(0)
	s_barrier
	ds_read_b128 v[4:7], v34
	ds_read_b128 v[36:39], v35
	ds_read_b128 v[40:43], v35 offset:16
	ds_read_b128 v[44:47], v35 offset:32
	;; [unrolled: 1-line block ×4, first 2 shown]
	s_waitcnt lgkmcnt(4)
	v_mul_f64 v[56:57], v[38:39], v[6:7]
	v_fma_f64 v[56:57], v[36:37], v[4:5], -v[56:57]
	v_mul_f64 v[58:59], v[36:37], v[6:7]
	v_fmac_f64_e32 v[58:59], v[38:39], v[4:5]
	v_add_f64 v[56:57], v[24:25], v[56:57]
	s_waitcnt lgkmcnt(0)
	v_mul_f64 v[24:25], v[38:39], v[54:55]
	v_add_f64 v[58:59], v[58:59], v[26:27]
	v_fma_f64 v[60:61], v[36:37], v[52:53], -v[24:25]
	ds_read_b128 v[24:27], v35 offset:2048
	v_mul_f64 v[36:37], v[36:37], v[54:55]
	v_fmac_f64_e32 v[36:37], v[38:39], v[52:53]
	v_add_f64 v[38:39], v[20:21], v[60:61]
	v_add_f64 v[36:37], v[36:37], v[22:23]
	ds_read_b128 v[20:23], v35 offset:2064
	s_waitcnt lgkmcnt(1)
	v_mul_f64 v[60:61], v[26:27], v[6:7]
	v_mul_f64 v[6:7], v[24:25], v[6:7]
	v_fma_f64 v[60:61], v[24:25], v[4:5], -v[60:61]
	v_fmac_f64_e32 v[6:7], v[26:27], v[4:5]
	v_mul_f64 v[4:5], v[26:27], v[54:55]
	v_add_f64 v[16:17], v[16:17], v[60:61]
	v_add_f64 v[18:19], v[6:7], v[18:19]
	v_fma_f64 v[60:61], v[24:25], v[52:53], -v[4:5]
	v_mul_f64 v[24:25], v[24:25], v[54:55]
	ds_read_b128 v[4:7], v34 offset:512
	v_fmac_f64_e32 v[24:25], v[26:27], v[52:53]
	v_add_f64 v[26:27], v[14:15], v[60:61]
	v_add_f64 v[24:25], v[24:25], v[12:13]
	ds_read_b128 v[12:15], v34 offset:768
	s_waitcnt lgkmcnt(1)
	v_mul_f64 v[52:53], v[42:43], v[6:7]
	v_fma_f64 v[52:53], v[40:41], v[4:5], -v[52:53]
	v_add_f64 v[52:53], v[56:57], v[52:53]
	v_mul_f64 v[54:55], v[40:41], v[6:7]
	s_waitcnt lgkmcnt(0)
	v_mul_f64 v[56:57], v[42:43], v[14:15]
	v_fma_f64 v[56:57], v[40:41], v[12:13], -v[56:57]
	v_mul_f64 v[40:41], v[40:41], v[14:15]
	v_fmac_f64_e32 v[40:41], v[42:43], v[12:13]
	v_add_f64 v[36:37], v[40:41], v[36:37]
	v_mul_f64 v[40:41], v[22:23], v[6:7]
	v_mul_f64 v[6:7], v[20:21], v[6:7]
	v_fmac_f64_e32 v[54:55], v[42:43], v[4:5]
	v_fma_f64 v[40:41], v[20:21], v[4:5], -v[40:41]
	v_fmac_f64_e32 v[6:7], v[22:23], v[4:5]
	v_mul_f64 v[4:5], v[22:23], v[14:15]
	v_add_f64 v[40:41], v[16:17], v[40:41]
	v_add_f64 v[42:43], v[6:7], v[18:19]
	v_fma_f64 v[16:17], v[20:21], v[12:13], -v[4:5]
	v_mul_f64 v[14:15], v[20:21], v[14:15]
	ds_read_b128 v[4:7], v34 offset:1024
	v_fmac_f64_e32 v[14:15], v[22:23], v[12:13]
	v_add_f64 v[24:25], v[14:15], v[24:25]
	ds_read_b128 v[12:15], v34 offset:1280
	v_add_f64 v[26:27], v[26:27], v[16:17]
	s_waitcnt lgkmcnt(1)
	v_mul_f64 v[16:17], v[46:47], v[6:7]
	v_fma_f64 v[16:17], v[44:45], v[4:5], -v[16:17]
	v_mul_f64 v[18:19], v[44:45], v[6:7]
	v_add_f64 v[54:55], v[54:55], v[58:59]
	v_fmac_f64_e32 v[18:19], v[46:47], v[4:5]
	v_add_f64 v[52:53], v[52:53], v[16:17]
	s_waitcnt lgkmcnt(0)
	v_mul_f64 v[16:17], v[46:47], v[14:15]
	v_add_f64 v[54:55], v[18:19], v[54:55]
	v_fma_f64 v[20:21], v[44:45], v[12:13], -v[16:17]
	ds_read_b128 v[16:19], v35 offset:2080
	v_mul_f64 v[22:23], v[44:45], v[14:15]
	v_add_f64 v[38:39], v[38:39], v[56:57]
	v_fmac_f64_e32 v[22:23], v[46:47], v[12:13]
	v_add_f64 v[38:39], v[38:39], v[20:21]
	v_add_f64 v[36:37], v[22:23], v[36:37]
	ds_read_b128 v[20:23], v35 offset:2096
	s_waitcnt lgkmcnt(1)
	v_mul_f64 v[44:45], v[18:19], v[6:7]
	v_mul_f64 v[6:7], v[16:17], v[6:7]
	v_fma_f64 v[44:45], v[16:17], v[4:5], -v[44:45]
	v_fmac_f64_e32 v[6:7], v[18:19], v[4:5]
	v_mul_f64 v[4:5], v[18:19], v[14:15]
	v_mul_f64 v[14:15], v[16:17], v[14:15]
	v_fmac_f64_e32 v[14:15], v[18:19], v[12:13]
	v_add_f64 v[40:41], v[40:41], v[44:45]
	v_add_f64 v[42:43], v[6:7], v[42:43]
	v_fma_f64 v[44:45], v[16:17], v[12:13], -v[4:5]
	ds_read_b128 v[4:7], v34 offset:1536
	v_add_f64 v[18:19], v[14:15], v[24:25]
	ds_read_b128 v[12:15], v34 offset:1792
	v_add_f64 v[16:17], v[26:27], v[44:45]
	s_add_i32 s27, s27, 8
	s_waitcnt lgkmcnt(1)
	v_mul_f64 v[24:25], v[50:51], v[6:7]
	v_mul_f64 v[26:27], v[48:49], v[6:7]
	s_waitcnt lgkmcnt(0)
	v_mul_f64 v[44:45], v[50:51], v[14:15]
	v_fma_f64 v[44:45], v[48:49], v[12:13], -v[44:45]
	v_add_f64 v[38:39], v[38:39], v[44:45]
	v_mul_f64 v[44:45], v[22:23], v[6:7]
	v_mul_f64 v[6:7], v[20:21], v[6:7]
	v_fma_f64 v[24:25], v[48:49], v[4:5], -v[24:25]
	v_fmac_f64_e32 v[26:27], v[50:51], v[4:5]
	v_fma_f64 v[44:45], v[20:21], v[4:5], -v[44:45]
	v_fmac_f64_e32 v[6:7], v[22:23], v[4:5]
	v_mul_f64 v[4:5], v[22:23], v[14:15]
	v_mul_f64 v[46:47], v[48:49], v[14:15]
	v_add_f64 v[40:41], v[40:41], v[44:45]
	v_fma_f64 v[44:45], v[20:21], v[12:13], -v[4:5]
	v_mul_f64 v[20:21], v[20:21], v[14:15]
	v_fmac_f64_e32 v[46:47], v[50:51], v[12:13]
	v_add_f64 v[42:43], v[6:7], v[42:43]
	v_fmac_f64_e32 v[20:21], v[22:23], v[12:13]
	ds_read_b128 v[4:7], v35 offset:64
	ds_read_b128 v[12:15], v34 offset:2048
	v_add_f64 v[36:37], v[46:47], v[36:37]
	v_add_f64 v[44:45], v[16:17], v[44:45]
	;; [unrolled: 1-line block ×3, first 2 shown]
	ds_read_b128 v[16:19], v34 offset:2304
	ds_read_b128 v[20:23], v35 offset:80
	s_waitcnt lgkmcnt(2)
	v_mul_f64 v[48:49], v[6:7], v[14:15]
	v_add_f64 v[24:25], v[52:53], v[24:25]
	v_fma_f64 v[48:49], v[4:5], v[12:13], -v[48:49]
	v_mul_f64 v[50:51], v[4:5], v[14:15]
	v_add_f64 v[26:27], v[26:27], v[54:55]
	v_fmac_f64_e32 v[50:51], v[6:7], v[12:13]
	v_add_f64 v[48:49], v[24:25], v[48:49]
	s_waitcnt lgkmcnt(1)
	v_mul_f64 v[24:25], v[6:7], v[18:19]
	v_add_f64 v[50:51], v[50:51], v[26:27]
	v_fma_f64 v[52:53], v[4:5], v[16:17], -v[24:25]
	ds_read_b128 v[24:27], v35 offset:2112
	v_mul_f64 v[4:5], v[4:5], v[18:19]
	v_fmac_f64_e32 v[4:5], v[6:7], v[16:17]
	v_add_f64 v[38:39], v[38:39], v[52:53]
	v_add_f64 v[36:37], v[4:5], v[36:37]
	ds_read_b128 v[4:7], v35 offset:2128
	s_waitcnt lgkmcnt(1)
	v_mul_f64 v[52:53], v[26:27], v[14:15]
	v_mul_f64 v[14:15], v[24:25], v[14:15]
	v_fma_f64 v[52:53], v[24:25], v[12:13], -v[52:53]
	v_fmac_f64_e32 v[14:15], v[26:27], v[12:13]
	v_mul_f64 v[12:13], v[26:27], v[18:19]
	v_add_f64 v[40:41], v[40:41], v[52:53]
	v_add_f64 v[42:43], v[14:15], v[42:43]
	v_fma_f64 v[52:53], v[24:25], v[16:17], -v[12:13]
	v_mul_f64 v[18:19], v[24:25], v[18:19]
	ds_read_b128 v[12:15], v34 offset:2560
	v_fmac_f64_e32 v[18:19], v[26:27], v[16:17]
	v_add_f64 v[26:27], v[18:19], v[46:47]
	ds_read_b128 v[16:19], v34 offset:2816
	v_add_f64 v[24:25], v[44:45], v[52:53]
	s_waitcnt lgkmcnt(1)
	v_mul_f64 v[44:45], v[22:23], v[14:15]
	v_fma_f64 v[44:45], v[20:21], v[12:13], -v[44:45]
	v_add_f64 v[44:45], v[48:49], v[44:45]
	s_waitcnt lgkmcnt(0)
	v_mul_f64 v[48:49], v[22:23], v[18:19]
	v_mul_f64 v[46:47], v[20:21], v[14:15]
	v_fma_f64 v[48:49], v[20:21], v[16:17], -v[48:49]
	v_mul_f64 v[20:21], v[20:21], v[18:19]
	v_fmac_f64_e32 v[20:21], v[22:23], v[16:17]
	v_add_f64 v[36:37], v[20:21], v[36:37]
	v_mul_f64 v[20:21], v[6:7], v[14:15]
	v_mul_f64 v[14:15], v[4:5], v[14:15]
	v_fmac_f64_e32 v[46:47], v[22:23], v[12:13]
	v_fma_f64 v[20:21], v[4:5], v[12:13], -v[20:21]
	v_fmac_f64_e32 v[14:15], v[6:7], v[12:13]
	v_mul_f64 v[12:13], v[6:7], v[18:19]
	v_mul_f64 v[18:19], v[4:5], v[18:19]
	v_add_f64 v[40:41], v[40:41], v[20:21]
	v_add_f64 v[42:43], v[14:15], v[42:43]
	v_fma_f64 v[20:21], v[4:5], v[16:17], -v[12:13]
	v_fmac_f64_e32 v[18:19], v[6:7], v[16:17]
	ds_read_b128 v[4:7], v35 offset:96
	ds_read_b128 v[12:15], v34 offset:3072
	v_add_f64 v[46:47], v[46:47], v[50:51]
	v_add_f64 v[38:39], v[38:39], v[48:49]
	;; [unrolled: 1-line block ×4, first 2 shown]
	ds_read_b128 v[16:19], v34 offset:3328
	ds_read_b128 v[20:23], v35 offset:112
	s_waitcnt lgkmcnt(2)
	v_mul_f64 v[24:25], v[6:7], v[14:15]
	v_fma_f64 v[24:25], v[4:5], v[12:13], -v[24:25]
	v_mul_f64 v[26:27], v[4:5], v[14:15]
	v_fmac_f64_e32 v[26:27], v[6:7], v[12:13]
	v_add_f64 v[44:45], v[44:45], v[24:25]
	s_waitcnt lgkmcnt(1)
	v_mul_f64 v[24:25], v[6:7], v[18:19]
	v_add_f64 v[46:47], v[26:27], v[46:47]
	v_fma_f64 v[52:53], v[4:5], v[16:17], -v[24:25]
	ds_read_b128 v[24:27], v35 offset:2144
	v_mul_f64 v[4:5], v[4:5], v[18:19]
	v_fmac_f64_e32 v[4:5], v[6:7], v[16:17]
	v_add_f64 v[54:55], v[4:5], v[36:37]
	ds_read_b128 v[4:7], v35 offset:2160
	s_waitcnt lgkmcnt(1)
	v_mul_f64 v[36:37], v[26:27], v[14:15]
	v_mul_f64 v[14:15], v[24:25], v[14:15]
	v_fma_f64 v[36:37], v[24:25], v[12:13], -v[36:37]
	v_fmac_f64_e32 v[14:15], v[26:27], v[12:13]
	v_mul_f64 v[12:13], v[26:27], v[18:19]
	v_add_f64 v[40:41], v[40:41], v[36:37]
	v_add_f64 v[42:43], v[14:15], v[42:43]
	v_fma_f64 v[36:37], v[24:25], v[16:17], -v[12:13]
	ds_read_b128 v[12:15], v34 offset:3584
	v_add_f64 v[52:53], v[38:39], v[52:53]
	v_add_f64 v[48:49], v[48:49], v[36:37]
	ds_read_b128 v[36:39], v34 offset:3840
	v_mul_f64 v[18:19], v[24:25], v[18:19]
	v_fmac_f64_e32 v[18:19], v[26:27], v[16:17]
	s_waitcnt lgkmcnt(1)
	v_mul_f64 v[16:17], v[22:23], v[14:15]
	v_fma_f64 v[16:17], v[20:21], v[12:13], -v[16:17]
	v_add_f64 v[50:51], v[18:19], v[50:51]
	v_mul_f64 v[18:19], v[20:21], v[14:15]
	v_add_f64 v[24:25], v[44:45], v[16:17]
	s_waitcnt lgkmcnt(0)
	v_mul_f64 v[16:17], v[22:23], v[38:39]
	v_fmac_f64_e32 v[18:19], v[22:23], v[12:13]
	v_fma_f64 v[16:17], v[20:21], v[36:37], -v[16:17]
	v_add_f64 v[26:27], v[18:19], v[46:47]
	v_mul_f64 v[18:19], v[20:21], v[38:39]
	v_add_f64 v[20:21], v[52:53], v[16:17]
	v_mul_f64 v[16:17], v[6:7], v[14:15]
	v_mul_f64 v[14:15], v[4:5], v[14:15]
	v_fma_f64 v[16:17], v[4:5], v[12:13], -v[16:17]
	v_fmac_f64_e32 v[14:15], v[6:7], v[12:13]
	v_mul_f64 v[12:13], v[6:7], v[38:39]
	v_fma_f64 v[12:13], v[4:5], v[36:37], -v[12:13]
	v_mul_f64 v[4:5], v[4:5], v[38:39]
	v_fmac_f64_e32 v[18:19], v[22:23], v[36:37]
	v_fmac_f64_e32 v[4:5], v[6:7], v[36:37]
	v_add_f64 v[22:23], v[18:19], v[54:55]
	v_add_f64 v[16:17], v[40:41], v[16:17]
	;; [unrolled: 1-line block ×5, first 2 shown]
	v_lshl_add_u64 v[8:9], v[8:9], 0, s[20:21]
	s_cmp_lt_i32 s27, s7
	v_lshl_add_u64 v[10:11], v[10:11], 0, s[20:21]
	s_barrier
	s_cbranch_scc0 .LBB141_14
.LBB141_8:                              ; =>This Inner Loop Header: Depth=1
	v_add_u32_e32 v4, s27, v31
	v_cmp_gt_i32_e64 s[2:3], s7, v4
	s_and_b64 s[22:23], vcc, s[2:3]
	v_mov_b64_e32 v[4:5], 0
	v_mov_b64_e32 v[6:7], 0
	s_and_saveexec_b64 s[2:3], s[22:23]
	s_cbranch_execz .LBB141_10
; %bb.9:                                ;   in Loop: Header=BB141_8 Depth=1
	global_load_dwordx4 v[4:7], v[8:9], off offset:-8
	s_waitcnt vmcnt(0)
	v_xor_b32_e32 v7, 0x80000000, v7
.LBB141_10:                             ;   in Loop: Header=BB141_8 Depth=1
	s_or_b64 exec, exec, s[2:3]
	ds_write_b128 v32, v[4:7]
	v_add_u32_e32 v4, s27, v30
	v_cmp_le_i32_e64 s[2:3], s7, v4
	s_or_b64 s[2:3], s[2:3], s[8:9]
	s_and_saveexec_b64 s[22:23], s[2:3]
	s_xor_b64 s[2:3], exec, s[22:23]
; %bb.11:                               ;   in Loop: Header=BB141_8 Depth=1
	ds_write_b128 v33, v[0:3]
; %bb.12:                               ;   in Loop: Header=BB141_8 Depth=1
	s_andn2_saveexec_b64 s[2:3], s[2:3]
	s_cbranch_execz .LBB141_7
; %bb.13:                               ;   in Loop: Header=BB141_8 Depth=1
	global_load_dwordx4 v[4:7], v[10:11], off
	s_waitcnt vmcnt(0)
	ds_write2_b64 v33, v[4:5], v[6:7] offset1:1
	s_branch .LBB141_7
.LBB141_14:
	s_load_dwordx2 s[2:3], s[0:1], 0x68
	s_load_dword s20, s[0:1], 0x60
	v_add_u32_e32 v10, s5, v28
	v_add_u32_e32 v4, s26, v29
	v_cmp_le_i32_e32 vcc, v10, v4
	s_waitcnt lgkmcnt(0)
	s_mul_i32 s1, s3, s4
	s_mul_hi_u32 s3, s2, s4
	s_mul_i32 s0, s2, s4
	s_add_i32 s1, s3, s1
	s_lshl_b64 s[0:1], s[0:1], 4
	s_add_u32 s8, s14, s0
	s_addc_u32 s9, s15, s1
	v_cmp_neq_f64_e64 s[0:1], s[10:11], 0
	s_xor_b64 s[4:5], s[24:25], -1
	v_mad_i64_i32 v[0:1], s[2:3], v10, s20, 0
	s_or_b64 s[0:1], s[0:1], s[4:5]
	v_lshl_add_u64 v[8:9], v[0:1], 4, s[8:9]
	v_cmp_gt_i32_e64 s[2:3], s6, v4
	v_cndmask_b32_e64 v0, 0, 1, s[0:1]
	s_and_b64 s[14:15], vcc, s[2:3]
	v_ashrrev_i32_e32 v5, 31, v4
	v_cmp_ne_u32_e64 s[0:1], 1, v0
	s_and_saveexec_b64 s[4:5], s[14:15]
	s_cbranch_execz .LBB141_18
; %bb.15:
	v_mul_f64 v[0:1], s[18:19], v[26:27]
	v_mul_f64 v[2:3], s[16:17], v[26:27]
	v_fma_f64 v[0:1], s[16:17], v[24:25], -v[0:1]
	v_fmac_f64_e32 v[2:3], s[18:19], v[24:25]
	s_and_b64 vcc, exec, s[0:1]
	v_lshl_add_u64 v[6:7], v[4:5], 4, v[8:9]
	s_cbranch_vccnz .LBB141_17
; %bb.16:
	global_load_dwordx4 v[24:27], v[6:7], off
	s_waitcnt vmcnt(0)
	v_mul_f64 v[28:29], s[12:13], v[26:27]
	v_mul_f64 v[26:27], s[10:11], v[26:27]
	v_fma_f64 v[28:29], s[10:11], v[24:25], -v[28:29]
	v_fmac_f64_e32 v[26:27], s[12:13], v[24:25]
	v_add_f64 v[0:1], v[0:1], v[28:29]
	v_add_f64 v[2:3], v[2:3], v[26:27]
.LBB141_17:
	global_store_dwordx4 v[6:7], v[0:3], off
.LBB141_18:
	s_or_b64 exec, exec, s[4:5]
	v_add_u32_e32 v6, 16, v4
	v_cmp_le_i32_e32 vcc, v10, v6
	v_cmp_gt_i32_e64 s[4:5], s6, v6
	s_and_b64 s[14:15], vcc, s[4:5]
	v_ashrrev_i32_e32 v7, 31, v6
	s_and_saveexec_b64 s[6:7], s[14:15]
	s_cbranch_execz .LBB141_22
; %bb.19:
	v_mul_f64 v[0:1], s[18:19], v[22:23]
	v_mul_f64 v[2:3], s[16:17], v[22:23]
	v_fma_f64 v[0:1], s[16:17], v[20:21], -v[0:1]
	v_fmac_f64_e32 v[2:3], s[18:19], v[20:21]
	s_and_b64 vcc, exec, s[0:1]
	v_lshl_add_u64 v[8:9], v[6:7], 4, v[8:9]
	s_cbranch_vccnz .LBB141_21
; %bb.20:
	global_load_dwordx4 v[20:23], v[8:9], off
	s_waitcnt vmcnt(0)
	v_mul_f64 v[24:25], s[12:13], v[22:23]
	v_mul_f64 v[22:23], s[10:11], v[22:23]
	v_fma_f64 v[24:25], s[10:11], v[20:21], -v[24:25]
	v_fmac_f64_e32 v[22:23], s[12:13], v[20:21]
	v_add_f64 v[0:1], v[0:1], v[24:25]
	v_add_f64 v[2:3], v[2:3], v[22:23]
.LBB141_21:
	global_store_dwordx4 v[8:9], v[0:3], off
.LBB141_22:
	s_or_b64 exec, exec, s[6:7]
	v_add_u32_e32 v10, 16, v10
	v_mad_i64_i32 v[0:1], s[6:7], v10, s20, 0
	v_cmp_le_i32_e32 vcc, v10, v4
	v_lshl_add_u64 v[8:9], v[0:1], 4, s[8:9]
	s_and_b64 s[6:7], vcc, s[2:3]
	s_and_saveexec_b64 s[2:3], s[6:7]
	s_cbranch_execz .LBB141_26
; %bb.23:
	v_mul_f64 v[0:1], s[18:19], v[18:19]
	v_mul_f64 v[2:3], s[16:17], v[18:19]
	v_fma_f64 v[0:1], s[16:17], v[16:17], -v[0:1]
	v_fmac_f64_e32 v[2:3], s[18:19], v[16:17]
	s_and_b64 vcc, exec, s[0:1]
	v_lshl_add_u64 v[4:5], v[4:5], 4, v[8:9]
	s_cbranch_vccnz .LBB141_25
; %bb.24:
	global_load_dwordx4 v[16:19], v[4:5], off
	s_waitcnt vmcnt(0)
	v_mul_f64 v[20:21], s[12:13], v[18:19]
	v_mul_f64 v[18:19], s[10:11], v[18:19]
	v_fma_f64 v[20:21], s[10:11], v[16:17], -v[20:21]
	v_fmac_f64_e32 v[18:19], s[12:13], v[16:17]
	v_add_f64 v[0:1], v[0:1], v[20:21]
	v_add_f64 v[2:3], v[2:3], v[18:19]
.LBB141_25:
	global_store_dwordx4 v[4:5], v[0:3], off
.LBB141_26:
	s_or_b64 exec, exec, s[2:3]
	v_cmp_le_i32_e32 vcc, v10, v6
	s_and_b64 s[2:3], vcc, s[4:5]
	s_and_saveexec_b64 s[4:5], s[2:3]
	s_cbranch_execz .LBB141_30
; %bb.27:
	v_mul_f64 v[0:1], s[18:19], v[12:13]
	v_mul_f64 v[2:3], s[16:17], v[12:13]
	v_fma_f64 v[0:1], s[16:17], v[14:15], -v[0:1]
	v_fmac_f64_e32 v[2:3], s[18:19], v[14:15]
	s_and_b64 vcc, exec, s[0:1]
	v_lshl_add_u64 v[4:5], v[6:7], 4, v[8:9]
	s_cbranch_vccnz .LBB141_29
; %bb.28:
	global_load_dwordx4 v[6:9], v[4:5], off
	s_waitcnt vmcnt(0)
	v_mul_f64 v[10:11], s[12:13], v[8:9]
	v_mul_f64 v[8:9], s[10:11], v[8:9]
	v_fma_f64 v[10:11], s[10:11], v[6:7], -v[10:11]
	v_fmac_f64_e32 v[8:9], s[12:13], v[6:7]
	v_add_f64 v[0:1], v[0:1], v[10:11]
	v_add_f64 v[2:3], v[2:3], v[8:9]
.LBB141_29:
	global_store_dwordx4 v[4:5], v[0:3], off
.LBB141_30:
	s_endpgm
	.section	.rodata,"a",@progbits
	.p2align	6, 0x0
	.amdhsa_kernel _ZL29rocblas_internal_gemmt_kernelIiLi16ELi32ELi8ELc67ELc78ELc76ELb1ELb0E19rocblas_complex_numIdES1_PKS1_PS1_EviT_T9_T10_S5_lS7_S5_lS6_T11_S5_li
		.amdhsa_group_segment_fixed_size 8192
		.amdhsa_private_segment_fixed_size 0
		.amdhsa_kernarg_size 116
		.amdhsa_user_sgpr_count 2
		.amdhsa_user_sgpr_dispatch_ptr 0
		.amdhsa_user_sgpr_queue_ptr 0
		.amdhsa_user_sgpr_kernarg_segment_ptr 1
		.amdhsa_user_sgpr_dispatch_id 0
		.amdhsa_user_sgpr_kernarg_preload_length 0
		.amdhsa_user_sgpr_kernarg_preload_offset 0
		.amdhsa_user_sgpr_private_segment_size 0
		.amdhsa_uses_dynamic_stack 0
		.amdhsa_enable_private_segment 0
		.amdhsa_system_sgpr_workgroup_id_x 1
		.amdhsa_system_sgpr_workgroup_id_y 1
		.amdhsa_system_sgpr_workgroup_id_z 1
		.amdhsa_system_sgpr_workgroup_info 0
		.amdhsa_system_vgpr_workitem_id 1
		.amdhsa_next_free_vgpr 62
		.amdhsa_next_free_sgpr 34
		.amdhsa_accum_offset 64
		.amdhsa_reserve_vcc 1
		.amdhsa_float_round_mode_32 0
		.amdhsa_float_round_mode_16_64 0
		.amdhsa_float_denorm_mode_32 3
		.amdhsa_float_denorm_mode_16_64 3
		.amdhsa_dx10_clamp 1
		.amdhsa_ieee_mode 1
		.amdhsa_fp16_overflow 0
		.amdhsa_tg_split 0
		.amdhsa_exception_fp_ieee_invalid_op 0
		.amdhsa_exception_fp_denorm_src 0
		.amdhsa_exception_fp_ieee_div_zero 0
		.amdhsa_exception_fp_ieee_overflow 0
		.amdhsa_exception_fp_ieee_underflow 0
		.amdhsa_exception_fp_ieee_inexact 0
		.amdhsa_exception_int_div_zero 0
	.end_amdhsa_kernel
	.section	.text._ZL29rocblas_internal_gemmt_kernelIiLi16ELi32ELi8ELc67ELc78ELc76ELb1ELb0E19rocblas_complex_numIdES1_PKS1_PS1_EviT_T9_T10_S5_lS7_S5_lS6_T11_S5_li,"axG",@progbits,_ZL29rocblas_internal_gemmt_kernelIiLi16ELi32ELi8ELc67ELc78ELc76ELb1ELb0E19rocblas_complex_numIdES1_PKS1_PS1_EviT_T9_T10_S5_lS7_S5_lS6_T11_S5_li,comdat
.Lfunc_end141:
	.size	_ZL29rocblas_internal_gemmt_kernelIiLi16ELi32ELi8ELc67ELc78ELc76ELb1ELb0E19rocblas_complex_numIdES1_PKS1_PS1_EviT_T9_T10_S5_lS7_S5_lS6_T11_S5_li, .Lfunc_end141-_ZL29rocblas_internal_gemmt_kernelIiLi16ELi32ELi8ELc67ELc78ELc76ELb1ELb0E19rocblas_complex_numIdES1_PKS1_PS1_EviT_T9_T10_S5_lS7_S5_lS6_T11_S5_li
                                        ; -- End function
	.set _ZL29rocblas_internal_gemmt_kernelIiLi16ELi32ELi8ELc67ELc78ELc76ELb1ELb0E19rocblas_complex_numIdES1_PKS1_PS1_EviT_T9_T10_S5_lS7_S5_lS6_T11_S5_li.num_vgpr, 62
	.set _ZL29rocblas_internal_gemmt_kernelIiLi16ELi32ELi8ELc67ELc78ELc76ELb1ELb0E19rocblas_complex_numIdES1_PKS1_PS1_EviT_T9_T10_S5_lS7_S5_lS6_T11_S5_li.num_agpr, 0
	.set _ZL29rocblas_internal_gemmt_kernelIiLi16ELi32ELi8ELc67ELc78ELc76ELb1ELb0E19rocblas_complex_numIdES1_PKS1_PS1_EviT_T9_T10_S5_lS7_S5_lS6_T11_S5_li.numbered_sgpr, 34
	.set _ZL29rocblas_internal_gemmt_kernelIiLi16ELi32ELi8ELc67ELc78ELc76ELb1ELb0E19rocblas_complex_numIdES1_PKS1_PS1_EviT_T9_T10_S5_lS7_S5_lS6_T11_S5_li.num_named_barrier, 0
	.set _ZL29rocblas_internal_gemmt_kernelIiLi16ELi32ELi8ELc67ELc78ELc76ELb1ELb0E19rocblas_complex_numIdES1_PKS1_PS1_EviT_T9_T10_S5_lS7_S5_lS6_T11_S5_li.private_seg_size, 0
	.set _ZL29rocblas_internal_gemmt_kernelIiLi16ELi32ELi8ELc67ELc78ELc76ELb1ELb0E19rocblas_complex_numIdES1_PKS1_PS1_EviT_T9_T10_S5_lS7_S5_lS6_T11_S5_li.uses_vcc, 1
	.set _ZL29rocblas_internal_gemmt_kernelIiLi16ELi32ELi8ELc67ELc78ELc76ELb1ELb0E19rocblas_complex_numIdES1_PKS1_PS1_EviT_T9_T10_S5_lS7_S5_lS6_T11_S5_li.uses_flat_scratch, 0
	.set _ZL29rocblas_internal_gemmt_kernelIiLi16ELi32ELi8ELc67ELc78ELc76ELb1ELb0E19rocblas_complex_numIdES1_PKS1_PS1_EviT_T9_T10_S5_lS7_S5_lS6_T11_S5_li.has_dyn_sized_stack, 0
	.set _ZL29rocblas_internal_gemmt_kernelIiLi16ELi32ELi8ELc67ELc78ELc76ELb1ELb0E19rocblas_complex_numIdES1_PKS1_PS1_EviT_T9_T10_S5_lS7_S5_lS6_T11_S5_li.has_recursion, 0
	.set _ZL29rocblas_internal_gemmt_kernelIiLi16ELi32ELi8ELc67ELc78ELc76ELb1ELb0E19rocblas_complex_numIdES1_PKS1_PS1_EviT_T9_T10_S5_lS7_S5_lS6_T11_S5_li.has_indirect_call, 0
	.section	.AMDGPU.csdata,"",@progbits
; Kernel info:
; codeLenInByte = 3104
; TotalNumSgprs: 40
; NumVgprs: 62
; NumAgprs: 0
; TotalNumVgprs: 62
; ScratchSize: 0
; MemoryBound: 1
; FloatMode: 240
; IeeeMode: 1
; LDSByteSize: 8192 bytes/workgroup (compile time only)
; SGPRBlocks: 4
; VGPRBlocks: 7
; NumSGPRsForWavesPerEU: 40
; NumVGPRsForWavesPerEU: 62
; AccumOffset: 64
; Occupancy: 8
; WaveLimiterHint : 0
; COMPUTE_PGM_RSRC2:SCRATCH_EN: 0
; COMPUTE_PGM_RSRC2:USER_SGPR: 2
; COMPUTE_PGM_RSRC2:TRAP_HANDLER: 0
; COMPUTE_PGM_RSRC2:TGID_X_EN: 1
; COMPUTE_PGM_RSRC2:TGID_Y_EN: 1
; COMPUTE_PGM_RSRC2:TGID_Z_EN: 1
; COMPUTE_PGM_RSRC2:TIDIG_COMP_CNT: 1
; COMPUTE_PGM_RSRC3_GFX90A:ACCUM_OFFSET: 15
; COMPUTE_PGM_RSRC3_GFX90A:TG_SPLIT: 0
	.section	.text._ZL29rocblas_internal_gemmt_kernelIiLi16ELi32ELi8ELc67ELc84ELc76ELb1ELb0E19rocblas_complex_numIdES1_PKS1_PS1_EviT_T9_T10_S5_lS7_S5_lS6_T11_S5_li,"axG",@progbits,_ZL29rocblas_internal_gemmt_kernelIiLi16ELi32ELi8ELc67ELc84ELc76ELb1ELb0E19rocblas_complex_numIdES1_PKS1_PS1_EviT_T9_T10_S5_lS7_S5_lS6_T11_S5_li,comdat
	.globl	_ZL29rocblas_internal_gemmt_kernelIiLi16ELi32ELi8ELc67ELc84ELc76ELb1ELb0E19rocblas_complex_numIdES1_PKS1_PS1_EviT_T9_T10_S5_lS7_S5_lS6_T11_S5_li ; -- Begin function _ZL29rocblas_internal_gemmt_kernelIiLi16ELi32ELi8ELc67ELc84ELc76ELb1ELb0E19rocblas_complex_numIdES1_PKS1_PS1_EviT_T9_T10_S5_lS7_S5_lS6_T11_S5_li
	.p2align	8
	.type	_ZL29rocblas_internal_gemmt_kernelIiLi16ELi32ELi8ELc67ELc84ELc76ELb1ELb0E19rocblas_complex_numIdES1_PKS1_PS1_EviT_T9_T10_S5_lS7_S5_lS6_T11_S5_li,@function
_ZL29rocblas_internal_gemmt_kernelIiLi16ELi32ELi8ELc67ELc84ELc76ELb1ELb0E19rocblas_complex_numIdES1_PKS1_PS1_EviT_T9_T10_S5_lS7_S5_lS6_T11_S5_li: ; @_ZL29rocblas_internal_gemmt_kernelIiLi16ELi32ELi8ELc67ELc84ELc76ELb1ELb0E19rocblas_complex_numIdES1_PKS1_PS1_EviT_T9_T10_S5_lS7_S5_lS6_T11_S5_li
; %bb.0:
	s_load_dwordx8 s[8:15], s[0:1], 0x40
	s_load_dwordx2 s[6:7], s[0:1], 0x0
	s_load_dwordx4 s[16:19], s[0:1], 0x8
	s_mov_b64 s[20:21], 0
	s_waitcnt lgkmcnt(0)
	v_cmp_eq_f64_e64 s[22:23], s[10:11], 1.0
	v_cmp_eq_f64_e64 s[24:25], s[12:13], 0
	s_and_b64 s[22:23], s[22:23], s[24:25]
	s_andn2_b64 vcc, exec, s[22:23]
	s_mov_b64 s[22:23], -1
	s_cbranch_vccnz .LBB142_4
; %bb.1:
	s_cmp_lg_u32 s7, 0
	s_cbranch_scc0 .LBB142_3
; %bb.2:
	v_cmp_neq_f64_e64 s[20:21], s[16:17], 0
	v_cmp_neq_f64_e64 s[22:23], s[18:19], 0
	s_or_b64 s[20:21], s[20:21], s[22:23]
.LBB142_3:
	s_mov_b64 s[22:23], s[20:21]
.LBB142_4:
	s_and_b64 vcc, exec, s[22:23]
	s_cbranch_vccz .LBB142_30
; %bb.5:
	s_lshl_b32 s26, s2, 5
	s_lshl_b32 s5, s3, 5
	v_cmp_eq_f64_e64 s[2:3], s[16:17], 0
	v_cmp_eq_f64_e64 s[20:21], s[18:19], 0
	s_and_b64 s[2:3], s[2:3], s[20:21]
	s_cmp_lt_i32 s7, 1
	s_cselect_b64 s[20:21], -1, 0
	s_or_b64 s[2:3], s[2:3], s[20:21]
	v_and_b32_e32 v29, 0x3ff, v0
	v_bfe_u32 v28, v0, 10, 10
	s_mov_b32 s27, 0
	v_mov_b64_e32 v[24:25], 0
	s_and_b64 vcc, exec, s[2:3]
	v_mov_b64_e32 v[26:27], 0
	v_mov_b64_e32 v[20:21], 0
	;; [unrolled: 1-line block ×7, first 2 shown]
	s_cbranch_vccnz .LBB142_14
; %bb.6:
	v_lshl_add_u32 v0, v28, 4, v29
	v_lshrrev_b32_e32 v31, 5, v0
	v_lshrrev_b32_e32 v1, 3, v0
	v_and_b32_e32 v0, 31, v0
	s_load_dwordx4 s[20:23], s[0:1], 0x28
	s_load_dword s28, s[0:1], 0x38
	s_load_dwordx2 s[30:31], s[0:1], 0x18
	s_load_dword s33, s[0:1], 0x20
	v_or_b32_e32 v3, s26, v0
	v_and_b32_e32 v30, 7, v29
	v_cmp_gt_i32_e32 vcc, s6, v3
	v_lshlrev_b32_e32 v3, 4, v0
	v_lshl_or_b32 v32, v31, 9, v3
	v_lshlrev_b32_e32 v3, 4, v30
	v_add_u32_e32 v2, s5, v1
	v_lshl_or_b32 v1, v1, 7, v3
	v_add_u32_e32 v33, 0x1000, v1
	v_mov_b32_e32 v1, 0x1000
	v_add_u32_e32 v0, s26, v0
	v_lshl_add_u32 v35, v28, 7, v1
	s_waitcnt lgkmcnt(0)
	v_mad_i64_i32 v[0:1], s[34:35], s33, v0, 0
	s_mul_i32 s21, s21, s4
	s_mul_hi_u32 s33, s20, s4
	s_add_i32 s21, s33, s21
	s_mul_i32 s20, s20, s4
	s_lshl_b64 s[20:21], s[20:21], 4
	v_lshl_add_u64 v[4:5], v[0:1], 4, s[20:21]
	v_lshlrev_b32_e32 v0, 4, v31
	v_mov_b32_e32 v1, 0
	v_lshl_add_u64 v[4:5], v[4:5], 0, v[0:1]
	v_lshl_add_u64 v[4:5], s[30:31], 0, v[4:5]
	s_mul_i32 s9, s9, s4
	s_mul_hi_u32 s20, s8, s4
	v_lshl_add_u64 v[8:9], v[4:5], 0, 8
	s_add_i32 s9, s20, s9
	v_mad_i64_i32 v[4:5], s[20:21], s28, v30, 0
	s_mul_i32 s8, s8, s4
	v_lshlrev_b64 v[4:5], 4, v[4:5]
	v_ashrrev_i32_e32 v3, 31, v2
	v_lshl_add_u64 v[4:5], s[8:9], 4, v[4:5]
	s_ashr_i32 s29, s28, 31
	v_cmp_gt_i32_e64 s[2:3], s6, v2
	v_lshl_add_u64 v[2:3], v[2:3], 4, v[4:5]
	v_lshlrev_b32_e32 v34, 4, v29
	v_lshl_add_u64 v[10:11], s[22:23], 0, v[2:3]
	s_lshl_b64 s[8:9], s[28:29], 7
	v_mov_b64_e32 v[12:13], 0
	s_xor_b64 s[20:21], s[2:3], -1
	s_mov_b64 s[22:23], 0x80
	v_mov_b32_e32 v0, v1
	v_mov_b32_e32 v2, v1
	;; [unrolled: 1-line block ×3, first 2 shown]
	v_mov_b64_e32 v[14:15], 0
	v_mov_b64_e32 v[18:19], 0
	;; [unrolled: 1-line block ×7, first 2 shown]
	s_branch .LBB142_8
.LBB142_7:                              ;   in Loop: Header=BB142_8 Depth=1
	s_or_b64 exec, exec, s[2:3]
	s_waitcnt lgkmcnt(0)
	s_barrier
	ds_read_b128 v[4:7], v34
	ds_read_b128 v[36:39], v35
	ds_read_b128 v[40:43], v35 offset:16
	ds_read_b128 v[44:47], v35 offset:32
	;; [unrolled: 1-line block ×4, first 2 shown]
	s_waitcnt lgkmcnt(4)
	v_mul_f64 v[56:57], v[38:39], v[6:7]
	v_fma_f64 v[56:57], v[36:37], v[4:5], -v[56:57]
	v_mul_f64 v[58:59], v[36:37], v[6:7]
	v_fmac_f64_e32 v[58:59], v[38:39], v[4:5]
	v_add_f64 v[56:57], v[24:25], v[56:57]
	s_waitcnt lgkmcnt(0)
	v_mul_f64 v[24:25], v[38:39], v[54:55]
	v_add_f64 v[58:59], v[58:59], v[26:27]
	v_fma_f64 v[60:61], v[36:37], v[52:53], -v[24:25]
	ds_read_b128 v[24:27], v35 offset:2048
	v_mul_f64 v[36:37], v[36:37], v[54:55]
	v_fmac_f64_e32 v[36:37], v[38:39], v[52:53]
	v_add_f64 v[38:39], v[20:21], v[60:61]
	v_add_f64 v[36:37], v[36:37], v[22:23]
	ds_read_b128 v[20:23], v35 offset:2064
	s_waitcnt lgkmcnt(1)
	v_mul_f64 v[60:61], v[26:27], v[6:7]
	v_mul_f64 v[6:7], v[24:25], v[6:7]
	v_fma_f64 v[60:61], v[24:25], v[4:5], -v[60:61]
	v_fmac_f64_e32 v[6:7], v[26:27], v[4:5]
	v_mul_f64 v[4:5], v[26:27], v[54:55]
	v_add_f64 v[16:17], v[16:17], v[60:61]
	v_add_f64 v[18:19], v[6:7], v[18:19]
	v_fma_f64 v[60:61], v[24:25], v[52:53], -v[4:5]
	v_mul_f64 v[24:25], v[24:25], v[54:55]
	ds_read_b128 v[4:7], v34 offset:512
	v_fmac_f64_e32 v[24:25], v[26:27], v[52:53]
	v_add_f64 v[26:27], v[14:15], v[60:61]
	v_add_f64 v[24:25], v[24:25], v[12:13]
	ds_read_b128 v[12:15], v34 offset:768
	s_waitcnt lgkmcnt(1)
	v_mul_f64 v[52:53], v[42:43], v[6:7]
	v_fma_f64 v[52:53], v[40:41], v[4:5], -v[52:53]
	v_add_f64 v[52:53], v[56:57], v[52:53]
	v_mul_f64 v[54:55], v[40:41], v[6:7]
	s_waitcnt lgkmcnt(0)
	v_mul_f64 v[56:57], v[42:43], v[14:15]
	v_fma_f64 v[56:57], v[40:41], v[12:13], -v[56:57]
	v_mul_f64 v[40:41], v[40:41], v[14:15]
	v_fmac_f64_e32 v[40:41], v[42:43], v[12:13]
	v_add_f64 v[36:37], v[40:41], v[36:37]
	v_mul_f64 v[40:41], v[22:23], v[6:7]
	v_mul_f64 v[6:7], v[20:21], v[6:7]
	v_fmac_f64_e32 v[54:55], v[42:43], v[4:5]
	v_fma_f64 v[40:41], v[20:21], v[4:5], -v[40:41]
	v_fmac_f64_e32 v[6:7], v[22:23], v[4:5]
	v_mul_f64 v[4:5], v[22:23], v[14:15]
	v_add_f64 v[40:41], v[16:17], v[40:41]
	v_add_f64 v[42:43], v[6:7], v[18:19]
	v_fma_f64 v[16:17], v[20:21], v[12:13], -v[4:5]
	v_mul_f64 v[14:15], v[20:21], v[14:15]
	ds_read_b128 v[4:7], v34 offset:1024
	v_fmac_f64_e32 v[14:15], v[22:23], v[12:13]
	v_add_f64 v[24:25], v[14:15], v[24:25]
	ds_read_b128 v[12:15], v34 offset:1280
	v_add_f64 v[26:27], v[26:27], v[16:17]
	s_waitcnt lgkmcnt(1)
	v_mul_f64 v[16:17], v[46:47], v[6:7]
	v_fma_f64 v[16:17], v[44:45], v[4:5], -v[16:17]
	v_mul_f64 v[18:19], v[44:45], v[6:7]
	v_add_f64 v[54:55], v[54:55], v[58:59]
	v_fmac_f64_e32 v[18:19], v[46:47], v[4:5]
	v_add_f64 v[52:53], v[52:53], v[16:17]
	s_waitcnt lgkmcnt(0)
	v_mul_f64 v[16:17], v[46:47], v[14:15]
	v_add_f64 v[54:55], v[18:19], v[54:55]
	v_fma_f64 v[20:21], v[44:45], v[12:13], -v[16:17]
	ds_read_b128 v[16:19], v35 offset:2080
	v_mul_f64 v[22:23], v[44:45], v[14:15]
	v_add_f64 v[38:39], v[38:39], v[56:57]
	v_fmac_f64_e32 v[22:23], v[46:47], v[12:13]
	v_add_f64 v[38:39], v[38:39], v[20:21]
	v_add_f64 v[36:37], v[22:23], v[36:37]
	ds_read_b128 v[20:23], v35 offset:2096
	s_waitcnt lgkmcnt(1)
	v_mul_f64 v[44:45], v[18:19], v[6:7]
	v_mul_f64 v[6:7], v[16:17], v[6:7]
	v_fma_f64 v[44:45], v[16:17], v[4:5], -v[44:45]
	v_fmac_f64_e32 v[6:7], v[18:19], v[4:5]
	v_mul_f64 v[4:5], v[18:19], v[14:15]
	v_mul_f64 v[14:15], v[16:17], v[14:15]
	v_fmac_f64_e32 v[14:15], v[18:19], v[12:13]
	v_add_f64 v[40:41], v[40:41], v[44:45]
	v_add_f64 v[42:43], v[6:7], v[42:43]
	v_fma_f64 v[44:45], v[16:17], v[12:13], -v[4:5]
	ds_read_b128 v[4:7], v34 offset:1536
	v_add_f64 v[18:19], v[14:15], v[24:25]
	ds_read_b128 v[12:15], v34 offset:1792
	v_add_f64 v[16:17], v[26:27], v[44:45]
	s_add_i32 s27, s27, 8
	s_waitcnt lgkmcnt(1)
	v_mul_f64 v[24:25], v[50:51], v[6:7]
	v_mul_f64 v[26:27], v[48:49], v[6:7]
	s_waitcnt lgkmcnt(0)
	v_mul_f64 v[44:45], v[50:51], v[14:15]
	v_fma_f64 v[44:45], v[48:49], v[12:13], -v[44:45]
	v_add_f64 v[38:39], v[38:39], v[44:45]
	v_mul_f64 v[44:45], v[22:23], v[6:7]
	v_mul_f64 v[6:7], v[20:21], v[6:7]
	v_fma_f64 v[24:25], v[48:49], v[4:5], -v[24:25]
	v_fmac_f64_e32 v[26:27], v[50:51], v[4:5]
	v_fma_f64 v[44:45], v[20:21], v[4:5], -v[44:45]
	v_fmac_f64_e32 v[6:7], v[22:23], v[4:5]
	v_mul_f64 v[4:5], v[22:23], v[14:15]
	v_mul_f64 v[46:47], v[48:49], v[14:15]
	v_add_f64 v[40:41], v[40:41], v[44:45]
	v_fma_f64 v[44:45], v[20:21], v[12:13], -v[4:5]
	v_mul_f64 v[20:21], v[20:21], v[14:15]
	v_fmac_f64_e32 v[46:47], v[50:51], v[12:13]
	v_add_f64 v[42:43], v[6:7], v[42:43]
	v_fmac_f64_e32 v[20:21], v[22:23], v[12:13]
	ds_read_b128 v[4:7], v35 offset:64
	ds_read_b128 v[12:15], v34 offset:2048
	v_add_f64 v[36:37], v[46:47], v[36:37]
	v_add_f64 v[44:45], v[16:17], v[44:45]
	;; [unrolled: 1-line block ×3, first 2 shown]
	ds_read_b128 v[16:19], v34 offset:2304
	ds_read_b128 v[20:23], v35 offset:80
	s_waitcnt lgkmcnt(2)
	v_mul_f64 v[48:49], v[6:7], v[14:15]
	v_add_f64 v[24:25], v[52:53], v[24:25]
	v_fma_f64 v[48:49], v[4:5], v[12:13], -v[48:49]
	v_mul_f64 v[50:51], v[4:5], v[14:15]
	v_add_f64 v[26:27], v[26:27], v[54:55]
	v_fmac_f64_e32 v[50:51], v[6:7], v[12:13]
	v_add_f64 v[48:49], v[24:25], v[48:49]
	s_waitcnt lgkmcnt(1)
	v_mul_f64 v[24:25], v[6:7], v[18:19]
	v_add_f64 v[50:51], v[50:51], v[26:27]
	v_fma_f64 v[52:53], v[4:5], v[16:17], -v[24:25]
	ds_read_b128 v[24:27], v35 offset:2112
	v_mul_f64 v[4:5], v[4:5], v[18:19]
	v_fmac_f64_e32 v[4:5], v[6:7], v[16:17]
	v_add_f64 v[38:39], v[38:39], v[52:53]
	v_add_f64 v[36:37], v[4:5], v[36:37]
	ds_read_b128 v[4:7], v35 offset:2128
	s_waitcnt lgkmcnt(1)
	v_mul_f64 v[52:53], v[26:27], v[14:15]
	v_mul_f64 v[14:15], v[24:25], v[14:15]
	v_fma_f64 v[52:53], v[24:25], v[12:13], -v[52:53]
	v_fmac_f64_e32 v[14:15], v[26:27], v[12:13]
	v_mul_f64 v[12:13], v[26:27], v[18:19]
	v_add_f64 v[40:41], v[40:41], v[52:53]
	v_add_f64 v[42:43], v[14:15], v[42:43]
	v_fma_f64 v[52:53], v[24:25], v[16:17], -v[12:13]
	v_mul_f64 v[18:19], v[24:25], v[18:19]
	ds_read_b128 v[12:15], v34 offset:2560
	v_fmac_f64_e32 v[18:19], v[26:27], v[16:17]
	v_add_f64 v[26:27], v[18:19], v[46:47]
	ds_read_b128 v[16:19], v34 offset:2816
	v_add_f64 v[24:25], v[44:45], v[52:53]
	s_waitcnt lgkmcnt(1)
	v_mul_f64 v[44:45], v[22:23], v[14:15]
	v_fma_f64 v[44:45], v[20:21], v[12:13], -v[44:45]
	v_add_f64 v[44:45], v[48:49], v[44:45]
	s_waitcnt lgkmcnt(0)
	v_mul_f64 v[48:49], v[22:23], v[18:19]
	v_mul_f64 v[46:47], v[20:21], v[14:15]
	v_fma_f64 v[48:49], v[20:21], v[16:17], -v[48:49]
	v_mul_f64 v[20:21], v[20:21], v[18:19]
	v_fmac_f64_e32 v[20:21], v[22:23], v[16:17]
	v_add_f64 v[36:37], v[20:21], v[36:37]
	v_mul_f64 v[20:21], v[6:7], v[14:15]
	v_mul_f64 v[14:15], v[4:5], v[14:15]
	v_fmac_f64_e32 v[46:47], v[22:23], v[12:13]
	v_fma_f64 v[20:21], v[4:5], v[12:13], -v[20:21]
	v_fmac_f64_e32 v[14:15], v[6:7], v[12:13]
	v_mul_f64 v[12:13], v[6:7], v[18:19]
	v_mul_f64 v[18:19], v[4:5], v[18:19]
	v_add_f64 v[40:41], v[40:41], v[20:21]
	v_add_f64 v[42:43], v[14:15], v[42:43]
	v_fma_f64 v[20:21], v[4:5], v[16:17], -v[12:13]
	v_fmac_f64_e32 v[18:19], v[6:7], v[16:17]
	ds_read_b128 v[4:7], v35 offset:96
	ds_read_b128 v[12:15], v34 offset:3072
	v_add_f64 v[46:47], v[46:47], v[50:51]
	v_add_f64 v[38:39], v[38:39], v[48:49]
	;; [unrolled: 1-line block ×4, first 2 shown]
	ds_read_b128 v[16:19], v34 offset:3328
	ds_read_b128 v[20:23], v35 offset:112
	s_waitcnt lgkmcnt(2)
	v_mul_f64 v[24:25], v[6:7], v[14:15]
	v_fma_f64 v[24:25], v[4:5], v[12:13], -v[24:25]
	v_mul_f64 v[26:27], v[4:5], v[14:15]
	v_fmac_f64_e32 v[26:27], v[6:7], v[12:13]
	v_add_f64 v[44:45], v[44:45], v[24:25]
	s_waitcnt lgkmcnt(1)
	v_mul_f64 v[24:25], v[6:7], v[18:19]
	v_add_f64 v[46:47], v[26:27], v[46:47]
	v_fma_f64 v[52:53], v[4:5], v[16:17], -v[24:25]
	ds_read_b128 v[24:27], v35 offset:2144
	v_mul_f64 v[4:5], v[4:5], v[18:19]
	v_fmac_f64_e32 v[4:5], v[6:7], v[16:17]
	v_add_f64 v[54:55], v[4:5], v[36:37]
	ds_read_b128 v[4:7], v35 offset:2160
	s_waitcnt lgkmcnt(1)
	v_mul_f64 v[36:37], v[26:27], v[14:15]
	v_mul_f64 v[14:15], v[24:25], v[14:15]
	v_fma_f64 v[36:37], v[24:25], v[12:13], -v[36:37]
	v_fmac_f64_e32 v[14:15], v[26:27], v[12:13]
	v_mul_f64 v[12:13], v[26:27], v[18:19]
	v_add_f64 v[40:41], v[40:41], v[36:37]
	v_add_f64 v[42:43], v[14:15], v[42:43]
	v_fma_f64 v[36:37], v[24:25], v[16:17], -v[12:13]
	ds_read_b128 v[12:15], v34 offset:3584
	v_add_f64 v[52:53], v[38:39], v[52:53]
	v_add_f64 v[48:49], v[48:49], v[36:37]
	ds_read_b128 v[36:39], v34 offset:3840
	v_mul_f64 v[18:19], v[24:25], v[18:19]
	v_fmac_f64_e32 v[18:19], v[26:27], v[16:17]
	s_waitcnt lgkmcnt(1)
	v_mul_f64 v[16:17], v[22:23], v[14:15]
	v_fma_f64 v[16:17], v[20:21], v[12:13], -v[16:17]
	v_add_f64 v[50:51], v[18:19], v[50:51]
	v_mul_f64 v[18:19], v[20:21], v[14:15]
	v_add_f64 v[24:25], v[44:45], v[16:17]
	s_waitcnt lgkmcnt(0)
	v_mul_f64 v[16:17], v[22:23], v[38:39]
	v_fmac_f64_e32 v[18:19], v[22:23], v[12:13]
	v_fma_f64 v[16:17], v[20:21], v[36:37], -v[16:17]
	v_add_f64 v[26:27], v[18:19], v[46:47]
	v_mul_f64 v[18:19], v[20:21], v[38:39]
	v_add_f64 v[20:21], v[52:53], v[16:17]
	v_mul_f64 v[16:17], v[6:7], v[14:15]
	v_mul_f64 v[14:15], v[4:5], v[14:15]
	v_fma_f64 v[16:17], v[4:5], v[12:13], -v[16:17]
	v_fmac_f64_e32 v[14:15], v[6:7], v[12:13]
	v_mul_f64 v[12:13], v[6:7], v[38:39]
	v_fma_f64 v[12:13], v[4:5], v[36:37], -v[12:13]
	v_mul_f64 v[4:5], v[4:5], v[38:39]
	v_fmac_f64_e32 v[18:19], v[22:23], v[36:37]
	v_fmac_f64_e32 v[4:5], v[6:7], v[36:37]
	v_add_f64 v[22:23], v[18:19], v[54:55]
	v_add_f64 v[16:17], v[40:41], v[16:17]
	;; [unrolled: 1-line block ×5, first 2 shown]
	v_lshl_add_u64 v[8:9], v[8:9], 0, s[22:23]
	s_cmp_lt_i32 s27, s7
	v_lshl_add_u64 v[10:11], v[10:11], 0, s[8:9]
	s_barrier
	s_cbranch_scc0 .LBB142_14
.LBB142_8:                              ; =>This Inner Loop Header: Depth=1
	v_add_u32_e32 v4, s27, v31
	v_cmp_gt_i32_e64 s[2:3], s7, v4
	s_and_b64 s[28:29], vcc, s[2:3]
	v_mov_b64_e32 v[4:5], 0
	v_mov_b64_e32 v[6:7], 0
	s_and_saveexec_b64 s[2:3], s[28:29]
	s_cbranch_execz .LBB142_10
; %bb.9:                                ;   in Loop: Header=BB142_8 Depth=1
	global_load_dwordx4 v[4:7], v[8:9], off offset:-8
	s_waitcnt vmcnt(0)
	v_xor_b32_e32 v7, 0x80000000, v7
.LBB142_10:                             ;   in Loop: Header=BB142_8 Depth=1
	s_or_b64 exec, exec, s[2:3]
	ds_write_b128 v32, v[4:7]
	v_add_u32_e32 v4, s27, v30
	v_cmp_le_i32_e64 s[2:3], s7, v4
	s_or_b64 s[2:3], s[2:3], s[20:21]
	s_and_saveexec_b64 s[28:29], s[2:3]
	s_xor_b64 s[2:3], exec, s[28:29]
; %bb.11:                               ;   in Loop: Header=BB142_8 Depth=1
	ds_write_b128 v33, v[0:3]
; %bb.12:                               ;   in Loop: Header=BB142_8 Depth=1
	s_andn2_saveexec_b64 s[2:3], s[2:3]
	s_cbranch_execz .LBB142_7
; %bb.13:                               ;   in Loop: Header=BB142_8 Depth=1
	global_load_dwordx4 v[4:7], v[10:11], off
	s_waitcnt vmcnt(0)
	ds_write2_b64 v33, v[4:5], v[6:7] offset1:1
	s_branch .LBB142_7
.LBB142_14:
	s_load_dwordx2 s[2:3], s[0:1], 0x68
	s_load_dword s20, s[0:1], 0x60
	v_add_u32_e32 v10, s5, v28
	v_add_u32_e32 v4, s26, v29
	v_cmp_le_i32_e32 vcc, v10, v4
	s_waitcnt lgkmcnt(0)
	s_mul_i32 s1, s3, s4
	s_mul_hi_u32 s3, s2, s4
	s_mul_i32 s0, s2, s4
	s_add_i32 s1, s3, s1
	s_lshl_b64 s[0:1], s[0:1], 4
	s_add_u32 s8, s14, s0
	s_addc_u32 s9, s15, s1
	v_cmp_neq_f64_e64 s[0:1], s[10:11], 0
	s_xor_b64 s[4:5], s[24:25], -1
	v_mad_i64_i32 v[0:1], s[2:3], v10, s20, 0
	s_or_b64 s[0:1], s[0:1], s[4:5]
	v_lshl_add_u64 v[8:9], v[0:1], 4, s[8:9]
	v_cmp_gt_i32_e64 s[2:3], s6, v4
	v_cndmask_b32_e64 v0, 0, 1, s[0:1]
	s_and_b64 s[14:15], vcc, s[2:3]
	v_ashrrev_i32_e32 v5, 31, v4
	v_cmp_ne_u32_e64 s[0:1], 1, v0
	s_and_saveexec_b64 s[4:5], s[14:15]
	s_cbranch_execz .LBB142_18
; %bb.15:
	v_mul_f64 v[0:1], s[18:19], v[26:27]
	v_mul_f64 v[2:3], s[16:17], v[26:27]
	v_fma_f64 v[0:1], s[16:17], v[24:25], -v[0:1]
	v_fmac_f64_e32 v[2:3], s[18:19], v[24:25]
	s_and_b64 vcc, exec, s[0:1]
	v_lshl_add_u64 v[6:7], v[4:5], 4, v[8:9]
	s_cbranch_vccnz .LBB142_17
; %bb.16:
	global_load_dwordx4 v[24:27], v[6:7], off
	s_waitcnt vmcnt(0)
	v_mul_f64 v[28:29], s[12:13], v[26:27]
	v_mul_f64 v[26:27], s[10:11], v[26:27]
	v_fma_f64 v[28:29], s[10:11], v[24:25], -v[28:29]
	v_fmac_f64_e32 v[26:27], s[12:13], v[24:25]
	v_add_f64 v[0:1], v[0:1], v[28:29]
	v_add_f64 v[2:3], v[2:3], v[26:27]
.LBB142_17:
	global_store_dwordx4 v[6:7], v[0:3], off
.LBB142_18:
	s_or_b64 exec, exec, s[4:5]
	v_add_u32_e32 v6, 16, v4
	v_cmp_le_i32_e32 vcc, v10, v6
	v_cmp_gt_i32_e64 s[4:5], s6, v6
	s_and_b64 s[14:15], vcc, s[4:5]
	v_ashrrev_i32_e32 v7, 31, v6
	s_and_saveexec_b64 s[6:7], s[14:15]
	s_cbranch_execz .LBB142_22
; %bb.19:
	v_mul_f64 v[0:1], s[18:19], v[22:23]
	v_mul_f64 v[2:3], s[16:17], v[22:23]
	v_fma_f64 v[0:1], s[16:17], v[20:21], -v[0:1]
	v_fmac_f64_e32 v[2:3], s[18:19], v[20:21]
	s_and_b64 vcc, exec, s[0:1]
	v_lshl_add_u64 v[8:9], v[6:7], 4, v[8:9]
	s_cbranch_vccnz .LBB142_21
; %bb.20:
	global_load_dwordx4 v[20:23], v[8:9], off
	s_waitcnt vmcnt(0)
	v_mul_f64 v[24:25], s[12:13], v[22:23]
	v_mul_f64 v[22:23], s[10:11], v[22:23]
	v_fma_f64 v[24:25], s[10:11], v[20:21], -v[24:25]
	v_fmac_f64_e32 v[22:23], s[12:13], v[20:21]
	v_add_f64 v[0:1], v[0:1], v[24:25]
	v_add_f64 v[2:3], v[2:3], v[22:23]
.LBB142_21:
	global_store_dwordx4 v[8:9], v[0:3], off
.LBB142_22:
	s_or_b64 exec, exec, s[6:7]
	v_add_u32_e32 v10, 16, v10
	v_mad_i64_i32 v[0:1], s[6:7], v10, s20, 0
	v_cmp_le_i32_e32 vcc, v10, v4
	v_lshl_add_u64 v[8:9], v[0:1], 4, s[8:9]
	s_and_b64 s[6:7], vcc, s[2:3]
	s_and_saveexec_b64 s[2:3], s[6:7]
	s_cbranch_execz .LBB142_26
; %bb.23:
	v_mul_f64 v[0:1], s[18:19], v[18:19]
	v_mul_f64 v[2:3], s[16:17], v[18:19]
	v_fma_f64 v[0:1], s[16:17], v[16:17], -v[0:1]
	v_fmac_f64_e32 v[2:3], s[18:19], v[16:17]
	s_and_b64 vcc, exec, s[0:1]
	v_lshl_add_u64 v[4:5], v[4:5], 4, v[8:9]
	s_cbranch_vccnz .LBB142_25
; %bb.24:
	global_load_dwordx4 v[16:19], v[4:5], off
	s_waitcnt vmcnt(0)
	v_mul_f64 v[20:21], s[12:13], v[18:19]
	v_mul_f64 v[18:19], s[10:11], v[18:19]
	v_fma_f64 v[20:21], s[10:11], v[16:17], -v[20:21]
	v_fmac_f64_e32 v[18:19], s[12:13], v[16:17]
	v_add_f64 v[0:1], v[0:1], v[20:21]
	v_add_f64 v[2:3], v[2:3], v[18:19]
.LBB142_25:
	global_store_dwordx4 v[4:5], v[0:3], off
.LBB142_26:
	s_or_b64 exec, exec, s[2:3]
	v_cmp_le_i32_e32 vcc, v10, v6
	s_and_b64 s[2:3], vcc, s[4:5]
	s_and_saveexec_b64 s[4:5], s[2:3]
	s_cbranch_execz .LBB142_30
; %bb.27:
	v_mul_f64 v[0:1], s[18:19], v[12:13]
	v_mul_f64 v[2:3], s[16:17], v[12:13]
	v_fma_f64 v[0:1], s[16:17], v[14:15], -v[0:1]
	v_fmac_f64_e32 v[2:3], s[18:19], v[14:15]
	s_and_b64 vcc, exec, s[0:1]
	v_lshl_add_u64 v[4:5], v[6:7], 4, v[8:9]
	s_cbranch_vccnz .LBB142_29
; %bb.28:
	global_load_dwordx4 v[6:9], v[4:5], off
	s_waitcnt vmcnt(0)
	v_mul_f64 v[10:11], s[12:13], v[8:9]
	v_mul_f64 v[8:9], s[10:11], v[8:9]
	v_fma_f64 v[10:11], s[10:11], v[6:7], -v[10:11]
	v_fmac_f64_e32 v[8:9], s[12:13], v[6:7]
	v_add_f64 v[0:1], v[0:1], v[10:11]
	v_add_f64 v[2:3], v[2:3], v[8:9]
.LBB142_29:
	global_store_dwordx4 v[4:5], v[0:3], off
.LBB142_30:
	s_endpgm
	.section	.rodata,"a",@progbits
	.p2align	6, 0x0
	.amdhsa_kernel _ZL29rocblas_internal_gemmt_kernelIiLi16ELi32ELi8ELc67ELc84ELc76ELb1ELb0E19rocblas_complex_numIdES1_PKS1_PS1_EviT_T9_T10_S5_lS7_S5_lS6_T11_S5_li
		.amdhsa_group_segment_fixed_size 8192
		.amdhsa_private_segment_fixed_size 0
		.amdhsa_kernarg_size 116
		.amdhsa_user_sgpr_count 2
		.amdhsa_user_sgpr_dispatch_ptr 0
		.amdhsa_user_sgpr_queue_ptr 0
		.amdhsa_user_sgpr_kernarg_segment_ptr 1
		.amdhsa_user_sgpr_dispatch_id 0
		.amdhsa_user_sgpr_kernarg_preload_length 0
		.amdhsa_user_sgpr_kernarg_preload_offset 0
		.amdhsa_user_sgpr_private_segment_size 0
		.amdhsa_uses_dynamic_stack 0
		.amdhsa_enable_private_segment 0
		.amdhsa_system_sgpr_workgroup_id_x 1
		.amdhsa_system_sgpr_workgroup_id_y 1
		.amdhsa_system_sgpr_workgroup_id_z 1
		.amdhsa_system_sgpr_workgroup_info 0
		.amdhsa_system_vgpr_workitem_id 1
		.amdhsa_next_free_vgpr 62
		.amdhsa_next_free_sgpr 36
		.amdhsa_accum_offset 64
		.amdhsa_reserve_vcc 1
		.amdhsa_float_round_mode_32 0
		.amdhsa_float_round_mode_16_64 0
		.amdhsa_float_denorm_mode_32 3
		.amdhsa_float_denorm_mode_16_64 3
		.amdhsa_dx10_clamp 1
		.amdhsa_ieee_mode 1
		.amdhsa_fp16_overflow 0
		.amdhsa_tg_split 0
		.amdhsa_exception_fp_ieee_invalid_op 0
		.amdhsa_exception_fp_denorm_src 0
		.amdhsa_exception_fp_ieee_div_zero 0
		.amdhsa_exception_fp_ieee_overflow 0
		.amdhsa_exception_fp_ieee_underflow 0
		.amdhsa_exception_fp_ieee_inexact 0
		.amdhsa_exception_int_div_zero 0
	.end_amdhsa_kernel
	.section	.text._ZL29rocblas_internal_gemmt_kernelIiLi16ELi32ELi8ELc67ELc84ELc76ELb1ELb0E19rocblas_complex_numIdES1_PKS1_PS1_EviT_T9_T10_S5_lS7_S5_lS6_T11_S5_li,"axG",@progbits,_ZL29rocblas_internal_gemmt_kernelIiLi16ELi32ELi8ELc67ELc84ELc76ELb1ELb0E19rocblas_complex_numIdES1_PKS1_PS1_EviT_T9_T10_S5_lS7_S5_lS6_T11_S5_li,comdat
.Lfunc_end142:
	.size	_ZL29rocblas_internal_gemmt_kernelIiLi16ELi32ELi8ELc67ELc84ELc76ELb1ELb0E19rocblas_complex_numIdES1_PKS1_PS1_EviT_T9_T10_S5_lS7_S5_lS6_T11_S5_li, .Lfunc_end142-_ZL29rocblas_internal_gemmt_kernelIiLi16ELi32ELi8ELc67ELc84ELc76ELb1ELb0E19rocblas_complex_numIdES1_PKS1_PS1_EviT_T9_T10_S5_lS7_S5_lS6_T11_S5_li
                                        ; -- End function
	.set _ZL29rocblas_internal_gemmt_kernelIiLi16ELi32ELi8ELc67ELc84ELc76ELb1ELb0E19rocblas_complex_numIdES1_PKS1_PS1_EviT_T9_T10_S5_lS7_S5_lS6_T11_S5_li.num_vgpr, 62
	.set _ZL29rocblas_internal_gemmt_kernelIiLi16ELi32ELi8ELc67ELc84ELc76ELb1ELb0E19rocblas_complex_numIdES1_PKS1_PS1_EviT_T9_T10_S5_lS7_S5_lS6_T11_S5_li.num_agpr, 0
	.set _ZL29rocblas_internal_gemmt_kernelIiLi16ELi32ELi8ELc67ELc84ELc76ELb1ELb0E19rocblas_complex_numIdES1_PKS1_PS1_EviT_T9_T10_S5_lS7_S5_lS6_T11_S5_li.numbered_sgpr, 36
	.set _ZL29rocblas_internal_gemmt_kernelIiLi16ELi32ELi8ELc67ELc84ELc76ELb1ELb0E19rocblas_complex_numIdES1_PKS1_PS1_EviT_T9_T10_S5_lS7_S5_lS6_T11_S5_li.num_named_barrier, 0
	.set _ZL29rocblas_internal_gemmt_kernelIiLi16ELi32ELi8ELc67ELc84ELc76ELb1ELb0E19rocblas_complex_numIdES1_PKS1_PS1_EviT_T9_T10_S5_lS7_S5_lS6_T11_S5_li.private_seg_size, 0
	.set _ZL29rocblas_internal_gemmt_kernelIiLi16ELi32ELi8ELc67ELc84ELc76ELb1ELb0E19rocblas_complex_numIdES1_PKS1_PS1_EviT_T9_T10_S5_lS7_S5_lS6_T11_S5_li.uses_vcc, 1
	.set _ZL29rocblas_internal_gemmt_kernelIiLi16ELi32ELi8ELc67ELc84ELc76ELb1ELb0E19rocblas_complex_numIdES1_PKS1_PS1_EviT_T9_T10_S5_lS7_S5_lS6_T11_S5_li.uses_flat_scratch, 0
	.set _ZL29rocblas_internal_gemmt_kernelIiLi16ELi32ELi8ELc67ELc84ELc76ELb1ELb0E19rocblas_complex_numIdES1_PKS1_PS1_EviT_T9_T10_S5_lS7_S5_lS6_T11_S5_li.has_dyn_sized_stack, 0
	.set _ZL29rocblas_internal_gemmt_kernelIiLi16ELi32ELi8ELc67ELc84ELc76ELb1ELb0E19rocblas_complex_numIdES1_PKS1_PS1_EviT_T9_T10_S5_lS7_S5_lS6_T11_S5_li.has_recursion, 0
	.set _ZL29rocblas_internal_gemmt_kernelIiLi16ELi32ELi8ELc67ELc84ELc76ELb1ELb0E19rocblas_complex_numIdES1_PKS1_PS1_EviT_T9_T10_S5_lS7_S5_lS6_T11_S5_li.has_indirect_call, 0
	.section	.AMDGPU.csdata,"",@progbits
; Kernel info:
; codeLenInByte = 3116
; TotalNumSgprs: 42
; NumVgprs: 62
; NumAgprs: 0
; TotalNumVgprs: 62
; ScratchSize: 0
; MemoryBound: 1
; FloatMode: 240
; IeeeMode: 1
; LDSByteSize: 8192 bytes/workgroup (compile time only)
; SGPRBlocks: 5
; VGPRBlocks: 7
; NumSGPRsForWavesPerEU: 42
; NumVGPRsForWavesPerEU: 62
; AccumOffset: 64
; Occupancy: 8
; WaveLimiterHint : 0
; COMPUTE_PGM_RSRC2:SCRATCH_EN: 0
; COMPUTE_PGM_RSRC2:USER_SGPR: 2
; COMPUTE_PGM_RSRC2:TRAP_HANDLER: 0
; COMPUTE_PGM_RSRC2:TGID_X_EN: 1
; COMPUTE_PGM_RSRC2:TGID_Y_EN: 1
; COMPUTE_PGM_RSRC2:TGID_Z_EN: 1
; COMPUTE_PGM_RSRC2:TIDIG_COMP_CNT: 1
; COMPUTE_PGM_RSRC3_GFX90A:ACCUM_OFFSET: 15
; COMPUTE_PGM_RSRC3_GFX90A:TG_SPLIT: 0
	.section	.text._ZL29rocblas_internal_gemmt_kernelIiLi16ELi32ELi8ELc67ELc67ELc76ELb1ELb1E19rocblas_complex_numIdES1_PKS1_PS1_EviT_T9_T10_S5_lS7_S5_lS6_T11_S5_li,"axG",@progbits,_ZL29rocblas_internal_gemmt_kernelIiLi16ELi32ELi8ELc67ELc67ELc76ELb1ELb1E19rocblas_complex_numIdES1_PKS1_PS1_EviT_T9_T10_S5_lS7_S5_lS6_T11_S5_li,comdat
	.globl	_ZL29rocblas_internal_gemmt_kernelIiLi16ELi32ELi8ELc67ELc67ELc76ELb1ELb1E19rocblas_complex_numIdES1_PKS1_PS1_EviT_T9_T10_S5_lS7_S5_lS6_T11_S5_li ; -- Begin function _ZL29rocblas_internal_gemmt_kernelIiLi16ELi32ELi8ELc67ELc67ELc76ELb1ELb1E19rocblas_complex_numIdES1_PKS1_PS1_EviT_T9_T10_S5_lS7_S5_lS6_T11_S5_li
	.p2align	8
	.type	_ZL29rocblas_internal_gemmt_kernelIiLi16ELi32ELi8ELc67ELc67ELc76ELb1ELb1E19rocblas_complex_numIdES1_PKS1_PS1_EviT_T9_T10_S5_lS7_S5_lS6_T11_S5_li,@function
_ZL29rocblas_internal_gemmt_kernelIiLi16ELi32ELi8ELc67ELc67ELc76ELb1ELb1E19rocblas_complex_numIdES1_PKS1_PS1_EviT_T9_T10_S5_lS7_S5_lS6_T11_S5_li: ; @_ZL29rocblas_internal_gemmt_kernelIiLi16ELi32ELi8ELc67ELc67ELc76ELb1ELb1E19rocblas_complex_numIdES1_PKS1_PS1_EviT_T9_T10_S5_lS7_S5_lS6_T11_S5_li
; %bb.0:
	s_load_dwordx8 s[8:15], s[0:1], 0x40
	s_load_dwordx2 s[24:25], s[0:1], 0x0
	s_load_dwordx4 s[16:19], s[0:1], 0x8
	s_mov_b64 s[6:7], 0
	s_waitcnt lgkmcnt(0)
	v_cmp_eq_f64_e64 s[20:21], s[10:11], 1.0
	v_cmp_eq_f64_e64 s[26:27], s[12:13], 0
	s_and_b64 s[20:21], s[20:21], s[26:27]
	s_andn2_b64 vcc, exec, s[20:21]
	s_mov_b64 s[20:21], -1
	s_cbranch_vccnz .LBB143_4
; %bb.1:
	s_cmp_lg_u32 s25, 0
	s_cbranch_scc0 .LBB143_3
; %bb.2:
	v_cmp_neq_f64_e64 s[6:7], s[16:17], 0
	v_cmp_neq_f64_e64 s[20:21], s[18:19], 0
	s_or_b64 s[6:7], s[6:7], s[20:21]
.LBB143_3:
	s_mov_b64 s[20:21], s[6:7]
.LBB143_4:
	s_and_b64 vcc, exec, s[20:21]
	s_cbranch_vccz .LBB143_28
; %bb.5:
	s_lshl_b32 s28, s2, 5
	s_lshl_b32 s5, s3, 5
	v_cmp_eq_f64_e64 s[2:3], s[16:17], 0
	v_cmp_eq_f64_e64 s[6:7], s[18:19], 0
	s_and_b64 s[2:3], s[2:3], s[6:7]
	s_cmp_lt_i32 s25, 1
	s_cselect_b64 s[6:7], -1, 0
	s_or_b64 s[2:3], s[2:3], s[6:7]
	v_and_b32_e32 v25, 0x3ff, v0
	v_bfe_u32 v24, v0, 10, 10
	s_mov_b32 s29, 0
	v_mov_b64_e32 v[20:21], 0
	s_and_b64 vcc, exec, s[2:3]
	v_mov_b64_e32 v[22:23], 0
	v_mov_b64_e32 v[16:17], 0
	;; [unrolled: 1-line block ×7, first 2 shown]
	s_cbranch_vccnz .LBB143_12
; %bb.6:
	v_lshl_add_u32 v1, v24, 4, v25
	v_and_b32_e32 v3, 31, v1
	s_load_dwordx4 s[20:23], s[0:1], 0x28
	s_load_dword s6, s[0:1], 0x38
	v_lshrrev_b32_e32 v27, 5, v1
	s_load_dwordx2 s[30:31], s[0:1], 0x18
	s_load_dword s33, s[0:1], 0x20
	v_lshrrev_b32_e32 v2, 3, v1
	v_or_b32_e32 v1, s28, v3
	v_and_b32_e32 v26, 7, v25
	v_cmp_gt_i32_e32 vcc, s24, v1
	v_lshlrev_b32_e32 v1, 4, v3
	v_lshl_or_b32 v28, v27, 9, v1
	v_lshlrev_b32_e32 v1, 4, v26
	v_add_u32_e32 v0, s5, v2
	v_lshl_or_b32 v1, v2, 7, v1
	v_mov_b32_e32 v2, 0x1000
	v_lshl_add_u32 v31, v24, 7, v2
	v_add_u32_e32 v2, s28, v3
	s_waitcnt lgkmcnt(0)
	v_mad_i64_i32 v[2:3], s[34:35], s33, v2, 0
	s_mul_i32 s21, s21, s4
	s_mul_hi_u32 s33, s20, s4
	s_add_i32 s21, s33, s21
	s_mul_i32 s20, s20, s4
	s_lshl_b64 s[20:21], s[20:21], 4
	v_lshl_add_u64 v[2:3], v[2:3], 4, s[20:21]
	v_lshlrev_b32_e32 v4, 4, v27
	v_mov_b32_e32 v5, 0
	v_lshl_add_u64 v[2:3], v[2:3], 0, v[4:5]
	v_lshl_add_u64 v[2:3], s[30:31], 0, v[2:3]
	s_mul_i32 s9, s9, s4
	s_mul_hi_u32 s20, s8, s4
	v_lshl_add_u64 v[4:5], v[2:3], 0, 8
	s_add_i32 s9, s20, s9
	v_mad_i64_i32 v[2:3], s[20:21], s6, v26, 0
	s_mul_i32 s8, s8, s4
	v_lshlrev_b64 v[2:3], 4, v[2:3]
	v_add_u32_e32 v29, 0x1000, v1
	v_ashrrev_i32_e32 v1, 31, v0
	v_lshl_add_u64 v[2:3], s[8:9], 4, v[2:3]
	v_cmp_gt_i32_e64 s[2:3], s24, v0
	v_lshl_add_u64 v[0:1], v[0:1], 4, v[2:3]
	s_ashr_i32 s7, s6, 31
	v_lshl_add_u64 v[0:1], s[22:23], 0, v[0:1]
	v_lshlrev_b32_e32 v30, 4, v25
	v_lshl_add_u64 v[6:7], v[0:1], 0, 8
	s_lshl_b64 s[8:9], s[6:7], 7
	v_mov_b64_e32 v[8:9], 0
	s_mov_b64 s[20:21], 0x80
	v_mov_b64_e32 v[10:11], 0
	v_mov_b64_e32 v[14:15], 0
	;; [unrolled: 1-line block ×7, first 2 shown]
	s_branch .LBB143_8
.LBB143_7:                              ;   in Loop: Header=BB143_8 Depth=1
	s_or_b64 exec, exec, s[6:7]
	ds_write_b128 v29, v[0:3]
	s_waitcnt lgkmcnt(0)
	s_barrier
	ds_read_b128 v[0:3], v30
	ds_read_b128 v[32:35], v31
	ds_read_b128 v[36:39], v31 offset:16
	ds_read_b128 v[40:43], v31 offset:32
	;; [unrolled: 1-line block ×4, first 2 shown]
	s_waitcnt lgkmcnt(4)
	v_mul_f64 v[52:53], v[34:35], v[2:3]
	v_fma_f64 v[52:53], v[32:33], v[0:1], -v[52:53]
	v_mul_f64 v[54:55], v[32:33], v[2:3]
	v_fmac_f64_e32 v[54:55], v[34:35], v[0:1]
	v_add_f64 v[52:53], v[20:21], v[52:53]
	s_waitcnt lgkmcnt(0)
	v_mul_f64 v[20:21], v[34:35], v[50:51]
	v_add_f64 v[54:55], v[54:55], v[22:23]
	v_fma_f64 v[56:57], v[32:33], v[48:49], -v[20:21]
	ds_read_b128 v[20:23], v31 offset:2048
	v_mul_f64 v[32:33], v[32:33], v[50:51]
	v_fmac_f64_e32 v[32:33], v[34:35], v[48:49]
	v_add_f64 v[34:35], v[16:17], v[56:57]
	v_add_f64 v[32:33], v[32:33], v[18:19]
	ds_read_b128 v[16:19], v31 offset:2064
	s_waitcnt lgkmcnt(1)
	v_mul_f64 v[56:57], v[22:23], v[2:3]
	v_mul_f64 v[2:3], v[20:21], v[2:3]
	v_fma_f64 v[56:57], v[20:21], v[0:1], -v[56:57]
	v_fmac_f64_e32 v[2:3], v[22:23], v[0:1]
	v_mul_f64 v[0:1], v[22:23], v[50:51]
	v_add_f64 v[12:13], v[12:13], v[56:57]
	v_add_f64 v[14:15], v[2:3], v[14:15]
	v_fma_f64 v[56:57], v[20:21], v[48:49], -v[0:1]
	v_mul_f64 v[20:21], v[20:21], v[50:51]
	ds_read_b128 v[0:3], v30 offset:512
	v_fmac_f64_e32 v[20:21], v[22:23], v[48:49]
	v_add_f64 v[22:23], v[10:11], v[56:57]
	v_add_f64 v[20:21], v[20:21], v[8:9]
	ds_read_b128 v[8:11], v30 offset:768
	s_waitcnt lgkmcnt(1)
	v_mul_f64 v[48:49], v[38:39], v[2:3]
	v_fma_f64 v[48:49], v[36:37], v[0:1], -v[48:49]
	v_add_f64 v[48:49], v[52:53], v[48:49]
	v_mul_f64 v[50:51], v[36:37], v[2:3]
	s_waitcnt lgkmcnt(0)
	v_mul_f64 v[52:53], v[38:39], v[10:11]
	v_fma_f64 v[52:53], v[36:37], v[8:9], -v[52:53]
	v_mul_f64 v[36:37], v[36:37], v[10:11]
	v_fmac_f64_e32 v[36:37], v[38:39], v[8:9]
	v_add_f64 v[32:33], v[36:37], v[32:33]
	v_mul_f64 v[36:37], v[18:19], v[2:3]
	v_mul_f64 v[2:3], v[16:17], v[2:3]
	v_fmac_f64_e32 v[50:51], v[38:39], v[0:1]
	v_fma_f64 v[36:37], v[16:17], v[0:1], -v[36:37]
	v_fmac_f64_e32 v[2:3], v[18:19], v[0:1]
	v_mul_f64 v[0:1], v[18:19], v[10:11]
	v_add_f64 v[36:37], v[12:13], v[36:37]
	v_add_f64 v[38:39], v[2:3], v[14:15]
	v_fma_f64 v[12:13], v[16:17], v[8:9], -v[0:1]
	v_mul_f64 v[10:11], v[16:17], v[10:11]
	ds_read_b128 v[0:3], v30 offset:1024
	v_fmac_f64_e32 v[10:11], v[18:19], v[8:9]
	v_add_f64 v[20:21], v[10:11], v[20:21]
	ds_read_b128 v[8:11], v30 offset:1280
	v_add_f64 v[22:23], v[22:23], v[12:13]
	s_waitcnt lgkmcnt(1)
	v_mul_f64 v[12:13], v[42:43], v[2:3]
	v_fma_f64 v[12:13], v[40:41], v[0:1], -v[12:13]
	v_mul_f64 v[14:15], v[40:41], v[2:3]
	v_add_f64 v[50:51], v[50:51], v[54:55]
	v_fmac_f64_e32 v[14:15], v[42:43], v[0:1]
	v_add_f64 v[48:49], v[48:49], v[12:13]
	s_waitcnt lgkmcnt(0)
	v_mul_f64 v[12:13], v[42:43], v[10:11]
	v_add_f64 v[50:51], v[14:15], v[50:51]
	v_fma_f64 v[16:17], v[40:41], v[8:9], -v[12:13]
	ds_read_b128 v[12:15], v31 offset:2080
	v_mul_f64 v[18:19], v[40:41], v[10:11]
	v_add_f64 v[34:35], v[34:35], v[52:53]
	v_fmac_f64_e32 v[18:19], v[42:43], v[8:9]
	v_add_f64 v[34:35], v[34:35], v[16:17]
	v_add_f64 v[32:33], v[18:19], v[32:33]
	ds_read_b128 v[16:19], v31 offset:2096
	s_waitcnt lgkmcnt(1)
	v_mul_f64 v[40:41], v[14:15], v[2:3]
	v_mul_f64 v[2:3], v[12:13], v[2:3]
	v_fma_f64 v[40:41], v[12:13], v[0:1], -v[40:41]
	v_fmac_f64_e32 v[2:3], v[14:15], v[0:1]
	v_mul_f64 v[0:1], v[14:15], v[10:11]
	v_mul_f64 v[10:11], v[12:13], v[10:11]
	v_fmac_f64_e32 v[10:11], v[14:15], v[8:9]
	v_add_f64 v[36:37], v[36:37], v[40:41]
	v_add_f64 v[38:39], v[2:3], v[38:39]
	v_fma_f64 v[40:41], v[12:13], v[8:9], -v[0:1]
	ds_read_b128 v[0:3], v30 offset:1536
	v_add_f64 v[14:15], v[10:11], v[20:21]
	ds_read_b128 v[8:11], v30 offset:1792
	v_add_f64 v[12:13], v[22:23], v[40:41]
	s_add_i32 s29, s29, 8
	s_waitcnt lgkmcnt(1)
	v_mul_f64 v[20:21], v[46:47], v[2:3]
	v_mul_f64 v[22:23], v[44:45], v[2:3]
	s_waitcnt lgkmcnt(0)
	v_mul_f64 v[40:41], v[46:47], v[10:11]
	v_fma_f64 v[40:41], v[44:45], v[8:9], -v[40:41]
	v_add_f64 v[34:35], v[34:35], v[40:41]
	v_mul_f64 v[40:41], v[18:19], v[2:3]
	v_mul_f64 v[2:3], v[16:17], v[2:3]
	v_fma_f64 v[20:21], v[44:45], v[0:1], -v[20:21]
	v_fmac_f64_e32 v[22:23], v[46:47], v[0:1]
	v_fma_f64 v[40:41], v[16:17], v[0:1], -v[40:41]
	v_fmac_f64_e32 v[2:3], v[18:19], v[0:1]
	v_mul_f64 v[0:1], v[18:19], v[10:11]
	v_mul_f64 v[42:43], v[44:45], v[10:11]
	v_add_f64 v[36:37], v[36:37], v[40:41]
	v_fma_f64 v[40:41], v[16:17], v[8:9], -v[0:1]
	v_mul_f64 v[16:17], v[16:17], v[10:11]
	v_fmac_f64_e32 v[42:43], v[46:47], v[8:9]
	v_add_f64 v[38:39], v[2:3], v[38:39]
	v_fmac_f64_e32 v[16:17], v[18:19], v[8:9]
	ds_read_b128 v[0:3], v31 offset:64
	ds_read_b128 v[8:11], v30 offset:2048
	v_add_f64 v[32:33], v[42:43], v[32:33]
	v_add_f64 v[40:41], v[12:13], v[40:41]
	;; [unrolled: 1-line block ×3, first 2 shown]
	ds_read_b128 v[12:15], v30 offset:2304
	ds_read_b128 v[16:19], v31 offset:80
	s_waitcnt lgkmcnt(2)
	v_mul_f64 v[44:45], v[2:3], v[10:11]
	v_add_f64 v[20:21], v[48:49], v[20:21]
	v_fma_f64 v[44:45], v[0:1], v[8:9], -v[44:45]
	v_mul_f64 v[46:47], v[0:1], v[10:11]
	v_add_f64 v[22:23], v[22:23], v[50:51]
	v_fmac_f64_e32 v[46:47], v[2:3], v[8:9]
	v_add_f64 v[44:45], v[20:21], v[44:45]
	s_waitcnt lgkmcnt(1)
	v_mul_f64 v[20:21], v[2:3], v[14:15]
	v_add_f64 v[46:47], v[46:47], v[22:23]
	v_fma_f64 v[48:49], v[0:1], v[12:13], -v[20:21]
	ds_read_b128 v[20:23], v31 offset:2112
	v_mul_f64 v[0:1], v[0:1], v[14:15]
	v_fmac_f64_e32 v[0:1], v[2:3], v[12:13]
	v_add_f64 v[34:35], v[34:35], v[48:49]
	v_add_f64 v[32:33], v[0:1], v[32:33]
	ds_read_b128 v[0:3], v31 offset:2128
	s_waitcnt lgkmcnt(1)
	v_mul_f64 v[48:49], v[22:23], v[10:11]
	v_mul_f64 v[10:11], v[20:21], v[10:11]
	v_fma_f64 v[48:49], v[20:21], v[8:9], -v[48:49]
	v_fmac_f64_e32 v[10:11], v[22:23], v[8:9]
	v_mul_f64 v[8:9], v[22:23], v[14:15]
	v_add_f64 v[36:37], v[36:37], v[48:49]
	v_add_f64 v[38:39], v[10:11], v[38:39]
	v_fma_f64 v[48:49], v[20:21], v[12:13], -v[8:9]
	v_mul_f64 v[14:15], v[20:21], v[14:15]
	ds_read_b128 v[8:11], v30 offset:2560
	v_fmac_f64_e32 v[14:15], v[22:23], v[12:13]
	v_add_f64 v[22:23], v[14:15], v[42:43]
	ds_read_b128 v[12:15], v30 offset:2816
	v_add_f64 v[20:21], v[40:41], v[48:49]
	s_waitcnt lgkmcnt(1)
	v_mul_f64 v[40:41], v[18:19], v[10:11]
	v_fma_f64 v[40:41], v[16:17], v[8:9], -v[40:41]
	v_add_f64 v[40:41], v[44:45], v[40:41]
	s_waitcnt lgkmcnt(0)
	v_mul_f64 v[44:45], v[18:19], v[14:15]
	v_mul_f64 v[42:43], v[16:17], v[10:11]
	v_fma_f64 v[44:45], v[16:17], v[12:13], -v[44:45]
	v_mul_f64 v[16:17], v[16:17], v[14:15]
	v_fmac_f64_e32 v[16:17], v[18:19], v[12:13]
	v_add_f64 v[32:33], v[16:17], v[32:33]
	v_mul_f64 v[16:17], v[2:3], v[10:11]
	v_mul_f64 v[10:11], v[0:1], v[10:11]
	v_fmac_f64_e32 v[42:43], v[18:19], v[8:9]
	v_fma_f64 v[16:17], v[0:1], v[8:9], -v[16:17]
	v_fmac_f64_e32 v[10:11], v[2:3], v[8:9]
	v_mul_f64 v[8:9], v[2:3], v[14:15]
	v_mul_f64 v[14:15], v[0:1], v[14:15]
	v_add_f64 v[36:37], v[36:37], v[16:17]
	v_add_f64 v[38:39], v[10:11], v[38:39]
	v_fma_f64 v[16:17], v[0:1], v[12:13], -v[8:9]
	v_fmac_f64_e32 v[14:15], v[2:3], v[12:13]
	ds_read_b128 v[0:3], v31 offset:96
	ds_read_b128 v[8:11], v30 offset:3072
	v_add_f64 v[42:43], v[42:43], v[46:47]
	v_add_f64 v[34:35], v[34:35], v[44:45]
	;; [unrolled: 1-line block ×4, first 2 shown]
	ds_read_b128 v[12:15], v30 offset:3328
	ds_read_b128 v[16:19], v31 offset:112
	s_waitcnt lgkmcnt(2)
	v_mul_f64 v[20:21], v[2:3], v[10:11]
	v_fma_f64 v[20:21], v[0:1], v[8:9], -v[20:21]
	v_mul_f64 v[22:23], v[0:1], v[10:11]
	v_fmac_f64_e32 v[22:23], v[2:3], v[8:9]
	v_add_f64 v[40:41], v[40:41], v[20:21]
	s_waitcnt lgkmcnt(1)
	v_mul_f64 v[20:21], v[2:3], v[14:15]
	v_add_f64 v[42:43], v[22:23], v[42:43]
	v_fma_f64 v[48:49], v[0:1], v[12:13], -v[20:21]
	ds_read_b128 v[20:23], v31 offset:2144
	v_mul_f64 v[0:1], v[0:1], v[14:15]
	v_fmac_f64_e32 v[0:1], v[2:3], v[12:13]
	v_add_f64 v[50:51], v[0:1], v[32:33]
	ds_read_b128 v[0:3], v31 offset:2160
	s_waitcnt lgkmcnt(1)
	v_mul_f64 v[32:33], v[22:23], v[10:11]
	v_mul_f64 v[10:11], v[20:21], v[10:11]
	v_fma_f64 v[32:33], v[20:21], v[8:9], -v[32:33]
	v_fmac_f64_e32 v[10:11], v[22:23], v[8:9]
	v_mul_f64 v[8:9], v[22:23], v[14:15]
	v_add_f64 v[36:37], v[36:37], v[32:33]
	v_add_f64 v[38:39], v[10:11], v[38:39]
	v_fma_f64 v[32:33], v[20:21], v[12:13], -v[8:9]
	ds_read_b128 v[8:11], v30 offset:3584
	v_add_f64 v[48:49], v[34:35], v[48:49]
	v_add_f64 v[44:45], v[44:45], v[32:33]
	ds_read_b128 v[32:35], v30 offset:3840
	v_mul_f64 v[14:15], v[20:21], v[14:15]
	v_fmac_f64_e32 v[14:15], v[22:23], v[12:13]
	s_waitcnt lgkmcnt(1)
	v_mul_f64 v[12:13], v[18:19], v[10:11]
	v_fma_f64 v[12:13], v[16:17], v[8:9], -v[12:13]
	v_add_f64 v[46:47], v[14:15], v[46:47]
	v_mul_f64 v[14:15], v[16:17], v[10:11]
	v_add_f64 v[20:21], v[40:41], v[12:13]
	s_waitcnt lgkmcnt(0)
	v_mul_f64 v[12:13], v[18:19], v[34:35]
	v_fmac_f64_e32 v[14:15], v[18:19], v[8:9]
	v_fma_f64 v[12:13], v[16:17], v[32:33], -v[12:13]
	v_add_f64 v[22:23], v[14:15], v[42:43]
	v_mul_f64 v[14:15], v[16:17], v[34:35]
	v_add_f64 v[16:17], v[48:49], v[12:13]
	v_mul_f64 v[12:13], v[2:3], v[10:11]
	v_mul_f64 v[10:11], v[0:1], v[10:11]
	v_fma_f64 v[12:13], v[0:1], v[8:9], -v[12:13]
	v_fmac_f64_e32 v[10:11], v[2:3], v[8:9]
	v_mul_f64 v[8:9], v[2:3], v[34:35]
	v_fma_f64 v[8:9], v[0:1], v[32:33], -v[8:9]
	v_mul_f64 v[0:1], v[0:1], v[34:35]
	v_fmac_f64_e32 v[14:15], v[18:19], v[32:33]
	v_fmac_f64_e32 v[0:1], v[2:3], v[32:33]
	v_add_f64 v[18:19], v[14:15], v[50:51]
	v_add_f64 v[12:13], v[36:37], v[12:13]
	;; [unrolled: 1-line block ×5, first 2 shown]
	v_lshl_add_u64 v[4:5], v[4:5], 0, s[20:21]
	s_cmp_lt_i32 s29, s25
	v_lshl_add_u64 v[6:7], v[6:7], 0, s[8:9]
	s_barrier
	s_cbranch_scc0 .LBB143_12
.LBB143_8:                              ; =>This Inner Loop Header: Depth=1
	v_add_u32_e32 v0, s29, v27
	v_cmp_gt_i32_e64 s[6:7], s25, v0
	s_and_b64 s[22:23], vcc, s[6:7]
	v_mov_b64_e32 v[0:1], 0
	v_mov_b64_e32 v[2:3], 0
	s_and_saveexec_b64 s[6:7], s[22:23]
	s_cbranch_execz .LBB143_10
; %bb.9:                                ;   in Loop: Header=BB143_8 Depth=1
	global_load_dwordx4 v[0:3], v[4:5], off offset:-8
	s_waitcnt vmcnt(0)
	v_xor_b32_e32 v3, 0x80000000, v3
.LBB143_10:                             ;   in Loop: Header=BB143_8 Depth=1
	s_or_b64 exec, exec, s[6:7]
	ds_write_b128 v28, v[0:3]
	v_add_u32_e32 v0, s29, v26
	v_cmp_gt_i32_e64 s[6:7], s25, v0
	s_and_b64 s[22:23], s[6:7], s[2:3]
	v_mov_b64_e32 v[0:1], 0
	v_mov_b64_e32 v[2:3], 0
	s_and_saveexec_b64 s[6:7], s[22:23]
	s_cbranch_execz .LBB143_7
; %bb.11:                               ;   in Loop: Header=BB143_8 Depth=1
	global_load_dwordx4 v[0:3], v[6:7], off offset:-8
	s_waitcnt vmcnt(0)
	v_xor_b32_e32 v3, 0x80000000, v3
	s_branch .LBB143_7
.LBB143_12:
	s_load_dwordx2 s[2:3], s[0:1], 0x68
	s_load_dword s20, s[0:1], 0x60
	v_add_u32_e32 v26, s5, v24
	v_add_u32_e32 v4, s28, v25
	v_cmp_le_i32_e32 vcc, v26, v4
	s_waitcnt lgkmcnt(0)
	s_mul_i32 s1, s3, s4
	s_mul_hi_u32 s3, s2, s4
	s_mul_i32 s0, s2, s4
	s_add_i32 s1, s3, s1
	s_lshl_b64 s[0:1], s[0:1], 4
	s_add_u32 s6, s14, s0
	s_addc_u32 s7, s15, s1
	v_cmp_neq_f64_e64 s[0:1], s[10:11], 0
	s_xor_b64 s[4:5], s[26:27], -1
	v_mad_i64_i32 v[0:1], s[2:3], v26, s20, 0
	s_or_b64 s[0:1], s[0:1], s[4:5]
	v_lshl_add_u64 v[24:25], v[0:1], 4, s[6:7]
	v_cmp_gt_i32_e64 s[2:3], s24, v4
	v_cndmask_b32_e64 v0, 0, 1, s[0:1]
	s_and_b64 s[8:9], vcc, s[2:3]
	v_ashrrev_i32_e32 v5, 31, v4
	v_cmp_ne_u32_e64 s[0:1], 1, v0
	s_and_saveexec_b64 s[4:5], s[8:9]
	s_cbranch_execz .LBB143_16
; %bb.13:
	v_mul_f64 v[0:1], s[18:19], v[22:23]
	v_mul_f64 v[2:3], s[16:17], v[22:23]
	v_fma_f64 v[0:1], s[16:17], v[20:21], -v[0:1]
	v_fmac_f64_e32 v[2:3], s[18:19], v[20:21]
	s_and_b64 vcc, exec, s[0:1]
	v_lshl_add_u64 v[6:7], v[4:5], 4, v[24:25]
	s_cbranch_vccnz .LBB143_15
; %bb.14:
	global_load_dwordx4 v[20:23], v[6:7], off
	s_waitcnt vmcnt(0)
	v_mul_f64 v[28:29], s[12:13], v[22:23]
	v_mul_f64 v[22:23], s[10:11], v[22:23]
	v_fma_f64 v[28:29], s[10:11], v[20:21], -v[28:29]
	v_fmac_f64_e32 v[22:23], s[12:13], v[20:21]
	v_add_f64 v[0:1], v[0:1], v[28:29]
	v_add_f64 v[2:3], v[2:3], v[22:23]
.LBB143_15:
	global_store_dwordx4 v[6:7], v[0:3], off
.LBB143_16:
	s_or_b64 exec, exec, s[4:5]
	v_add_u32_e32 v6, 16, v4
	v_cmp_le_i32_e32 vcc, v26, v6
	v_cmp_gt_i32_e64 s[4:5], s24, v6
	s_and_b64 s[14:15], vcc, s[4:5]
	v_ashrrev_i32_e32 v7, 31, v6
	s_and_saveexec_b64 s[8:9], s[14:15]
	s_cbranch_execz .LBB143_20
; %bb.17:
	v_mul_f64 v[0:1], s[18:19], v[18:19]
	v_mul_f64 v[2:3], s[16:17], v[18:19]
	v_fma_f64 v[0:1], s[16:17], v[16:17], -v[0:1]
	v_fmac_f64_e32 v[2:3], s[18:19], v[16:17]
	s_and_b64 vcc, exec, s[0:1]
	v_lshl_add_u64 v[16:17], v[6:7], 4, v[24:25]
	s_cbranch_vccnz .LBB143_19
; %bb.18:
	global_load_dwordx4 v[18:21], v[16:17], off
	s_waitcnt vmcnt(0)
	v_mul_f64 v[22:23], s[12:13], v[20:21]
	v_mul_f64 v[20:21], s[10:11], v[20:21]
	v_fma_f64 v[22:23], s[10:11], v[18:19], -v[22:23]
	v_fmac_f64_e32 v[20:21], s[12:13], v[18:19]
	v_add_f64 v[0:1], v[0:1], v[22:23]
	v_add_f64 v[2:3], v[2:3], v[20:21]
.LBB143_19:
	global_store_dwordx4 v[16:17], v[0:3], off
.LBB143_20:
	s_or_b64 exec, exec, s[8:9]
	v_add_u32_e32 v18, 16, v26
	v_mad_i64_i32 v[0:1], s[8:9], v18, s20, 0
	v_cmp_le_i32_e32 vcc, v18, v4
	v_lshl_add_u64 v[16:17], v[0:1], 4, s[6:7]
	s_and_b64 s[6:7], vcc, s[2:3]
	s_and_saveexec_b64 s[2:3], s[6:7]
	s_cbranch_execz .LBB143_24
; %bb.21:
	v_mul_f64 v[0:1], s[18:19], v[14:15]
	v_mul_f64 v[2:3], s[16:17], v[14:15]
	v_fma_f64 v[0:1], s[16:17], v[12:13], -v[0:1]
	v_fmac_f64_e32 v[2:3], s[18:19], v[12:13]
	s_and_b64 vcc, exec, s[0:1]
	v_lshl_add_u64 v[4:5], v[4:5], 4, v[16:17]
	s_cbranch_vccnz .LBB143_23
; %bb.22:
	global_load_dwordx4 v[12:15], v[4:5], off
	s_waitcnt vmcnt(0)
	v_mul_f64 v[20:21], s[12:13], v[14:15]
	v_mul_f64 v[14:15], s[10:11], v[14:15]
	v_fma_f64 v[20:21], s[10:11], v[12:13], -v[20:21]
	v_fmac_f64_e32 v[14:15], s[12:13], v[12:13]
	v_add_f64 v[0:1], v[0:1], v[20:21]
	v_add_f64 v[2:3], v[2:3], v[14:15]
.LBB143_23:
	global_store_dwordx4 v[4:5], v[0:3], off
.LBB143_24:
	s_or_b64 exec, exec, s[2:3]
	v_cmp_le_i32_e32 vcc, v18, v6
	s_and_b64 s[2:3], vcc, s[4:5]
	s_and_saveexec_b64 s[4:5], s[2:3]
	s_cbranch_execz .LBB143_28
; %bb.25:
	v_mul_f64 v[0:1], s[18:19], v[8:9]
	v_mul_f64 v[2:3], s[16:17], v[8:9]
	v_fma_f64 v[0:1], s[16:17], v[10:11], -v[0:1]
	v_fmac_f64_e32 v[2:3], s[18:19], v[10:11]
	s_and_b64 vcc, exec, s[0:1]
	v_lshl_add_u64 v[4:5], v[6:7], 4, v[16:17]
	s_cbranch_vccnz .LBB143_27
; %bb.26:
	global_load_dwordx4 v[6:9], v[4:5], off
	s_waitcnt vmcnt(0)
	v_mul_f64 v[10:11], s[12:13], v[8:9]
	v_mul_f64 v[8:9], s[10:11], v[8:9]
	v_fma_f64 v[10:11], s[10:11], v[6:7], -v[10:11]
	v_fmac_f64_e32 v[8:9], s[12:13], v[6:7]
	v_add_f64 v[0:1], v[0:1], v[10:11]
	v_add_f64 v[2:3], v[2:3], v[8:9]
.LBB143_27:
	global_store_dwordx4 v[4:5], v[0:3], off
.LBB143_28:
	s_endpgm
	.section	.rodata,"a",@progbits
	.p2align	6, 0x0
	.amdhsa_kernel _ZL29rocblas_internal_gemmt_kernelIiLi16ELi32ELi8ELc67ELc67ELc76ELb1ELb1E19rocblas_complex_numIdES1_PKS1_PS1_EviT_T9_T10_S5_lS7_S5_lS6_T11_S5_li
		.amdhsa_group_segment_fixed_size 8192
		.amdhsa_private_segment_fixed_size 0
		.amdhsa_kernarg_size 116
		.amdhsa_user_sgpr_count 2
		.amdhsa_user_sgpr_dispatch_ptr 0
		.amdhsa_user_sgpr_queue_ptr 0
		.amdhsa_user_sgpr_kernarg_segment_ptr 1
		.amdhsa_user_sgpr_dispatch_id 0
		.amdhsa_user_sgpr_kernarg_preload_length 0
		.amdhsa_user_sgpr_kernarg_preload_offset 0
		.amdhsa_user_sgpr_private_segment_size 0
		.amdhsa_uses_dynamic_stack 0
		.amdhsa_enable_private_segment 0
		.amdhsa_system_sgpr_workgroup_id_x 1
		.amdhsa_system_sgpr_workgroup_id_y 1
		.amdhsa_system_sgpr_workgroup_id_z 1
		.amdhsa_system_sgpr_workgroup_info 0
		.amdhsa_system_vgpr_workitem_id 1
		.amdhsa_next_free_vgpr 58
		.amdhsa_next_free_sgpr 36
		.amdhsa_accum_offset 60
		.amdhsa_reserve_vcc 1
		.amdhsa_float_round_mode_32 0
		.amdhsa_float_round_mode_16_64 0
		.amdhsa_float_denorm_mode_32 3
		.amdhsa_float_denorm_mode_16_64 3
		.amdhsa_dx10_clamp 1
		.amdhsa_ieee_mode 1
		.amdhsa_fp16_overflow 0
		.amdhsa_tg_split 0
		.amdhsa_exception_fp_ieee_invalid_op 0
		.amdhsa_exception_fp_denorm_src 0
		.amdhsa_exception_fp_ieee_div_zero 0
		.amdhsa_exception_fp_ieee_overflow 0
		.amdhsa_exception_fp_ieee_underflow 0
		.amdhsa_exception_fp_ieee_inexact 0
		.amdhsa_exception_int_div_zero 0
	.end_amdhsa_kernel
	.section	.text._ZL29rocblas_internal_gemmt_kernelIiLi16ELi32ELi8ELc67ELc67ELc76ELb1ELb1E19rocblas_complex_numIdES1_PKS1_PS1_EviT_T9_T10_S5_lS7_S5_lS6_T11_S5_li,"axG",@progbits,_ZL29rocblas_internal_gemmt_kernelIiLi16ELi32ELi8ELc67ELc67ELc76ELb1ELb1E19rocblas_complex_numIdES1_PKS1_PS1_EviT_T9_T10_S5_lS7_S5_lS6_T11_S5_li,comdat
.Lfunc_end143:
	.size	_ZL29rocblas_internal_gemmt_kernelIiLi16ELi32ELi8ELc67ELc67ELc76ELb1ELb1E19rocblas_complex_numIdES1_PKS1_PS1_EviT_T9_T10_S5_lS7_S5_lS6_T11_S5_li, .Lfunc_end143-_ZL29rocblas_internal_gemmt_kernelIiLi16ELi32ELi8ELc67ELc67ELc76ELb1ELb1E19rocblas_complex_numIdES1_PKS1_PS1_EviT_T9_T10_S5_lS7_S5_lS6_T11_S5_li
                                        ; -- End function
	.set _ZL29rocblas_internal_gemmt_kernelIiLi16ELi32ELi8ELc67ELc67ELc76ELb1ELb1E19rocblas_complex_numIdES1_PKS1_PS1_EviT_T9_T10_S5_lS7_S5_lS6_T11_S5_li.num_vgpr, 58
	.set _ZL29rocblas_internal_gemmt_kernelIiLi16ELi32ELi8ELc67ELc67ELc76ELb1ELb1E19rocblas_complex_numIdES1_PKS1_PS1_EviT_T9_T10_S5_lS7_S5_lS6_T11_S5_li.num_agpr, 0
	.set _ZL29rocblas_internal_gemmt_kernelIiLi16ELi32ELi8ELc67ELc67ELc76ELb1ELb1E19rocblas_complex_numIdES1_PKS1_PS1_EviT_T9_T10_S5_lS7_S5_lS6_T11_S5_li.numbered_sgpr, 36
	.set _ZL29rocblas_internal_gemmt_kernelIiLi16ELi32ELi8ELc67ELc67ELc76ELb1ELb1E19rocblas_complex_numIdES1_PKS1_PS1_EviT_T9_T10_S5_lS7_S5_lS6_T11_S5_li.num_named_barrier, 0
	.set _ZL29rocblas_internal_gemmt_kernelIiLi16ELi32ELi8ELc67ELc67ELc76ELb1ELb1E19rocblas_complex_numIdES1_PKS1_PS1_EviT_T9_T10_S5_lS7_S5_lS6_T11_S5_li.private_seg_size, 0
	.set _ZL29rocblas_internal_gemmt_kernelIiLi16ELi32ELi8ELc67ELc67ELc76ELb1ELb1E19rocblas_complex_numIdES1_PKS1_PS1_EviT_T9_T10_S5_lS7_S5_lS6_T11_S5_li.uses_vcc, 1
	.set _ZL29rocblas_internal_gemmt_kernelIiLi16ELi32ELi8ELc67ELc67ELc76ELb1ELb1E19rocblas_complex_numIdES1_PKS1_PS1_EviT_T9_T10_S5_lS7_S5_lS6_T11_S5_li.uses_flat_scratch, 0
	.set _ZL29rocblas_internal_gemmt_kernelIiLi16ELi32ELi8ELc67ELc67ELc76ELb1ELb1E19rocblas_complex_numIdES1_PKS1_PS1_EviT_T9_T10_S5_lS7_S5_lS6_T11_S5_li.has_dyn_sized_stack, 0
	.set _ZL29rocblas_internal_gemmt_kernelIiLi16ELi32ELi8ELc67ELc67ELc76ELb1ELb1E19rocblas_complex_numIdES1_PKS1_PS1_EviT_T9_T10_S5_lS7_S5_lS6_T11_S5_li.has_recursion, 0
	.set _ZL29rocblas_internal_gemmt_kernelIiLi16ELi32ELi8ELc67ELc67ELc76ELb1ELb1E19rocblas_complex_numIdES1_PKS1_PS1_EviT_T9_T10_S5_lS7_S5_lS6_T11_S5_li.has_indirect_call, 0
	.section	.AMDGPU.csdata,"",@progbits
; Kernel info:
; codeLenInByte = 3108
; TotalNumSgprs: 42
; NumVgprs: 58
; NumAgprs: 0
; TotalNumVgprs: 58
; ScratchSize: 0
; MemoryBound: 1
; FloatMode: 240
; IeeeMode: 1
; LDSByteSize: 8192 bytes/workgroup (compile time only)
; SGPRBlocks: 5
; VGPRBlocks: 7
; NumSGPRsForWavesPerEU: 42
; NumVGPRsForWavesPerEU: 58
; AccumOffset: 60
; Occupancy: 8
; WaveLimiterHint : 0
; COMPUTE_PGM_RSRC2:SCRATCH_EN: 0
; COMPUTE_PGM_RSRC2:USER_SGPR: 2
; COMPUTE_PGM_RSRC2:TRAP_HANDLER: 0
; COMPUTE_PGM_RSRC2:TGID_X_EN: 1
; COMPUTE_PGM_RSRC2:TGID_Y_EN: 1
; COMPUTE_PGM_RSRC2:TGID_Z_EN: 1
; COMPUTE_PGM_RSRC2:TIDIG_COMP_CNT: 1
; COMPUTE_PGM_RSRC3_GFX90A:ACCUM_OFFSET: 14
; COMPUTE_PGM_RSRC3_GFX90A:TG_SPLIT: 0
	.section	.text._ZL29rocblas_internal_gemmt_kernelIlLi16ELi32ELi8ELc78ELc78ELc85ELb0ELb0EfPKfS1_PfEviT_T9_T10_S3_lS5_S3_lS4_T11_S3_li,"axG",@progbits,_ZL29rocblas_internal_gemmt_kernelIlLi16ELi32ELi8ELc78ELc78ELc85ELb0ELb0EfPKfS1_PfEviT_T9_T10_S3_lS5_S3_lS4_T11_S3_li,comdat
	.globl	_ZL29rocblas_internal_gemmt_kernelIlLi16ELi32ELi8ELc78ELc78ELc85ELb0ELb0EfPKfS1_PfEviT_T9_T10_S3_lS5_S3_lS4_T11_S3_li ; -- Begin function _ZL29rocblas_internal_gemmt_kernelIlLi16ELi32ELi8ELc78ELc78ELc85ELb0ELb0EfPKfS1_PfEviT_T9_T10_S3_lS5_S3_lS4_T11_S3_li
	.p2align	8
	.type	_ZL29rocblas_internal_gemmt_kernelIlLi16ELi32ELi8ELc78ELc78ELc85ELb0ELb0EfPKfS1_PfEviT_T9_T10_S3_lS5_S3_lS4_T11_S3_li,@function
_ZL29rocblas_internal_gemmt_kernelIlLi16ELi32ELi8ELc78ELc78ELc85ELb0ELb0EfPKfS1_PfEviT_T9_T10_S3_lS5_S3_lS4_T11_S3_li: ; @_ZL29rocblas_internal_gemmt_kernelIlLi16ELi32ELi8ELc78ELc78ELc85ELb0ELb0EfPKfS1_PfEviT_T9_T10_S3_lS5_S3_lS4_T11_S3_li
; %bb.0:
	s_load_dwordx8 s[24:31], s[0:1], 0x48
	s_load_dwordx16 s[8:23], s[0:1], 0x8
	s_waitcnt lgkmcnt(0)
	s_load_dword s33, s[24:25], 0x0
	s_load_dword s34, s[10:11], 0x0
	s_waitcnt lgkmcnt(0)
	v_cmp_neq_f32_e64 s[6:7], s33, 1.0
	s_and_b64 vcc, exec, s[6:7]
	s_cbranch_vccnz .LBB144_2
; %bb.1:
	s_cmp_lg_u64 s[8:9], 0
	s_cselect_b64 s[6:7], -1, 0
	v_cmp_neq_f32_e64 s[10:11], s34, 0
	s_and_b64 s[6:7], s[6:7], s[10:11]
.LBB144_2:
	s_andn2_b64 vcc, exec, s[6:7]
	s_cbranch_vccnz .LBB144_28
; %bb.3:
	s_load_dword s24, s[0:1], 0x0
	s_lshl_b32 s25, s2, 5
	s_lshl_b32 s35, s3, 5
	v_cmp_eq_f32_e64 s[0:1], s34, 0
	v_cmp_lt_i64_e64 s[2:3], s[8:9], 1
	v_mov_b32_e32 v3, 0
	s_or_b64 s[0:1], s[0:1], s[2:3]
	v_and_b32_e32 v5, 0x3ff, v0
	v_bfe_u32 v7, v0, 10, 10
	s_and_b64 vcc, exec, s[0:1]
	v_mov_b32_e32 v2, v3
	v_mov_b32_e32 v1, v3
	;; [unrolled: 1-line block ×3, first 2 shown]
	s_cbranch_vccnz .LBB144_12
; %bb.4:
	s_mul_i32 s0, s23, s4
	s_mul_hi_u32 s1, s22, s4
	s_add_i32 s1, s1, s0
	s_mul_i32 s0, s22, s4
	s_lshl_b64 s[0:1], s[0:1], 2
	s_add_u32 s6, s18, s0
	s_addc_u32 s7, s19, s1
	s_mul_i32 s0, s17, s4
	s_mul_hi_u32 s1, s16, s4
	v_lshl_add_u32 v0, v7, 4, v5
	s_add_i32 s1, s1, s0
	s_mul_i32 s0, s16, s4
	v_and_b32_e32 v1, 31, v0
	s_lshl_b64 s[0:1], s[0:1], 2
	v_lshrrev_b32_e32 v6, 5, v0
	v_lshrrev_b32_e32 v2, 3, v0
	v_or_b32_e32 v0, s25, v1
	s_add_u32 s2, s12, s0
	v_lshlrev_b32_e32 v1, 2, v1
	v_and_b32_e32 v4, 7, v5
	s_addc_u32 s3, s13, s1
	v_lshl_or_b32 v14, v6, 7, v1
	v_ashrrev_i32_e32 v1, 31, v0
	s_waitcnt lgkmcnt(0)
	v_cmp_gt_i32_e64 s[0:1], s24, v0
	v_lshl_add_u64 v[8:9], v[0:1], 2, s[2:3]
	v_lshlrev_b32_e32 v0, 2, v4
	v_add_u32_e32 v3, s35, v2
	v_lshl_or_b32 v0, v2, 5, v0
	v_add_u32_e32 v15, 0x400, v0
	v_ashrrev_i32_e32 v0, 31, v3
	v_mul_lo_u32 v2, s20, v0
	v_mul_lo_u32 v10, s21, v3
	v_mad_u64_u32 v[0:1], s[10:11], s20, v3, 0
	v_add3_u32 v1, v1, v2, v10
	v_lshl_add_u64 v[10:11], v[0:1], 2, s[6:7]
	v_mov_b32_e32 v0, 0x400
	v_mov_b32_e32 v13, 0
	v_cmp_gt_i32_e64 s[2:3], s24, v3
	v_lshlrev_b32_e32 v16, 2, v5
	v_lshl_add_u32 v17, v7, 5, v0
	s_mov_b64 s[6:7], 0
	v_mov_b32_e32 v0, v13
	v_mov_b32_e32 v1, v13
	;; [unrolled: 1-line block ×4, first 2 shown]
	s_branch .LBB144_6
.LBB144_5:                              ;   in Loop: Header=BB144_6 Depth=1
	s_or_b64 exec, exec, s[10:11]
	s_waitcnt vmcnt(0)
	ds_write_b32 v15, v18
	s_waitcnt lgkmcnt(0)
	s_barrier
	ds_read_b128 v[18:21], v17
	ds_read_b128 v[22:25], v17 offset:16
	ds_read2_b32 v[34:35], v16 offset1:16
	ds_read2_b32 v[36:37], v16 offset0:32 offset1:48
	ds_read2_b32 v[38:39], v16 offset0:64 offset1:80
	ds_read2_b32 v[40:41], v16 offset0:96 offset1:112
	ds_read2_b32 v[42:43], v16 offset0:128 offset1:144
	ds_read_b128 v[26:29], v17 offset:512
	ds_read_b128 v[30:33], v17 offset:528
	ds_read2_b32 v[44:45], v16 offset0:160 offset1:176
	ds_read2_b32 v[46:47], v16 offset0:192 offset1:208
	;; [unrolled: 1-line block ×3, first 2 shown]
	s_waitcnt lgkmcnt(9)
	v_pk_fma_f32 v[2:3], v[34:35], v[18:19], v[2:3] op_sel_hi:[1,0,1]
	v_mov_b32_e32 v12, v21
	s_waitcnt lgkmcnt(8)
	v_pk_fma_f32 v[2:3], v[36:37], v[18:19], v[2:3] op_sel:[0,1,0]
	s_waitcnt lgkmcnt(4)
	v_pk_fma_f32 v[0:1], v[34:35], v[26:27], v[0:1] op_sel_hi:[1,0,1]
	v_pk_fma_f32 v[2:3], v[38:39], v[20:21], v[2:3] op_sel_hi:[1,0,1]
	v_pk_fma_f32 v[0:1], v[36:37], v[26:27], v[0:1] op_sel:[0,1,0]
	v_pk_fma_f32 v[2:3], v[40:41], v[12:13], v[2:3] op_sel_hi:[1,0,1]
	v_mov_b32_e32 v12, v25
	v_pk_fma_f32 v[2:3], v[42:43], v[22:23], v[2:3] op_sel_hi:[1,0,1]
	v_pk_fma_f32 v[0:1], v[38:39], v[28:29], v[0:1] op_sel_hi:[1,0,1]
	s_waitcnt lgkmcnt(2)
	v_pk_fma_f32 v[2:3], v[44:45], v[22:23], v[2:3] op_sel:[0,1,0]
	s_add_u32 s6, s6, 8
	s_waitcnt lgkmcnt(1)
	v_pk_fma_f32 v[2:3], v[46:47], v[24:25], v[2:3] op_sel_hi:[1,0,1]
	s_addc_u32 s7, s7, 0
	s_waitcnt lgkmcnt(0)
	v_pk_fma_f32 v[2:3], v[48:49], v[12:13], v[2:3] op_sel_hi:[1,0,1]
	v_mov_b32_e32 v12, v29
	v_pk_fma_f32 v[0:1], v[40:41], v[12:13], v[0:1] op_sel_hi:[1,0,1]
	v_mov_b64_e32 v[18:19], s[6:7]
	v_pk_fma_f32 v[0:1], v[42:43], v[30:31], v[0:1] op_sel_hi:[1,0,1]
	v_mov_b32_e32 v12, v33
	v_pk_fma_f32 v[0:1], v[44:45], v[30:31], v[0:1] op_sel:[0,1,0]
	v_cmp_gt_i64_e32 vcc, s[8:9], v[18:19]
	v_pk_fma_f32 v[0:1], v[46:47], v[32:33], v[0:1] op_sel_hi:[1,0,1]
	s_nop 0
	v_pk_fma_f32 v[0:1], v[48:49], v[12:13], v[0:1] op_sel_hi:[1,0,1]
	s_barrier
	s_cbranch_vccz .LBB144_12
.LBB144_6:                              ; =>This Inner Loop Header: Depth=1
	v_mov_b32_e32 v18, 0
	s_and_saveexec_b64 s[10:11], s[0:1]
	s_cbranch_execz .LBB144_10
; %bb.7:                                ;   in Loop: Header=BB144_6 Depth=1
	v_add_u32_e32 v12, s6, v6
	v_cmp_gt_u64_e32 vcc, s[8:9], v[12:13]
	v_mov_b32_e32 v18, 0
	s_and_saveexec_b64 s[12:13], vcc
	s_cbranch_execz .LBB144_9
; %bb.8:                                ;   in Loop: Header=BB144_6 Depth=1
	v_mad_u64_u32 v[18:19], s[16:17], s14, v12, 0
	v_mov_b32_e32 v20, v19
	v_mad_u64_u32 v[20:21], s[16:17], s15, v12, v[20:21]
	v_mov_b32_e32 v19, v20
	v_lshl_add_u64 v[18:19], v[18:19], 2, v[8:9]
	global_load_dword v18, v[18:19], off
.LBB144_9:                              ;   in Loop: Header=BB144_6 Depth=1
	s_or_b64 exec, exec, s[12:13]
.LBB144_10:                             ;   in Loop: Header=BB144_6 Depth=1
	s_or_b64 exec, exec, s[10:11]
	v_add_u32_e32 v12, s6, v4
	v_cmp_gt_u64_e32 vcc, s[8:9], v[12:13]
	s_waitcnt vmcnt(0)
	ds_write_b32 v14, v18
	s_and_b64 s[12:13], vcc, s[2:3]
	v_mov_b32_e32 v18, 0
	s_and_saveexec_b64 s[10:11], s[12:13]
	s_cbranch_execz .LBB144_5
; %bb.11:                               ;   in Loop: Header=BB144_6 Depth=1
	v_lshl_add_u64 v[18:19], v[12:13], 2, v[10:11]
	global_load_dword v18, v[18:19], off
	s_branch .LBB144_5
.LBB144_12:
	s_mul_i32 s0, s31, s4
	s_mul_hi_u32 s1, s30, s4
	s_add_i32 s1, s1, s0
	s_mul_i32 s0, s30, s4
	s_lshl_b64 s[0:1], s[0:1], 2
	v_add_u32_e32 v10, s35, v7
	s_add_u32 s4, s26, s0
	v_add_u32_e32 v4, s25, v5
	v_ashrrev_i32_e32 v5, 31, v10
	s_addc_u32 s5, s27, s1
	v_mul_lo_u32 v5, s28, v5
	v_mul_lo_u32 v8, s29, v10
	v_mad_u64_u32 v[6:7], s[0:1], s28, v10, 0
	v_add3_u32 v7, v7, v5, v8
	v_cmp_neq_f32_e64 s[0:1], s33, 0
	s_waitcnt lgkmcnt(0)
	v_cmp_gt_i32_e64 s[2:3], s24, v10
	v_lshl_add_u64 v[8:9], v[6:7], 2, s[4:5]
	v_cmp_le_i32_e32 vcc, v4, v10
	v_cndmask_b32_e64 v6, 0, 1, s[0:1]
	s_and_b64 s[8:9], s[2:3], vcc
	v_ashrrev_i32_e32 v5, 31, v4
	v_cmp_ne_u32_e64 s[0:1], 1, v6
	s_and_saveexec_b64 s[6:7], s[8:9]
	s_cbranch_execz .LBB144_16
; %bb.13:
	v_mul_f32_e32 v2, s34, v2
	s_and_b64 vcc, exec, s[0:1]
	v_lshl_add_u64 v[6:7], v[4:5], 2, v[8:9]
	s_cbranch_vccnz .LBB144_15
; %bb.14:
	global_load_dword v11, v[6:7], off
	s_waitcnt vmcnt(0)
	v_fmac_f32_e32 v2, s33, v11
.LBB144_15:
	global_store_dword v[6:7], v2, off
.LBB144_16:
	s_or_b64 exec, exec, s[6:7]
	v_add_u32_e32 v6, 16, v4
	v_cmp_le_i32_e32 vcc, v6, v10
	s_and_b64 s[6:7], s[2:3], vcc
	v_ashrrev_i32_e32 v7, 31, v6
	s_and_saveexec_b64 s[2:3], s[6:7]
	s_cbranch_execz .LBB144_20
; %bb.17:
	v_mul_f32_e32 v11, s34, v3
	s_and_b64 vcc, exec, s[0:1]
	v_lshl_add_u64 v[2:3], v[6:7], 2, v[8:9]
	s_cbranch_vccnz .LBB144_19
; %bb.18:
	global_load_dword v8, v[2:3], off
	s_waitcnt vmcnt(0)
	v_fmac_f32_e32 v11, s33, v8
.LBB144_19:
	global_store_dword v[2:3], v11, off
.LBB144_20:
	s_or_b64 exec, exec, s[2:3]
	v_add_u32_e32 v8, 16, v10
	v_ashrrev_i32_e32 v2, 31, v8
	v_mul_lo_u32 v9, s28, v2
	v_mul_lo_u32 v10, s29, v8
	v_mad_u64_u32 v[2:3], s[6:7], s28, v8, 0
	v_cmp_gt_i32_e64 s[2:3], s24, v8
	v_add3_u32 v3, v3, v9, v10
	v_cmp_le_i32_e32 vcc, v4, v8
	v_lshl_add_u64 v[2:3], v[2:3], 2, s[4:5]
	s_and_b64 s[6:7], s[2:3], vcc
	s_and_saveexec_b64 s[4:5], s[6:7]
	s_cbranch_execz .LBB144_24
; %bb.21:
	v_mul_f32_e32 v0, s34, v0
	s_and_b64 vcc, exec, s[0:1]
	v_lshl_add_u64 v[4:5], v[4:5], 2, v[2:3]
	s_cbranch_vccnz .LBB144_23
; %bb.22:
	global_load_dword v9, v[4:5], off
	s_waitcnt vmcnt(0)
	v_fmac_f32_e32 v0, s33, v9
.LBB144_23:
	global_store_dword v[4:5], v0, off
.LBB144_24:
	s_or_b64 exec, exec, s[4:5]
	v_cmp_le_i32_e32 vcc, v6, v8
	s_and_b64 s[2:3], s[2:3], vcc
	s_and_saveexec_b64 s[4:5], s[2:3]
	s_cbranch_execz .LBB144_28
; %bb.25:
	v_mul_f32_e32 v4, s34, v1
	s_and_b64 vcc, exec, s[0:1]
	v_lshl_add_u64 v[0:1], v[6:7], 2, v[2:3]
	s_cbranch_vccnz .LBB144_27
; %bb.26:
	global_load_dword v2, v[0:1], off
	s_waitcnt vmcnt(0)
	v_fmac_f32_e32 v4, s33, v2
.LBB144_27:
	global_store_dword v[0:1], v4, off
.LBB144_28:
	s_endpgm
	.section	.rodata,"a",@progbits
	.p2align	6, 0x0
	.amdhsa_kernel _ZL29rocblas_internal_gemmt_kernelIlLi16ELi32ELi8ELc78ELc78ELc85ELb0ELb0EfPKfS1_PfEviT_T9_T10_S3_lS5_S3_lS4_T11_S3_li
		.amdhsa_group_segment_fixed_size 2048
		.amdhsa_private_segment_fixed_size 0
		.amdhsa_kernarg_size 108
		.amdhsa_user_sgpr_count 2
		.amdhsa_user_sgpr_dispatch_ptr 0
		.amdhsa_user_sgpr_queue_ptr 0
		.amdhsa_user_sgpr_kernarg_segment_ptr 1
		.amdhsa_user_sgpr_dispatch_id 0
		.amdhsa_user_sgpr_kernarg_preload_length 0
		.amdhsa_user_sgpr_kernarg_preload_offset 0
		.amdhsa_user_sgpr_private_segment_size 0
		.amdhsa_uses_dynamic_stack 0
		.amdhsa_enable_private_segment 0
		.amdhsa_system_sgpr_workgroup_id_x 1
		.amdhsa_system_sgpr_workgroup_id_y 1
		.amdhsa_system_sgpr_workgroup_id_z 1
		.amdhsa_system_sgpr_workgroup_info 0
		.amdhsa_system_vgpr_workitem_id 1
		.amdhsa_next_free_vgpr 50
		.amdhsa_next_free_sgpr 36
		.amdhsa_accum_offset 52
		.amdhsa_reserve_vcc 1
		.amdhsa_float_round_mode_32 0
		.amdhsa_float_round_mode_16_64 0
		.amdhsa_float_denorm_mode_32 3
		.amdhsa_float_denorm_mode_16_64 3
		.amdhsa_dx10_clamp 1
		.amdhsa_ieee_mode 1
		.amdhsa_fp16_overflow 0
		.amdhsa_tg_split 0
		.amdhsa_exception_fp_ieee_invalid_op 0
		.amdhsa_exception_fp_denorm_src 0
		.amdhsa_exception_fp_ieee_div_zero 0
		.amdhsa_exception_fp_ieee_overflow 0
		.amdhsa_exception_fp_ieee_underflow 0
		.amdhsa_exception_fp_ieee_inexact 0
		.amdhsa_exception_int_div_zero 0
	.end_amdhsa_kernel
	.section	.text._ZL29rocblas_internal_gemmt_kernelIlLi16ELi32ELi8ELc78ELc78ELc85ELb0ELb0EfPKfS1_PfEviT_T9_T10_S3_lS5_S3_lS4_T11_S3_li,"axG",@progbits,_ZL29rocblas_internal_gemmt_kernelIlLi16ELi32ELi8ELc78ELc78ELc85ELb0ELb0EfPKfS1_PfEviT_T9_T10_S3_lS5_S3_lS4_T11_S3_li,comdat
.Lfunc_end144:
	.size	_ZL29rocblas_internal_gemmt_kernelIlLi16ELi32ELi8ELc78ELc78ELc85ELb0ELb0EfPKfS1_PfEviT_T9_T10_S3_lS5_S3_lS4_T11_S3_li, .Lfunc_end144-_ZL29rocblas_internal_gemmt_kernelIlLi16ELi32ELi8ELc78ELc78ELc85ELb0ELb0EfPKfS1_PfEviT_T9_T10_S3_lS5_S3_lS4_T11_S3_li
                                        ; -- End function
	.set _ZL29rocblas_internal_gemmt_kernelIlLi16ELi32ELi8ELc78ELc78ELc85ELb0ELb0EfPKfS1_PfEviT_T9_T10_S3_lS5_S3_lS4_T11_S3_li.num_vgpr, 50
	.set _ZL29rocblas_internal_gemmt_kernelIlLi16ELi32ELi8ELc78ELc78ELc85ELb0ELb0EfPKfS1_PfEviT_T9_T10_S3_lS5_S3_lS4_T11_S3_li.num_agpr, 0
	.set _ZL29rocblas_internal_gemmt_kernelIlLi16ELi32ELi8ELc78ELc78ELc85ELb0ELb0EfPKfS1_PfEviT_T9_T10_S3_lS5_S3_lS4_T11_S3_li.numbered_sgpr, 36
	.set _ZL29rocblas_internal_gemmt_kernelIlLi16ELi32ELi8ELc78ELc78ELc85ELb0ELb0EfPKfS1_PfEviT_T9_T10_S3_lS5_S3_lS4_T11_S3_li.num_named_barrier, 0
	.set _ZL29rocblas_internal_gemmt_kernelIlLi16ELi32ELi8ELc78ELc78ELc85ELb0ELb0EfPKfS1_PfEviT_T9_T10_S3_lS5_S3_lS4_T11_S3_li.private_seg_size, 0
	.set _ZL29rocblas_internal_gemmt_kernelIlLi16ELi32ELi8ELc78ELc78ELc85ELb0ELb0EfPKfS1_PfEviT_T9_T10_S3_lS5_S3_lS4_T11_S3_li.uses_vcc, 1
	.set _ZL29rocblas_internal_gemmt_kernelIlLi16ELi32ELi8ELc78ELc78ELc85ELb0ELb0EfPKfS1_PfEviT_T9_T10_S3_lS5_S3_lS4_T11_S3_li.uses_flat_scratch, 0
	.set _ZL29rocblas_internal_gemmt_kernelIlLi16ELi32ELi8ELc78ELc78ELc85ELb0ELb0EfPKfS1_PfEviT_T9_T10_S3_lS5_S3_lS4_T11_S3_li.has_dyn_sized_stack, 0
	.set _ZL29rocblas_internal_gemmt_kernelIlLi16ELi32ELi8ELc78ELc78ELc85ELb0ELb0EfPKfS1_PfEviT_T9_T10_S3_lS5_S3_lS4_T11_S3_li.has_recursion, 0
	.set _ZL29rocblas_internal_gemmt_kernelIlLi16ELi32ELi8ELc78ELc78ELc85ELb0ELb0EfPKfS1_PfEviT_T9_T10_S3_lS5_S3_lS4_T11_S3_li.has_indirect_call, 0
	.section	.AMDGPU.csdata,"",@progbits
; Kernel info:
; codeLenInByte = 1296
; TotalNumSgprs: 42
; NumVgprs: 50
; NumAgprs: 0
; TotalNumVgprs: 50
; ScratchSize: 0
; MemoryBound: 0
; FloatMode: 240
; IeeeMode: 1
; LDSByteSize: 2048 bytes/workgroup (compile time only)
; SGPRBlocks: 5
; VGPRBlocks: 6
; NumSGPRsForWavesPerEU: 42
; NumVGPRsForWavesPerEU: 50
; AccumOffset: 52
; Occupancy: 8
; WaveLimiterHint : 0
; COMPUTE_PGM_RSRC2:SCRATCH_EN: 0
; COMPUTE_PGM_RSRC2:USER_SGPR: 2
; COMPUTE_PGM_RSRC2:TRAP_HANDLER: 0
; COMPUTE_PGM_RSRC2:TGID_X_EN: 1
; COMPUTE_PGM_RSRC2:TGID_Y_EN: 1
; COMPUTE_PGM_RSRC2:TGID_Z_EN: 1
; COMPUTE_PGM_RSRC2:TIDIG_COMP_CNT: 1
; COMPUTE_PGM_RSRC3_GFX90A:ACCUM_OFFSET: 12
; COMPUTE_PGM_RSRC3_GFX90A:TG_SPLIT: 0
	.section	.text._ZL29rocblas_internal_gemmt_kernelIlLi16ELi32ELi8ELc78ELc84ELc85ELb0ELb0EfPKfS1_PfEviT_T9_T10_S3_lS5_S3_lS4_T11_S3_li,"axG",@progbits,_ZL29rocblas_internal_gemmt_kernelIlLi16ELi32ELi8ELc78ELc84ELc85ELb0ELb0EfPKfS1_PfEviT_T9_T10_S3_lS5_S3_lS4_T11_S3_li,comdat
	.globl	_ZL29rocblas_internal_gemmt_kernelIlLi16ELi32ELi8ELc78ELc84ELc85ELb0ELb0EfPKfS1_PfEviT_T9_T10_S3_lS5_S3_lS4_T11_S3_li ; -- Begin function _ZL29rocblas_internal_gemmt_kernelIlLi16ELi32ELi8ELc78ELc84ELc85ELb0ELb0EfPKfS1_PfEviT_T9_T10_S3_lS5_S3_lS4_T11_S3_li
	.p2align	8
	.type	_ZL29rocblas_internal_gemmt_kernelIlLi16ELi32ELi8ELc78ELc84ELc85ELb0ELb0EfPKfS1_PfEviT_T9_T10_S3_lS5_S3_lS4_T11_S3_li,@function
_ZL29rocblas_internal_gemmt_kernelIlLi16ELi32ELi8ELc78ELc84ELc85ELb0ELb0EfPKfS1_PfEviT_T9_T10_S3_lS5_S3_lS4_T11_S3_li: ; @_ZL29rocblas_internal_gemmt_kernelIlLi16ELi32ELi8ELc78ELc84ELc85ELb0ELb0EfPKfS1_PfEviT_T9_T10_S3_lS5_S3_lS4_T11_S3_li
; %bb.0:
	s_load_dwordx8 s[24:31], s[0:1], 0x48
	s_load_dwordx16 s[8:23], s[0:1], 0x8
	s_waitcnt lgkmcnt(0)
	s_load_dword s33, s[24:25], 0x0
	s_load_dword s34, s[10:11], 0x0
	s_waitcnt lgkmcnt(0)
	v_cmp_neq_f32_e64 s[6:7], s33, 1.0
	s_and_b64 vcc, exec, s[6:7]
	s_cbranch_vccnz .LBB145_2
; %bb.1:
	s_cmp_lg_u64 s[8:9], 0
	s_cselect_b64 s[6:7], -1, 0
	v_cmp_neq_f32_e64 s[10:11], s34, 0
	s_and_b64 s[6:7], s[6:7], s[10:11]
.LBB145_2:
	s_andn2_b64 vcc, exec, s[6:7]
	s_cbranch_vccnz .LBB145_28
; %bb.3:
	s_load_dword s24, s[0:1], 0x0
	s_lshl_b32 s25, s2, 5
	s_lshl_b32 s35, s3, 5
	v_cmp_eq_f32_e64 s[0:1], s34, 0
	v_cmp_lt_i64_e64 s[2:3], s[8:9], 1
	v_mov_b32_e32 v3, 0
	s_or_b64 s[0:1], s[0:1], s[2:3]
	v_and_b32_e32 v5, 0x3ff, v0
	v_bfe_u32 v7, v0, 10, 10
	s_and_b64 vcc, exec, s[0:1]
	v_mov_b32_e32 v2, v3
	v_mov_b32_e32 v1, v3
	;; [unrolled: 1-line block ×3, first 2 shown]
	s_cbranch_vccnz .LBB145_12
; %bb.4:
	s_mul_i32 s0, s23, s4
	s_mul_hi_u32 s1, s22, s4
	s_add_i32 s1, s1, s0
	s_mul_i32 s0, s22, s4
	s_lshl_b64 s[0:1], s[0:1], 2
	v_lshl_add_u32 v1, v7, 4, v5
	s_add_u32 s6, s18, s0
	v_lshrrev_b32_e32 v6, 5, v1
	v_lshrrev_b32_e32 v10, 3, v1
	v_and_b32_e32 v1, 31, v1
	s_addc_u32 s7, s19, s1
	s_mul_i32 s0, s17, s4
	s_mul_hi_u32 s1, s16, s4
	v_and_b32_e32 v4, 7, v5
	v_or_b32_e32 v2, s25, v1
	s_add_i32 s1, s1, s0
	s_mul_i32 s0, s16, s4
	v_lshlrev_b32_e32 v1, 2, v1
	s_lshl_b64 s[0:1], s[0:1], 2
	v_lshl_or_b32 v14, v6, 7, v1
	v_lshlrev_b32_e32 v1, 2, v4
	v_add_u32_e32 v0, s35, v10
	s_add_u32 s2, s12, s0
	v_lshl_or_b32 v1, v10, 5, v1
	s_addc_u32 s3, s13, s1
	v_ashrrev_i32_e32 v3, 31, v2
	v_add_u32_e32 v15, 0x400, v1
	v_ashrrev_i32_e32 v1, 31, v0
	v_lshl_add_u64 v[8:9], v[2:3], 2, s[2:3]
	s_waitcnt lgkmcnt(0)
	v_cmp_gt_i32_e64 s[2:3], s24, v0
	v_lshl_add_u64 v[10:11], v[0:1], 2, s[6:7]
	v_mov_b32_e32 v0, 0x400
	v_mov_b32_e32 v13, 0
	v_cmp_gt_i32_e64 s[0:1], s24, v2
	v_lshlrev_b32_e32 v16, 2, v5
	v_lshl_add_u32 v17, v7, 5, v0
	s_mov_b64 s[6:7], 0
	v_mov_b32_e32 v0, v13
	v_mov_b32_e32 v1, v13
	;; [unrolled: 1-line block ×4, first 2 shown]
	s_branch .LBB145_6
.LBB145_5:                              ;   in Loop: Header=BB145_6 Depth=1
	s_or_b64 exec, exec, s[10:11]
	s_waitcnt vmcnt(0)
	ds_write_b32 v15, v18
	s_waitcnt lgkmcnt(0)
	s_barrier
	ds_read_b128 v[18:21], v17
	ds_read_b128 v[22:25], v17 offset:16
	ds_read2_b32 v[34:35], v16 offset1:16
	ds_read2_b32 v[36:37], v16 offset0:32 offset1:48
	ds_read2_b32 v[38:39], v16 offset0:64 offset1:80
	;; [unrolled: 1-line block ×4, first 2 shown]
	ds_read_b128 v[26:29], v17 offset:512
	ds_read_b128 v[30:33], v17 offset:528
	ds_read2_b32 v[44:45], v16 offset0:160 offset1:176
	ds_read2_b32 v[46:47], v16 offset0:192 offset1:208
	;; [unrolled: 1-line block ×3, first 2 shown]
	s_waitcnt lgkmcnt(9)
	v_pk_fma_f32 v[2:3], v[34:35], v[18:19], v[2:3] op_sel_hi:[1,0,1]
	v_mov_b32_e32 v12, v21
	s_waitcnt lgkmcnt(8)
	v_pk_fma_f32 v[2:3], v[36:37], v[18:19], v[2:3] op_sel:[0,1,0]
	s_waitcnt lgkmcnt(4)
	v_pk_fma_f32 v[0:1], v[34:35], v[26:27], v[0:1] op_sel_hi:[1,0,1]
	v_pk_fma_f32 v[2:3], v[38:39], v[20:21], v[2:3] op_sel_hi:[1,0,1]
	v_pk_fma_f32 v[0:1], v[36:37], v[26:27], v[0:1] op_sel:[0,1,0]
	v_pk_fma_f32 v[2:3], v[40:41], v[12:13], v[2:3] op_sel_hi:[1,0,1]
	v_mov_b32_e32 v12, v25
	v_pk_fma_f32 v[2:3], v[42:43], v[22:23], v[2:3] op_sel_hi:[1,0,1]
	v_pk_fma_f32 v[0:1], v[38:39], v[28:29], v[0:1] op_sel_hi:[1,0,1]
	s_waitcnt lgkmcnt(2)
	v_pk_fma_f32 v[2:3], v[44:45], v[22:23], v[2:3] op_sel:[0,1,0]
	s_add_u32 s6, s6, 8
	s_waitcnt lgkmcnt(1)
	v_pk_fma_f32 v[2:3], v[46:47], v[24:25], v[2:3] op_sel_hi:[1,0,1]
	s_addc_u32 s7, s7, 0
	s_waitcnt lgkmcnt(0)
	v_pk_fma_f32 v[2:3], v[48:49], v[12:13], v[2:3] op_sel_hi:[1,0,1]
	v_mov_b32_e32 v12, v29
	v_pk_fma_f32 v[0:1], v[40:41], v[12:13], v[0:1] op_sel_hi:[1,0,1]
	v_mov_b64_e32 v[18:19], s[6:7]
	v_pk_fma_f32 v[0:1], v[42:43], v[30:31], v[0:1] op_sel_hi:[1,0,1]
	v_mov_b32_e32 v12, v33
	v_pk_fma_f32 v[0:1], v[44:45], v[30:31], v[0:1] op_sel:[0,1,0]
	v_cmp_gt_i64_e32 vcc, s[8:9], v[18:19]
	v_pk_fma_f32 v[0:1], v[46:47], v[32:33], v[0:1] op_sel_hi:[1,0,1]
	s_nop 0
	v_pk_fma_f32 v[0:1], v[48:49], v[12:13], v[0:1] op_sel_hi:[1,0,1]
	s_barrier
	s_cbranch_vccz .LBB145_12
.LBB145_6:                              ; =>This Inner Loop Header: Depth=1
	v_mov_b32_e32 v18, 0
	s_and_saveexec_b64 s[10:11], s[0:1]
	s_cbranch_execz .LBB145_10
; %bb.7:                                ;   in Loop: Header=BB145_6 Depth=1
	v_add_u32_e32 v12, s6, v6
	v_cmp_gt_u64_e32 vcc, s[8:9], v[12:13]
	v_mov_b32_e32 v18, 0
	s_and_saveexec_b64 s[12:13], vcc
	s_cbranch_execz .LBB145_9
; %bb.8:                                ;   in Loop: Header=BB145_6 Depth=1
	v_mad_u64_u32 v[18:19], s[16:17], s14, v12, 0
	v_mov_b32_e32 v20, v19
	v_mad_u64_u32 v[20:21], s[16:17], s15, v12, v[20:21]
	v_mov_b32_e32 v19, v20
	v_lshl_add_u64 v[18:19], v[18:19], 2, v[8:9]
	global_load_dword v18, v[18:19], off
.LBB145_9:                              ;   in Loop: Header=BB145_6 Depth=1
	s_or_b64 exec, exec, s[12:13]
.LBB145_10:                             ;   in Loop: Header=BB145_6 Depth=1
	s_or_b64 exec, exec, s[10:11]
	v_add_u32_e32 v12, s6, v4
	v_cmp_gt_u64_e32 vcc, s[8:9], v[12:13]
	s_waitcnt vmcnt(0)
	ds_write_b32 v14, v18
	s_and_b64 s[12:13], vcc, s[2:3]
	v_mov_b32_e32 v18, 0
	s_and_saveexec_b64 s[10:11], s[12:13]
	s_cbranch_execz .LBB145_5
; %bb.11:                               ;   in Loop: Header=BB145_6 Depth=1
	v_mad_u64_u32 v[18:19], s[12:13], s20, v12, 0
	v_mov_b32_e32 v20, v19
	v_mad_u64_u32 v[20:21], s[12:13], s21, v12, v[20:21]
	v_mov_b32_e32 v19, v20
	v_lshl_add_u64 v[18:19], v[18:19], 2, v[10:11]
	global_load_dword v18, v[18:19], off
	s_branch .LBB145_5
.LBB145_12:
	s_mul_i32 s0, s31, s4
	s_mul_hi_u32 s1, s30, s4
	s_add_i32 s1, s1, s0
	s_mul_i32 s0, s30, s4
	s_lshl_b64 s[0:1], s[0:1], 2
	v_add_u32_e32 v10, s35, v7
	s_add_u32 s4, s26, s0
	v_add_u32_e32 v4, s25, v5
	v_ashrrev_i32_e32 v5, 31, v10
	s_addc_u32 s5, s27, s1
	v_mul_lo_u32 v5, s28, v5
	v_mul_lo_u32 v8, s29, v10
	v_mad_u64_u32 v[6:7], s[0:1], s28, v10, 0
	v_add3_u32 v7, v7, v5, v8
	v_cmp_neq_f32_e64 s[0:1], s33, 0
	s_waitcnt lgkmcnt(0)
	v_cmp_gt_i32_e64 s[2:3], s24, v10
	v_lshl_add_u64 v[8:9], v[6:7], 2, s[4:5]
	v_cmp_le_i32_e32 vcc, v4, v10
	v_cndmask_b32_e64 v6, 0, 1, s[0:1]
	s_and_b64 s[8:9], s[2:3], vcc
	v_ashrrev_i32_e32 v5, 31, v4
	v_cmp_ne_u32_e64 s[0:1], 1, v6
	s_and_saveexec_b64 s[6:7], s[8:9]
	s_cbranch_execz .LBB145_16
; %bb.13:
	v_mul_f32_e32 v2, s34, v2
	s_and_b64 vcc, exec, s[0:1]
	v_lshl_add_u64 v[6:7], v[4:5], 2, v[8:9]
	s_cbranch_vccnz .LBB145_15
; %bb.14:
	global_load_dword v11, v[6:7], off
	s_waitcnt vmcnt(0)
	v_fmac_f32_e32 v2, s33, v11
.LBB145_15:
	global_store_dword v[6:7], v2, off
.LBB145_16:
	s_or_b64 exec, exec, s[6:7]
	v_add_u32_e32 v6, 16, v4
	v_cmp_le_i32_e32 vcc, v6, v10
	s_and_b64 s[6:7], s[2:3], vcc
	v_ashrrev_i32_e32 v7, 31, v6
	s_and_saveexec_b64 s[2:3], s[6:7]
	s_cbranch_execz .LBB145_20
; %bb.17:
	v_mul_f32_e32 v11, s34, v3
	s_and_b64 vcc, exec, s[0:1]
	v_lshl_add_u64 v[2:3], v[6:7], 2, v[8:9]
	s_cbranch_vccnz .LBB145_19
; %bb.18:
	global_load_dword v8, v[2:3], off
	s_waitcnt vmcnt(0)
	v_fmac_f32_e32 v11, s33, v8
.LBB145_19:
	global_store_dword v[2:3], v11, off
.LBB145_20:
	s_or_b64 exec, exec, s[2:3]
	v_add_u32_e32 v8, 16, v10
	v_ashrrev_i32_e32 v2, 31, v8
	v_mul_lo_u32 v9, s28, v2
	v_mul_lo_u32 v10, s29, v8
	v_mad_u64_u32 v[2:3], s[6:7], s28, v8, 0
	v_cmp_gt_i32_e64 s[2:3], s24, v8
	v_add3_u32 v3, v3, v9, v10
	v_cmp_le_i32_e32 vcc, v4, v8
	v_lshl_add_u64 v[2:3], v[2:3], 2, s[4:5]
	s_and_b64 s[6:7], s[2:3], vcc
	s_and_saveexec_b64 s[4:5], s[6:7]
	s_cbranch_execz .LBB145_24
; %bb.21:
	v_mul_f32_e32 v0, s34, v0
	s_and_b64 vcc, exec, s[0:1]
	v_lshl_add_u64 v[4:5], v[4:5], 2, v[2:3]
	s_cbranch_vccnz .LBB145_23
; %bb.22:
	global_load_dword v9, v[4:5], off
	s_waitcnt vmcnt(0)
	v_fmac_f32_e32 v0, s33, v9
.LBB145_23:
	global_store_dword v[4:5], v0, off
.LBB145_24:
	s_or_b64 exec, exec, s[4:5]
	v_cmp_le_i32_e32 vcc, v6, v8
	s_and_b64 s[2:3], s[2:3], vcc
	s_and_saveexec_b64 s[4:5], s[2:3]
	s_cbranch_execz .LBB145_28
; %bb.25:
	v_mul_f32_e32 v4, s34, v1
	s_and_b64 vcc, exec, s[0:1]
	v_lshl_add_u64 v[0:1], v[6:7], 2, v[2:3]
	s_cbranch_vccnz .LBB145_27
; %bb.26:
	global_load_dword v2, v[0:1], off
	s_waitcnt vmcnt(0)
	v_fmac_f32_e32 v4, s33, v2
.LBB145_27:
	global_store_dword v[0:1], v4, off
.LBB145_28:
	s_endpgm
	.section	.rodata,"a",@progbits
	.p2align	6, 0x0
	.amdhsa_kernel _ZL29rocblas_internal_gemmt_kernelIlLi16ELi32ELi8ELc78ELc84ELc85ELb0ELb0EfPKfS1_PfEviT_T9_T10_S3_lS5_S3_lS4_T11_S3_li
		.amdhsa_group_segment_fixed_size 2048
		.amdhsa_private_segment_fixed_size 0
		.amdhsa_kernarg_size 108
		.amdhsa_user_sgpr_count 2
		.amdhsa_user_sgpr_dispatch_ptr 0
		.amdhsa_user_sgpr_queue_ptr 0
		.amdhsa_user_sgpr_kernarg_segment_ptr 1
		.amdhsa_user_sgpr_dispatch_id 0
		.amdhsa_user_sgpr_kernarg_preload_length 0
		.amdhsa_user_sgpr_kernarg_preload_offset 0
		.amdhsa_user_sgpr_private_segment_size 0
		.amdhsa_uses_dynamic_stack 0
		.amdhsa_enable_private_segment 0
		.amdhsa_system_sgpr_workgroup_id_x 1
		.amdhsa_system_sgpr_workgroup_id_y 1
		.amdhsa_system_sgpr_workgroup_id_z 1
		.amdhsa_system_sgpr_workgroup_info 0
		.amdhsa_system_vgpr_workitem_id 1
		.amdhsa_next_free_vgpr 50
		.amdhsa_next_free_sgpr 36
		.amdhsa_accum_offset 52
		.amdhsa_reserve_vcc 1
		.amdhsa_float_round_mode_32 0
		.amdhsa_float_round_mode_16_64 0
		.amdhsa_float_denorm_mode_32 3
		.amdhsa_float_denorm_mode_16_64 3
		.amdhsa_dx10_clamp 1
		.amdhsa_ieee_mode 1
		.amdhsa_fp16_overflow 0
		.amdhsa_tg_split 0
		.amdhsa_exception_fp_ieee_invalid_op 0
		.amdhsa_exception_fp_denorm_src 0
		.amdhsa_exception_fp_ieee_div_zero 0
		.amdhsa_exception_fp_ieee_overflow 0
		.amdhsa_exception_fp_ieee_underflow 0
		.amdhsa_exception_fp_ieee_inexact 0
		.amdhsa_exception_int_div_zero 0
	.end_amdhsa_kernel
	.section	.text._ZL29rocblas_internal_gemmt_kernelIlLi16ELi32ELi8ELc78ELc84ELc85ELb0ELb0EfPKfS1_PfEviT_T9_T10_S3_lS5_S3_lS4_T11_S3_li,"axG",@progbits,_ZL29rocblas_internal_gemmt_kernelIlLi16ELi32ELi8ELc78ELc84ELc85ELb0ELb0EfPKfS1_PfEviT_T9_T10_S3_lS5_S3_lS4_T11_S3_li,comdat
.Lfunc_end145:
	.size	_ZL29rocblas_internal_gemmt_kernelIlLi16ELi32ELi8ELc78ELc84ELc85ELb0ELb0EfPKfS1_PfEviT_T9_T10_S3_lS5_S3_lS4_T11_S3_li, .Lfunc_end145-_ZL29rocblas_internal_gemmt_kernelIlLi16ELi32ELi8ELc78ELc84ELc85ELb0ELb0EfPKfS1_PfEviT_T9_T10_S3_lS5_S3_lS4_T11_S3_li
                                        ; -- End function
	.set _ZL29rocblas_internal_gemmt_kernelIlLi16ELi32ELi8ELc78ELc84ELc85ELb0ELb0EfPKfS1_PfEviT_T9_T10_S3_lS5_S3_lS4_T11_S3_li.num_vgpr, 50
	.set _ZL29rocblas_internal_gemmt_kernelIlLi16ELi32ELi8ELc78ELc84ELc85ELb0ELb0EfPKfS1_PfEviT_T9_T10_S3_lS5_S3_lS4_T11_S3_li.num_agpr, 0
	.set _ZL29rocblas_internal_gemmt_kernelIlLi16ELi32ELi8ELc78ELc84ELc85ELb0ELb0EfPKfS1_PfEviT_T9_T10_S3_lS5_S3_lS4_T11_S3_li.numbered_sgpr, 36
	.set _ZL29rocblas_internal_gemmt_kernelIlLi16ELi32ELi8ELc78ELc84ELc85ELb0ELb0EfPKfS1_PfEviT_T9_T10_S3_lS5_S3_lS4_T11_S3_li.num_named_barrier, 0
	.set _ZL29rocblas_internal_gemmt_kernelIlLi16ELi32ELi8ELc78ELc84ELc85ELb0ELb0EfPKfS1_PfEviT_T9_T10_S3_lS5_S3_lS4_T11_S3_li.private_seg_size, 0
	.set _ZL29rocblas_internal_gemmt_kernelIlLi16ELi32ELi8ELc78ELc84ELc85ELb0ELb0EfPKfS1_PfEviT_T9_T10_S3_lS5_S3_lS4_T11_S3_li.uses_vcc, 1
	.set _ZL29rocblas_internal_gemmt_kernelIlLi16ELi32ELi8ELc78ELc84ELc85ELb0ELb0EfPKfS1_PfEviT_T9_T10_S3_lS5_S3_lS4_T11_S3_li.uses_flat_scratch, 0
	.set _ZL29rocblas_internal_gemmt_kernelIlLi16ELi32ELi8ELc78ELc84ELc85ELb0ELb0EfPKfS1_PfEviT_T9_T10_S3_lS5_S3_lS4_T11_S3_li.has_dyn_sized_stack, 0
	.set _ZL29rocblas_internal_gemmt_kernelIlLi16ELi32ELi8ELc78ELc84ELc85ELb0ELb0EfPKfS1_PfEviT_T9_T10_S3_lS5_S3_lS4_T11_S3_li.has_recursion, 0
	.set _ZL29rocblas_internal_gemmt_kernelIlLi16ELi32ELi8ELc78ELc84ELc85ELb0ELb0EfPKfS1_PfEviT_T9_T10_S3_lS5_S3_lS4_T11_S3_li.has_indirect_call, 0
	.section	.AMDGPU.csdata,"",@progbits
; Kernel info:
; codeLenInByte = 1288
; TotalNumSgprs: 42
; NumVgprs: 50
; NumAgprs: 0
; TotalNumVgprs: 50
; ScratchSize: 0
; MemoryBound: 0
; FloatMode: 240
; IeeeMode: 1
; LDSByteSize: 2048 bytes/workgroup (compile time only)
; SGPRBlocks: 5
; VGPRBlocks: 6
; NumSGPRsForWavesPerEU: 42
; NumVGPRsForWavesPerEU: 50
; AccumOffset: 52
; Occupancy: 8
; WaveLimiterHint : 0
; COMPUTE_PGM_RSRC2:SCRATCH_EN: 0
; COMPUTE_PGM_RSRC2:USER_SGPR: 2
; COMPUTE_PGM_RSRC2:TRAP_HANDLER: 0
; COMPUTE_PGM_RSRC2:TGID_X_EN: 1
; COMPUTE_PGM_RSRC2:TGID_Y_EN: 1
; COMPUTE_PGM_RSRC2:TGID_Z_EN: 1
; COMPUTE_PGM_RSRC2:TIDIG_COMP_CNT: 1
; COMPUTE_PGM_RSRC3_GFX90A:ACCUM_OFFSET: 12
; COMPUTE_PGM_RSRC3_GFX90A:TG_SPLIT: 0
	.section	.text._ZL29rocblas_internal_gemmt_kernelIlLi16ELi32ELi8ELc78ELc67ELc85ELb0ELb0EfPKfS1_PfEviT_T9_T10_S3_lS5_S3_lS4_T11_S3_li,"axG",@progbits,_ZL29rocblas_internal_gemmt_kernelIlLi16ELi32ELi8ELc78ELc67ELc85ELb0ELb0EfPKfS1_PfEviT_T9_T10_S3_lS5_S3_lS4_T11_S3_li,comdat
	.globl	_ZL29rocblas_internal_gemmt_kernelIlLi16ELi32ELi8ELc78ELc67ELc85ELb0ELb0EfPKfS1_PfEviT_T9_T10_S3_lS5_S3_lS4_T11_S3_li ; -- Begin function _ZL29rocblas_internal_gemmt_kernelIlLi16ELi32ELi8ELc78ELc67ELc85ELb0ELb0EfPKfS1_PfEviT_T9_T10_S3_lS5_S3_lS4_T11_S3_li
	.p2align	8
	.type	_ZL29rocblas_internal_gemmt_kernelIlLi16ELi32ELi8ELc78ELc67ELc85ELb0ELb0EfPKfS1_PfEviT_T9_T10_S3_lS5_S3_lS4_T11_S3_li,@function
_ZL29rocblas_internal_gemmt_kernelIlLi16ELi32ELi8ELc78ELc67ELc85ELb0ELb0EfPKfS1_PfEviT_T9_T10_S3_lS5_S3_lS4_T11_S3_li: ; @_ZL29rocblas_internal_gemmt_kernelIlLi16ELi32ELi8ELc78ELc67ELc85ELb0ELb0EfPKfS1_PfEviT_T9_T10_S3_lS5_S3_lS4_T11_S3_li
; %bb.0:
	s_load_dwordx8 s[24:31], s[0:1], 0x48
	s_load_dwordx16 s[8:23], s[0:1], 0x8
	s_waitcnt lgkmcnt(0)
	s_load_dword s33, s[24:25], 0x0
	s_load_dword s34, s[10:11], 0x0
	s_waitcnt lgkmcnt(0)
	v_cmp_neq_f32_e64 s[6:7], s33, 1.0
	s_and_b64 vcc, exec, s[6:7]
	s_cbranch_vccnz .LBB146_2
; %bb.1:
	s_cmp_lg_u64 s[8:9], 0
	s_cselect_b64 s[6:7], -1, 0
	v_cmp_neq_f32_e64 s[10:11], s34, 0
	s_and_b64 s[6:7], s[6:7], s[10:11]
.LBB146_2:
	s_andn2_b64 vcc, exec, s[6:7]
	s_cbranch_vccnz .LBB146_28
; %bb.3:
	s_load_dword s24, s[0:1], 0x0
	s_lshl_b32 s25, s2, 5
	s_lshl_b32 s35, s3, 5
	v_cmp_eq_f32_e64 s[0:1], s34, 0
	v_cmp_lt_i64_e64 s[2:3], s[8:9], 1
	v_mov_b32_e32 v3, 0
	s_or_b64 s[0:1], s[0:1], s[2:3]
	v_and_b32_e32 v5, 0x3ff, v0
	v_bfe_u32 v7, v0, 10, 10
	s_and_b64 vcc, exec, s[0:1]
	v_mov_b32_e32 v2, v3
	v_mov_b32_e32 v1, v3
	;; [unrolled: 1-line block ×3, first 2 shown]
	s_cbranch_vccnz .LBB146_12
; %bb.4:
	s_mul_i32 s0, s23, s4
	s_mul_hi_u32 s1, s22, s4
	s_add_i32 s1, s1, s0
	s_mul_i32 s0, s22, s4
	s_lshl_b64 s[0:1], s[0:1], 2
	v_lshl_add_u32 v1, v7, 4, v5
	s_add_u32 s6, s18, s0
	v_lshrrev_b32_e32 v6, 5, v1
	v_lshrrev_b32_e32 v10, 3, v1
	v_and_b32_e32 v1, 31, v1
	s_addc_u32 s7, s19, s1
	s_mul_i32 s0, s17, s4
	s_mul_hi_u32 s1, s16, s4
	v_and_b32_e32 v4, 7, v5
	v_or_b32_e32 v2, s25, v1
	s_add_i32 s1, s1, s0
	s_mul_i32 s0, s16, s4
	v_lshlrev_b32_e32 v1, 2, v1
	s_lshl_b64 s[0:1], s[0:1], 2
	v_lshl_or_b32 v14, v6, 7, v1
	v_lshlrev_b32_e32 v1, 2, v4
	v_add_u32_e32 v0, s35, v10
	s_add_u32 s2, s12, s0
	v_lshl_or_b32 v1, v10, 5, v1
	s_addc_u32 s3, s13, s1
	v_ashrrev_i32_e32 v3, 31, v2
	v_add_u32_e32 v15, 0x400, v1
	v_ashrrev_i32_e32 v1, 31, v0
	v_lshl_add_u64 v[8:9], v[2:3], 2, s[2:3]
	s_waitcnt lgkmcnt(0)
	v_cmp_gt_i32_e64 s[2:3], s24, v0
	v_lshl_add_u64 v[10:11], v[0:1], 2, s[6:7]
	v_mov_b32_e32 v0, 0x400
	v_mov_b32_e32 v13, 0
	v_cmp_gt_i32_e64 s[0:1], s24, v2
	v_lshlrev_b32_e32 v16, 2, v5
	v_lshl_add_u32 v17, v7, 5, v0
	s_mov_b64 s[6:7], 0
	v_mov_b32_e32 v0, v13
	v_mov_b32_e32 v1, v13
	;; [unrolled: 1-line block ×4, first 2 shown]
	s_branch .LBB146_6
.LBB146_5:                              ;   in Loop: Header=BB146_6 Depth=1
	s_or_b64 exec, exec, s[10:11]
	s_waitcnt vmcnt(0)
	ds_write_b32 v15, v18
	s_waitcnt lgkmcnt(0)
	s_barrier
	ds_read_b128 v[18:21], v17
	ds_read_b128 v[22:25], v17 offset:16
	ds_read2_b32 v[34:35], v16 offset1:16
	ds_read2_b32 v[36:37], v16 offset0:32 offset1:48
	ds_read2_b32 v[38:39], v16 offset0:64 offset1:80
	;; [unrolled: 1-line block ×4, first 2 shown]
	ds_read_b128 v[26:29], v17 offset:512
	ds_read_b128 v[30:33], v17 offset:528
	ds_read2_b32 v[44:45], v16 offset0:160 offset1:176
	ds_read2_b32 v[46:47], v16 offset0:192 offset1:208
	;; [unrolled: 1-line block ×3, first 2 shown]
	s_waitcnt lgkmcnt(9)
	v_pk_fma_f32 v[2:3], v[34:35], v[18:19], v[2:3] op_sel_hi:[1,0,1]
	v_mov_b32_e32 v12, v21
	s_waitcnt lgkmcnt(8)
	v_pk_fma_f32 v[2:3], v[36:37], v[18:19], v[2:3] op_sel:[0,1,0]
	s_waitcnt lgkmcnt(4)
	v_pk_fma_f32 v[0:1], v[34:35], v[26:27], v[0:1] op_sel_hi:[1,0,1]
	v_pk_fma_f32 v[2:3], v[38:39], v[20:21], v[2:3] op_sel_hi:[1,0,1]
	v_pk_fma_f32 v[0:1], v[36:37], v[26:27], v[0:1] op_sel:[0,1,0]
	v_pk_fma_f32 v[2:3], v[40:41], v[12:13], v[2:3] op_sel_hi:[1,0,1]
	v_mov_b32_e32 v12, v25
	v_pk_fma_f32 v[2:3], v[42:43], v[22:23], v[2:3] op_sel_hi:[1,0,1]
	v_pk_fma_f32 v[0:1], v[38:39], v[28:29], v[0:1] op_sel_hi:[1,0,1]
	s_waitcnt lgkmcnt(2)
	v_pk_fma_f32 v[2:3], v[44:45], v[22:23], v[2:3] op_sel:[0,1,0]
	s_add_u32 s6, s6, 8
	s_waitcnt lgkmcnt(1)
	v_pk_fma_f32 v[2:3], v[46:47], v[24:25], v[2:3] op_sel_hi:[1,0,1]
	s_addc_u32 s7, s7, 0
	s_waitcnt lgkmcnt(0)
	v_pk_fma_f32 v[2:3], v[48:49], v[12:13], v[2:3] op_sel_hi:[1,0,1]
	v_mov_b32_e32 v12, v29
	v_pk_fma_f32 v[0:1], v[40:41], v[12:13], v[0:1] op_sel_hi:[1,0,1]
	v_mov_b64_e32 v[18:19], s[6:7]
	v_pk_fma_f32 v[0:1], v[42:43], v[30:31], v[0:1] op_sel_hi:[1,0,1]
	v_mov_b32_e32 v12, v33
	v_pk_fma_f32 v[0:1], v[44:45], v[30:31], v[0:1] op_sel:[0,1,0]
	v_cmp_gt_i64_e32 vcc, s[8:9], v[18:19]
	v_pk_fma_f32 v[0:1], v[46:47], v[32:33], v[0:1] op_sel_hi:[1,0,1]
	s_nop 0
	v_pk_fma_f32 v[0:1], v[48:49], v[12:13], v[0:1] op_sel_hi:[1,0,1]
	s_barrier
	s_cbranch_vccz .LBB146_12
.LBB146_6:                              ; =>This Inner Loop Header: Depth=1
	v_mov_b32_e32 v18, 0
	s_and_saveexec_b64 s[10:11], s[0:1]
	s_cbranch_execz .LBB146_10
; %bb.7:                                ;   in Loop: Header=BB146_6 Depth=1
	v_add_u32_e32 v12, s6, v6
	v_cmp_gt_u64_e32 vcc, s[8:9], v[12:13]
	v_mov_b32_e32 v18, 0
	s_and_saveexec_b64 s[12:13], vcc
	s_cbranch_execz .LBB146_9
; %bb.8:                                ;   in Loop: Header=BB146_6 Depth=1
	v_mad_u64_u32 v[18:19], s[16:17], s14, v12, 0
	v_mov_b32_e32 v20, v19
	v_mad_u64_u32 v[20:21], s[16:17], s15, v12, v[20:21]
	v_mov_b32_e32 v19, v20
	v_lshl_add_u64 v[18:19], v[18:19], 2, v[8:9]
	global_load_dword v18, v[18:19], off
.LBB146_9:                              ;   in Loop: Header=BB146_6 Depth=1
	s_or_b64 exec, exec, s[12:13]
.LBB146_10:                             ;   in Loop: Header=BB146_6 Depth=1
	s_or_b64 exec, exec, s[10:11]
	v_add_u32_e32 v12, s6, v4
	v_cmp_gt_u64_e32 vcc, s[8:9], v[12:13]
	s_waitcnt vmcnt(0)
	ds_write_b32 v14, v18
	s_and_b64 s[12:13], vcc, s[2:3]
	v_mov_b32_e32 v18, 0
	s_and_saveexec_b64 s[10:11], s[12:13]
	s_cbranch_execz .LBB146_5
; %bb.11:                               ;   in Loop: Header=BB146_6 Depth=1
	v_mad_u64_u32 v[18:19], s[12:13], s20, v12, 0
	v_mov_b32_e32 v20, v19
	v_mad_u64_u32 v[20:21], s[12:13], s21, v12, v[20:21]
	v_mov_b32_e32 v19, v20
	v_lshl_add_u64 v[18:19], v[18:19], 2, v[10:11]
	global_load_dword v18, v[18:19], off
	s_branch .LBB146_5
.LBB146_12:
	s_mul_i32 s0, s31, s4
	s_mul_hi_u32 s1, s30, s4
	s_add_i32 s1, s1, s0
	s_mul_i32 s0, s30, s4
	s_lshl_b64 s[0:1], s[0:1], 2
	v_add_u32_e32 v10, s35, v7
	s_add_u32 s4, s26, s0
	v_add_u32_e32 v4, s25, v5
	v_ashrrev_i32_e32 v5, 31, v10
	s_addc_u32 s5, s27, s1
	v_mul_lo_u32 v5, s28, v5
	v_mul_lo_u32 v8, s29, v10
	v_mad_u64_u32 v[6:7], s[0:1], s28, v10, 0
	v_add3_u32 v7, v7, v5, v8
	v_cmp_neq_f32_e64 s[0:1], s33, 0
	s_waitcnt lgkmcnt(0)
	v_cmp_gt_i32_e64 s[2:3], s24, v10
	v_lshl_add_u64 v[8:9], v[6:7], 2, s[4:5]
	v_cmp_le_i32_e32 vcc, v4, v10
	v_cndmask_b32_e64 v6, 0, 1, s[0:1]
	s_and_b64 s[8:9], s[2:3], vcc
	v_ashrrev_i32_e32 v5, 31, v4
	v_cmp_ne_u32_e64 s[0:1], 1, v6
	s_and_saveexec_b64 s[6:7], s[8:9]
	s_cbranch_execz .LBB146_16
; %bb.13:
	v_mul_f32_e32 v2, s34, v2
	s_and_b64 vcc, exec, s[0:1]
	v_lshl_add_u64 v[6:7], v[4:5], 2, v[8:9]
	s_cbranch_vccnz .LBB146_15
; %bb.14:
	global_load_dword v11, v[6:7], off
	s_waitcnt vmcnt(0)
	v_fmac_f32_e32 v2, s33, v11
.LBB146_15:
	global_store_dword v[6:7], v2, off
.LBB146_16:
	s_or_b64 exec, exec, s[6:7]
	v_add_u32_e32 v6, 16, v4
	v_cmp_le_i32_e32 vcc, v6, v10
	s_and_b64 s[6:7], s[2:3], vcc
	v_ashrrev_i32_e32 v7, 31, v6
	s_and_saveexec_b64 s[2:3], s[6:7]
	s_cbranch_execz .LBB146_20
; %bb.17:
	v_mul_f32_e32 v11, s34, v3
	s_and_b64 vcc, exec, s[0:1]
	v_lshl_add_u64 v[2:3], v[6:7], 2, v[8:9]
	s_cbranch_vccnz .LBB146_19
; %bb.18:
	global_load_dword v8, v[2:3], off
	s_waitcnt vmcnt(0)
	v_fmac_f32_e32 v11, s33, v8
.LBB146_19:
	global_store_dword v[2:3], v11, off
.LBB146_20:
	s_or_b64 exec, exec, s[2:3]
	v_add_u32_e32 v8, 16, v10
	v_ashrrev_i32_e32 v2, 31, v8
	v_mul_lo_u32 v9, s28, v2
	v_mul_lo_u32 v10, s29, v8
	v_mad_u64_u32 v[2:3], s[6:7], s28, v8, 0
	v_cmp_gt_i32_e64 s[2:3], s24, v8
	v_add3_u32 v3, v3, v9, v10
	v_cmp_le_i32_e32 vcc, v4, v8
	v_lshl_add_u64 v[2:3], v[2:3], 2, s[4:5]
	s_and_b64 s[6:7], s[2:3], vcc
	s_and_saveexec_b64 s[4:5], s[6:7]
	s_cbranch_execz .LBB146_24
; %bb.21:
	v_mul_f32_e32 v0, s34, v0
	s_and_b64 vcc, exec, s[0:1]
	v_lshl_add_u64 v[4:5], v[4:5], 2, v[2:3]
	s_cbranch_vccnz .LBB146_23
; %bb.22:
	global_load_dword v9, v[4:5], off
	s_waitcnt vmcnt(0)
	v_fmac_f32_e32 v0, s33, v9
.LBB146_23:
	global_store_dword v[4:5], v0, off
.LBB146_24:
	s_or_b64 exec, exec, s[4:5]
	v_cmp_le_i32_e32 vcc, v6, v8
	s_and_b64 s[2:3], s[2:3], vcc
	s_and_saveexec_b64 s[4:5], s[2:3]
	s_cbranch_execz .LBB146_28
; %bb.25:
	v_mul_f32_e32 v4, s34, v1
	s_and_b64 vcc, exec, s[0:1]
	v_lshl_add_u64 v[0:1], v[6:7], 2, v[2:3]
	s_cbranch_vccnz .LBB146_27
; %bb.26:
	global_load_dword v2, v[0:1], off
	s_waitcnt vmcnt(0)
	v_fmac_f32_e32 v4, s33, v2
.LBB146_27:
	global_store_dword v[0:1], v4, off
.LBB146_28:
	s_endpgm
	.section	.rodata,"a",@progbits
	.p2align	6, 0x0
	.amdhsa_kernel _ZL29rocblas_internal_gemmt_kernelIlLi16ELi32ELi8ELc78ELc67ELc85ELb0ELb0EfPKfS1_PfEviT_T9_T10_S3_lS5_S3_lS4_T11_S3_li
		.amdhsa_group_segment_fixed_size 2048
		.amdhsa_private_segment_fixed_size 0
		.amdhsa_kernarg_size 108
		.amdhsa_user_sgpr_count 2
		.amdhsa_user_sgpr_dispatch_ptr 0
		.amdhsa_user_sgpr_queue_ptr 0
		.amdhsa_user_sgpr_kernarg_segment_ptr 1
		.amdhsa_user_sgpr_dispatch_id 0
		.amdhsa_user_sgpr_kernarg_preload_length 0
		.amdhsa_user_sgpr_kernarg_preload_offset 0
		.amdhsa_user_sgpr_private_segment_size 0
		.amdhsa_uses_dynamic_stack 0
		.amdhsa_enable_private_segment 0
		.amdhsa_system_sgpr_workgroup_id_x 1
		.amdhsa_system_sgpr_workgroup_id_y 1
		.amdhsa_system_sgpr_workgroup_id_z 1
		.amdhsa_system_sgpr_workgroup_info 0
		.amdhsa_system_vgpr_workitem_id 1
		.amdhsa_next_free_vgpr 50
		.amdhsa_next_free_sgpr 36
		.amdhsa_accum_offset 52
		.amdhsa_reserve_vcc 1
		.amdhsa_float_round_mode_32 0
		.amdhsa_float_round_mode_16_64 0
		.amdhsa_float_denorm_mode_32 3
		.amdhsa_float_denorm_mode_16_64 3
		.amdhsa_dx10_clamp 1
		.amdhsa_ieee_mode 1
		.amdhsa_fp16_overflow 0
		.amdhsa_tg_split 0
		.amdhsa_exception_fp_ieee_invalid_op 0
		.amdhsa_exception_fp_denorm_src 0
		.amdhsa_exception_fp_ieee_div_zero 0
		.amdhsa_exception_fp_ieee_overflow 0
		.amdhsa_exception_fp_ieee_underflow 0
		.amdhsa_exception_fp_ieee_inexact 0
		.amdhsa_exception_int_div_zero 0
	.end_amdhsa_kernel
	.section	.text._ZL29rocblas_internal_gemmt_kernelIlLi16ELi32ELi8ELc78ELc67ELc85ELb0ELb0EfPKfS1_PfEviT_T9_T10_S3_lS5_S3_lS4_T11_S3_li,"axG",@progbits,_ZL29rocblas_internal_gemmt_kernelIlLi16ELi32ELi8ELc78ELc67ELc85ELb0ELb0EfPKfS1_PfEviT_T9_T10_S3_lS5_S3_lS4_T11_S3_li,comdat
.Lfunc_end146:
	.size	_ZL29rocblas_internal_gemmt_kernelIlLi16ELi32ELi8ELc78ELc67ELc85ELb0ELb0EfPKfS1_PfEviT_T9_T10_S3_lS5_S3_lS4_T11_S3_li, .Lfunc_end146-_ZL29rocblas_internal_gemmt_kernelIlLi16ELi32ELi8ELc78ELc67ELc85ELb0ELb0EfPKfS1_PfEviT_T9_T10_S3_lS5_S3_lS4_T11_S3_li
                                        ; -- End function
	.set _ZL29rocblas_internal_gemmt_kernelIlLi16ELi32ELi8ELc78ELc67ELc85ELb0ELb0EfPKfS1_PfEviT_T9_T10_S3_lS5_S3_lS4_T11_S3_li.num_vgpr, 50
	.set _ZL29rocblas_internal_gemmt_kernelIlLi16ELi32ELi8ELc78ELc67ELc85ELb0ELb0EfPKfS1_PfEviT_T9_T10_S3_lS5_S3_lS4_T11_S3_li.num_agpr, 0
	.set _ZL29rocblas_internal_gemmt_kernelIlLi16ELi32ELi8ELc78ELc67ELc85ELb0ELb0EfPKfS1_PfEviT_T9_T10_S3_lS5_S3_lS4_T11_S3_li.numbered_sgpr, 36
	.set _ZL29rocblas_internal_gemmt_kernelIlLi16ELi32ELi8ELc78ELc67ELc85ELb0ELb0EfPKfS1_PfEviT_T9_T10_S3_lS5_S3_lS4_T11_S3_li.num_named_barrier, 0
	.set _ZL29rocblas_internal_gemmt_kernelIlLi16ELi32ELi8ELc78ELc67ELc85ELb0ELb0EfPKfS1_PfEviT_T9_T10_S3_lS5_S3_lS4_T11_S3_li.private_seg_size, 0
	.set _ZL29rocblas_internal_gemmt_kernelIlLi16ELi32ELi8ELc78ELc67ELc85ELb0ELb0EfPKfS1_PfEviT_T9_T10_S3_lS5_S3_lS4_T11_S3_li.uses_vcc, 1
	.set _ZL29rocblas_internal_gemmt_kernelIlLi16ELi32ELi8ELc78ELc67ELc85ELb0ELb0EfPKfS1_PfEviT_T9_T10_S3_lS5_S3_lS4_T11_S3_li.uses_flat_scratch, 0
	.set _ZL29rocblas_internal_gemmt_kernelIlLi16ELi32ELi8ELc78ELc67ELc85ELb0ELb0EfPKfS1_PfEviT_T9_T10_S3_lS5_S3_lS4_T11_S3_li.has_dyn_sized_stack, 0
	.set _ZL29rocblas_internal_gemmt_kernelIlLi16ELi32ELi8ELc78ELc67ELc85ELb0ELb0EfPKfS1_PfEviT_T9_T10_S3_lS5_S3_lS4_T11_S3_li.has_recursion, 0
	.set _ZL29rocblas_internal_gemmt_kernelIlLi16ELi32ELi8ELc78ELc67ELc85ELb0ELb0EfPKfS1_PfEviT_T9_T10_S3_lS5_S3_lS4_T11_S3_li.has_indirect_call, 0
	.section	.AMDGPU.csdata,"",@progbits
; Kernel info:
; codeLenInByte = 1288
; TotalNumSgprs: 42
; NumVgprs: 50
; NumAgprs: 0
; TotalNumVgprs: 50
; ScratchSize: 0
; MemoryBound: 0
; FloatMode: 240
; IeeeMode: 1
; LDSByteSize: 2048 bytes/workgroup (compile time only)
; SGPRBlocks: 5
; VGPRBlocks: 6
; NumSGPRsForWavesPerEU: 42
; NumVGPRsForWavesPerEU: 50
; AccumOffset: 52
; Occupancy: 8
; WaveLimiterHint : 0
; COMPUTE_PGM_RSRC2:SCRATCH_EN: 0
; COMPUTE_PGM_RSRC2:USER_SGPR: 2
; COMPUTE_PGM_RSRC2:TRAP_HANDLER: 0
; COMPUTE_PGM_RSRC2:TGID_X_EN: 1
; COMPUTE_PGM_RSRC2:TGID_Y_EN: 1
; COMPUTE_PGM_RSRC2:TGID_Z_EN: 1
; COMPUTE_PGM_RSRC2:TIDIG_COMP_CNT: 1
; COMPUTE_PGM_RSRC3_GFX90A:ACCUM_OFFSET: 12
; COMPUTE_PGM_RSRC3_GFX90A:TG_SPLIT: 0
	.section	.text._ZL29rocblas_internal_gemmt_kernelIlLi16ELi32ELi8ELc84ELc78ELc85ELb0ELb0EfPKfS1_PfEviT_T9_T10_S3_lS5_S3_lS4_T11_S3_li,"axG",@progbits,_ZL29rocblas_internal_gemmt_kernelIlLi16ELi32ELi8ELc84ELc78ELc85ELb0ELb0EfPKfS1_PfEviT_T9_T10_S3_lS5_S3_lS4_T11_S3_li,comdat
	.globl	_ZL29rocblas_internal_gemmt_kernelIlLi16ELi32ELi8ELc84ELc78ELc85ELb0ELb0EfPKfS1_PfEviT_T9_T10_S3_lS5_S3_lS4_T11_S3_li ; -- Begin function _ZL29rocblas_internal_gemmt_kernelIlLi16ELi32ELi8ELc84ELc78ELc85ELb0ELb0EfPKfS1_PfEviT_T9_T10_S3_lS5_S3_lS4_T11_S3_li
	.p2align	8
	.type	_ZL29rocblas_internal_gemmt_kernelIlLi16ELi32ELi8ELc84ELc78ELc85ELb0ELb0EfPKfS1_PfEviT_T9_T10_S3_lS5_S3_lS4_T11_S3_li,@function
_ZL29rocblas_internal_gemmt_kernelIlLi16ELi32ELi8ELc84ELc78ELc85ELb0ELb0EfPKfS1_PfEviT_T9_T10_S3_lS5_S3_lS4_T11_S3_li: ; @_ZL29rocblas_internal_gemmt_kernelIlLi16ELi32ELi8ELc84ELc78ELc85ELb0ELb0EfPKfS1_PfEviT_T9_T10_S3_lS5_S3_lS4_T11_S3_li
; %bb.0:
	s_load_dwordx8 s[24:31], s[0:1], 0x48
	s_load_dwordx16 s[8:23], s[0:1], 0x8
	s_waitcnt lgkmcnt(0)
	s_load_dword s33, s[24:25], 0x0
	s_load_dword s34, s[10:11], 0x0
	s_waitcnt lgkmcnt(0)
	v_cmp_neq_f32_e64 s[6:7], s33, 1.0
	s_and_b64 vcc, exec, s[6:7]
	s_cbranch_vccnz .LBB147_2
; %bb.1:
	s_cmp_lg_u64 s[8:9], 0
	s_cselect_b64 s[6:7], -1, 0
	v_cmp_neq_f32_e64 s[10:11], s34, 0
	s_and_b64 s[6:7], s[6:7], s[10:11]
.LBB147_2:
	s_andn2_b64 vcc, exec, s[6:7]
	s_cbranch_vccnz .LBB147_28
; %bb.3:
	s_load_dword s24, s[0:1], 0x0
	s_lshl_b32 s25, s2, 5
	s_lshl_b32 s35, s3, 5
	v_cmp_eq_f32_e64 s[0:1], s34, 0
	v_cmp_lt_i64_e64 s[2:3], s[8:9], 1
	v_mov_b32_e32 v3, 0
	s_or_b64 s[0:1], s[0:1], s[2:3]
	v_and_b32_e32 v5, 0x3ff, v0
	v_bfe_u32 v7, v0, 10, 10
	s_and_b64 vcc, exec, s[0:1]
	v_mov_b32_e32 v2, v3
	v_mov_b32_e32 v1, v3
	;; [unrolled: 1-line block ×3, first 2 shown]
	s_cbranch_vccnz .LBB147_12
; %bb.4:
	s_mul_i32 s0, s23, s4
	s_mul_hi_u32 s1, s22, s4
	s_add_i32 s1, s1, s0
	s_mul_i32 s0, s22, s4
	s_lshl_b64 s[0:1], s[0:1], 2
	s_add_u32 s6, s18, s0
	s_addc_u32 s7, s19, s1
	s_mul_i32 s0, s17, s4
	s_mul_hi_u32 s1, s16, s4
	s_add_i32 s1, s1, s0
	s_mul_i32 s0, s16, s4
	v_lshl_add_u32 v0, v7, 4, v5
	s_lshl_b64 s[0:1], s[0:1], 2
	v_lshrrev_b32_e32 v6, 5, v0
	v_lshrrev_b32_e32 v2, 3, v0
	v_and_b32_e32 v0, 31, v0
	s_add_u32 s2, s12, s0
	v_or_b32_e32 v1, s25, v0
	s_addc_u32 s3, s13, s1
	v_lshlrev_b32_e32 v0, 2, v0
	s_ashr_i32 s5, s25, 31
	s_waitcnt lgkmcnt(0)
	v_cmp_gt_i32_e64 s[0:1], s24, v1
	v_lshl_or_b32 v14, v6, 7, v0
	v_mul_lo_u32 v8, s15, v1
	v_mad_u64_u32 v[0:1], s[10:11], s14, v1, 0
	s_mul_i32 s5, s14, s5
	v_and_b32_e32 v4, 7, v5
	v_add3_u32 v1, v1, s5, v8
	v_lshl_add_u64 v[8:9], v[0:1], 2, s[2:3]
	v_lshlrev_b32_e32 v0, 2, v4
	v_add_u32_e32 v3, s35, v2
	v_lshl_or_b32 v0, v2, 5, v0
	v_add_u32_e32 v15, 0x400, v0
	v_ashrrev_i32_e32 v0, 31, v3
	v_mul_lo_u32 v2, s20, v0
	v_mul_lo_u32 v10, s21, v3
	v_mad_u64_u32 v[0:1], s[10:11], s20, v3, 0
	v_add3_u32 v1, v1, v2, v10
	v_lshl_add_u64 v[10:11], v[0:1], 2, s[6:7]
	v_mov_b32_e32 v0, 0x400
	v_mov_b32_e32 v13, 0
	v_cmp_gt_i32_e64 s[2:3], s24, v3
	v_lshlrev_b32_e32 v16, 2, v5
	v_lshl_add_u32 v17, v7, 5, v0
	s_mov_b64 s[6:7], 0
	v_mov_b32_e32 v0, v13
	v_mov_b32_e32 v1, v13
	;; [unrolled: 1-line block ×4, first 2 shown]
	s_branch .LBB147_6
.LBB147_5:                              ;   in Loop: Header=BB147_6 Depth=1
	s_or_b64 exec, exec, s[10:11]
	s_waitcnt vmcnt(0)
	ds_write_b32 v15, v18
	s_waitcnt lgkmcnt(0)
	s_barrier
	ds_read_b128 v[18:21], v17
	ds_read_b128 v[22:25], v17 offset:16
	ds_read2_b32 v[34:35], v16 offset1:16
	ds_read2_b32 v[36:37], v16 offset0:32 offset1:48
	ds_read2_b32 v[38:39], v16 offset0:64 offset1:80
	ds_read2_b32 v[40:41], v16 offset0:96 offset1:112
	ds_read2_b32 v[42:43], v16 offset0:128 offset1:144
	ds_read_b128 v[26:29], v17 offset:512
	ds_read_b128 v[30:33], v17 offset:528
	ds_read2_b32 v[44:45], v16 offset0:160 offset1:176
	ds_read2_b32 v[46:47], v16 offset0:192 offset1:208
	;; [unrolled: 1-line block ×3, first 2 shown]
	s_waitcnt lgkmcnt(9)
	v_pk_fma_f32 v[2:3], v[34:35], v[18:19], v[2:3] op_sel_hi:[1,0,1]
	v_mov_b32_e32 v12, v21
	s_waitcnt lgkmcnt(8)
	v_pk_fma_f32 v[2:3], v[36:37], v[18:19], v[2:3] op_sel:[0,1,0]
	s_waitcnt lgkmcnt(4)
	v_pk_fma_f32 v[0:1], v[34:35], v[26:27], v[0:1] op_sel_hi:[1,0,1]
	v_pk_fma_f32 v[2:3], v[38:39], v[20:21], v[2:3] op_sel_hi:[1,0,1]
	v_pk_fma_f32 v[0:1], v[36:37], v[26:27], v[0:1] op_sel:[0,1,0]
	v_pk_fma_f32 v[2:3], v[40:41], v[12:13], v[2:3] op_sel_hi:[1,0,1]
	v_mov_b32_e32 v12, v25
	v_pk_fma_f32 v[2:3], v[42:43], v[22:23], v[2:3] op_sel_hi:[1,0,1]
	v_pk_fma_f32 v[0:1], v[38:39], v[28:29], v[0:1] op_sel_hi:[1,0,1]
	s_waitcnt lgkmcnt(2)
	v_pk_fma_f32 v[2:3], v[44:45], v[22:23], v[2:3] op_sel:[0,1,0]
	s_add_u32 s6, s6, 8
	s_waitcnt lgkmcnt(1)
	v_pk_fma_f32 v[2:3], v[46:47], v[24:25], v[2:3] op_sel_hi:[1,0,1]
	s_addc_u32 s7, s7, 0
	s_waitcnt lgkmcnt(0)
	v_pk_fma_f32 v[2:3], v[48:49], v[12:13], v[2:3] op_sel_hi:[1,0,1]
	v_mov_b32_e32 v12, v29
	v_pk_fma_f32 v[0:1], v[40:41], v[12:13], v[0:1] op_sel_hi:[1,0,1]
	v_mov_b64_e32 v[18:19], s[6:7]
	v_pk_fma_f32 v[0:1], v[42:43], v[30:31], v[0:1] op_sel_hi:[1,0,1]
	v_mov_b32_e32 v12, v33
	v_pk_fma_f32 v[0:1], v[44:45], v[30:31], v[0:1] op_sel:[0,1,0]
	v_cmp_gt_i64_e32 vcc, s[8:9], v[18:19]
	v_pk_fma_f32 v[0:1], v[46:47], v[32:33], v[0:1] op_sel_hi:[1,0,1]
	s_nop 0
	v_pk_fma_f32 v[0:1], v[48:49], v[12:13], v[0:1] op_sel_hi:[1,0,1]
	s_barrier
	s_cbranch_vccz .LBB147_12
.LBB147_6:                              ; =>This Inner Loop Header: Depth=1
	v_mov_b32_e32 v18, 0
	s_and_saveexec_b64 s[10:11], s[0:1]
	s_cbranch_execz .LBB147_10
; %bb.7:                                ;   in Loop: Header=BB147_6 Depth=1
	v_add_u32_e32 v12, s6, v6
	v_cmp_gt_u64_e32 vcc, s[8:9], v[12:13]
	v_mov_b32_e32 v18, 0
	s_and_saveexec_b64 s[12:13], vcc
	s_cbranch_execz .LBB147_9
; %bb.8:                                ;   in Loop: Header=BB147_6 Depth=1
	v_lshl_add_u64 v[18:19], v[12:13], 2, v[8:9]
	global_load_dword v18, v[18:19], off
.LBB147_9:                              ;   in Loop: Header=BB147_6 Depth=1
	s_or_b64 exec, exec, s[12:13]
.LBB147_10:                             ;   in Loop: Header=BB147_6 Depth=1
	s_or_b64 exec, exec, s[10:11]
	v_add_u32_e32 v12, s6, v4
	v_cmp_gt_u64_e32 vcc, s[8:9], v[12:13]
	s_waitcnt vmcnt(0)
	ds_write_b32 v14, v18
	s_and_b64 s[12:13], vcc, s[2:3]
	v_mov_b32_e32 v18, 0
	s_and_saveexec_b64 s[10:11], s[12:13]
	s_cbranch_execz .LBB147_5
; %bb.11:                               ;   in Loop: Header=BB147_6 Depth=1
	v_lshl_add_u64 v[18:19], v[12:13], 2, v[10:11]
	global_load_dword v18, v[18:19], off
	s_branch .LBB147_5
.LBB147_12:
	s_mul_i32 s0, s31, s4
	s_mul_hi_u32 s1, s30, s4
	s_add_i32 s1, s1, s0
	s_mul_i32 s0, s30, s4
	s_lshl_b64 s[0:1], s[0:1], 2
	v_add_u32_e32 v10, s35, v7
	s_add_u32 s4, s26, s0
	v_add_u32_e32 v4, s25, v5
	v_ashrrev_i32_e32 v5, 31, v10
	s_addc_u32 s5, s27, s1
	v_mul_lo_u32 v5, s28, v5
	v_mul_lo_u32 v8, s29, v10
	v_mad_u64_u32 v[6:7], s[0:1], s28, v10, 0
	v_add3_u32 v7, v7, v5, v8
	v_cmp_neq_f32_e64 s[0:1], s33, 0
	s_waitcnt lgkmcnt(0)
	v_cmp_gt_i32_e64 s[2:3], s24, v10
	v_lshl_add_u64 v[8:9], v[6:7], 2, s[4:5]
	v_cmp_le_i32_e32 vcc, v4, v10
	v_cndmask_b32_e64 v6, 0, 1, s[0:1]
	s_and_b64 s[8:9], s[2:3], vcc
	v_ashrrev_i32_e32 v5, 31, v4
	v_cmp_ne_u32_e64 s[0:1], 1, v6
	s_and_saveexec_b64 s[6:7], s[8:9]
	s_cbranch_execz .LBB147_16
; %bb.13:
	v_mul_f32_e32 v2, s34, v2
	s_and_b64 vcc, exec, s[0:1]
	v_lshl_add_u64 v[6:7], v[4:5], 2, v[8:9]
	s_cbranch_vccnz .LBB147_15
; %bb.14:
	global_load_dword v11, v[6:7], off
	s_waitcnt vmcnt(0)
	v_fmac_f32_e32 v2, s33, v11
.LBB147_15:
	global_store_dword v[6:7], v2, off
.LBB147_16:
	s_or_b64 exec, exec, s[6:7]
	v_add_u32_e32 v6, 16, v4
	v_cmp_le_i32_e32 vcc, v6, v10
	s_and_b64 s[6:7], s[2:3], vcc
	v_ashrrev_i32_e32 v7, 31, v6
	s_and_saveexec_b64 s[2:3], s[6:7]
	s_cbranch_execz .LBB147_20
; %bb.17:
	v_mul_f32_e32 v11, s34, v3
	s_and_b64 vcc, exec, s[0:1]
	v_lshl_add_u64 v[2:3], v[6:7], 2, v[8:9]
	s_cbranch_vccnz .LBB147_19
; %bb.18:
	global_load_dword v8, v[2:3], off
	s_waitcnt vmcnt(0)
	v_fmac_f32_e32 v11, s33, v8
.LBB147_19:
	global_store_dword v[2:3], v11, off
.LBB147_20:
	s_or_b64 exec, exec, s[2:3]
	v_add_u32_e32 v8, 16, v10
	v_ashrrev_i32_e32 v2, 31, v8
	v_mul_lo_u32 v9, s28, v2
	v_mul_lo_u32 v10, s29, v8
	v_mad_u64_u32 v[2:3], s[6:7], s28, v8, 0
	v_cmp_gt_i32_e64 s[2:3], s24, v8
	v_add3_u32 v3, v3, v9, v10
	v_cmp_le_i32_e32 vcc, v4, v8
	v_lshl_add_u64 v[2:3], v[2:3], 2, s[4:5]
	s_and_b64 s[6:7], s[2:3], vcc
	s_and_saveexec_b64 s[4:5], s[6:7]
	s_cbranch_execz .LBB147_24
; %bb.21:
	v_mul_f32_e32 v0, s34, v0
	s_and_b64 vcc, exec, s[0:1]
	v_lshl_add_u64 v[4:5], v[4:5], 2, v[2:3]
	s_cbranch_vccnz .LBB147_23
; %bb.22:
	global_load_dword v9, v[4:5], off
	s_waitcnt vmcnt(0)
	v_fmac_f32_e32 v0, s33, v9
.LBB147_23:
	global_store_dword v[4:5], v0, off
.LBB147_24:
	s_or_b64 exec, exec, s[4:5]
	v_cmp_le_i32_e32 vcc, v6, v8
	s_and_b64 s[2:3], s[2:3], vcc
	s_and_saveexec_b64 s[4:5], s[2:3]
	s_cbranch_execz .LBB147_28
; %bb.25:
	v_mul_f32_e32 v4, s34, v1
	s_and_b64 vcc, exec, s[0:1]
	v_lshl_add_u64 v[0:1], v[6:7], 2, v[2:3]
	s_cbranch_vccnz .LBB147_27
; %bb.26:
	global_load_dword v2, v[0:1], off
	s_waitcnt vmcnt(0)
	v_fmac_f32_e32 v4, s33, v2
.LBB147_27:
	global_store_dword v[0:1], v4, off
.LBB147_28:
	s_endpgm
	.section	.rodata,"a",@progbits
	.p2align	6, 0x0
	.amdhsa_kernel _ZL29rocblas_internal_gemmt_kernelIlLi16ELi32ELi8ELc84ELc78ELc85ELb0ELb0EfPKfS1_PfEviT_T9_T10_S3_lS5_S3_lS4_T11_S3_li
		.amdhsa_group_segment_fixed_size 2048
		.amdhsa_private_segment_fixed_size 0
		.amdhsa_kernarg_size 108
		.amdhsa_user_sgpr_count 2
		.amdhsa_user_sgpr_dispatch_ptr 0
		.amdhsa_user_sgpr_queue_ptr 0
		.amdhsa_user_sgpr_kernarg_segment_ptr 1
		.amdhsa_user_sgpr_dispatch_id 0
		.amdhsa_user_sgpr_kernarg_preload_length 0
		.amdhsa_user_sgpr_kernarg_preload_offset 0
		.amdhsa_user_sgpr_private_segment_size 0
		.amdhsa_uses_dynamic_stack 0
		.amdhsa_enable_private_segment 0
		.amdhsa_system_sgpr_workgroup_id_x 1
		.amdhsa_system_sgpr_workgroup_id_y 1
		.amdhsa_system_sgpr_workgroup_id_z 1
		.amdhsa_system_sgpr_workgroup_info 0
		.amdhsa_system_vgpr_workitem_id 1
		.amdhsa_next_free_vgpr 50
		.amdhsa_next_free_sgpr 36
		.amdhsa_accum_offset 52
		.amdhsa_reserve_vcc 1
		.amdhsa_float_round_mode_32 0
		.amdhsa_float_round_mode_16_64 0
		.amdhsa_float_denorm_mode_32 3
		.amdhsa_float_denorm_mode_16_64 3
		.amdhsa_dx10_clamp 1
		.amdhsa_ieee_mode 1
		.amdhsa_fp16_overflow 0
		.amdhsa_tg_split 0
		.amdhsa_exception_fp_ieee_invalid_op 0
		.amdhsa_exception_fp_denorm_src 0
		.amdhsa_exception_fp_ieee_div_zero 0
		.amdhsa_exception_fp_ieee_overflow 0
		.amdhsa_exception_fp_ieee_underflow 0
		.amdhsa_exception_fp_ieee_inexact 0
		.amdhsa_exception_int_div_zero 0
	.end_amdhsa_kernel
	.section	.text._ZL29rocblas_internal_gemmt_kernelIlLi16ELi32ELi8ELc84ELc78ELc85ELb0ELb0EfPKfS1_PfEviT_T9_T10_S3_lS5_S3_lS4_T11_S3_li,"axG",@progbits,_ZL29rocblas_internal_gemmt_kernelIlLi16ELi32ELi8ELc84ELc78ELc85ELb0ELb0EfPKfS1_PfEviT_T9_T10_S3_lS5_S3_lS4_T11_S3_li,comdat
.Lfunc_end147:
	.size	_ZL29rocblas_internal_gemmt_kernelIlLi16ELi32ELi8ELc84ELc78ELc85ELb0ELb0EfPKfS1_PfEviT_T9_T10_S3_lS5_S3_lS4_T11_S3_li, .Lfunc_end147-_ZL29rocblas_internal_gemmt_kernelIlLi16ELi32ELi8ELc84ELc78ELc85ELb0ELb0EfPKfS1_PfEviT_T9_T10_S3_lS5_S3_lS4_T11_S3_li
                                        ; -- End function
	.set _ZL29rocblas_internal_gemmt_kernelIlLi16ELi32ELi8ELc84ELc78ELc85ELb0ELb0EfPKfS1_PfEviT_T9_T10_S3_lS5_S3_lS4_T11_S3_li.num_vgpr, 50
	.set _ZL29rocblas_internal_gemmt_kernelIlLi16ELi32ELi8ELc84ELc78ELc85ELb0ELb0EfPKfS1_PfEviT_T9_T10_S3_lS5_S3_lS4_T11_S3_li.num_agpr, 0
	.set _ZL29rocblas_internal_gemmt_kernelIlLi16ELi32ELi8ELc84ELc78ELc85ELb0ELb0EfPKfS1_PfEviT_T9_T10_S3_lS5_S3_lS4_T11_S3_li.numbered_sgpr, 36
	.set _ZL29rocblas_internal_gemmt_kernelIlLi16ELi32ELi8ELc84ELc78ELc85ELb0ELb0EfPKfS1_PfEviT_T9_T10_S3_lS5_S3_lS4_T11_S3_li.num_named_barrier, 0
	.set _ZL29rocblas_internal_gemmt_kernelIlLi16ELi32ELi8ELc84ELc78ELc85ELb0ELb0EfPKfS1_PfEviT_T9_T10_S3_lS5_S3_lS4_T11_S3_li.private_seg_size, 0
	.set _ZL29rocblas_internal_gemmt_kernelIlLi16ELi32ELi8ELc84ELc78ELc85ELb0ELb0EfPKfS1_PfEviT_T9_T10_S3_lS5_S3_lS4_T11_S3_li.uses_vcc, 1
	.set _ZL29rocblas_internal_gemmt_kernelIlLi16ELi32ELi8ELc84ELc78ELc85ELb0ELb0EfPKfS1_PfEviT_T9_T10_S3_lS5_S3_lS4_T11_S3_li.uses_flat_scratch, 0
	.set _ZL29rocblas_internal_gemmt_kernelIlLi16ELi32ELi8ELc84ELc78ELc85ELb0ELb0EfPKfS1_PfEviT_T9_T10_S3_lS5_S3_lS4_T11_S3_li.has_dyn_sized_stack, 0
	.set _ZL29rocblas_internal_gemmt_kernelIlLi16ELi32ELi8ELc84ELc78ELc85ELb0ELb0EfPKfS1_PfEviT_T9_T10_S3_lS5_S3_lS4_T11_S3_li.has_recursion, 0
	.set _ZL29rocblas_internal_gemmt_kernelIlLi16ELi32ELi8ELc84ELc78ELc85ELb0ELb0EfPKfS1_PfEviT_T9_T10_S3_lS5_S3_lS4_T11_S3_li.has_indirect_call, 0
	.section	.AMDGPU.csdata,"",@progbits
; Kernel info:
; codeLenInByte = 1300
; TotalNumSgprs: 42
; NumVgprs: 50
; NumAgprs: 0
; TotalNumVgprs: 50
; ScratchSize: 0
; MemoryBound: 0
; FloatMode: 240
; IeeeMode: 1
; LDSByteSize: 2048 bytes/workgroup (compile time only)
; SGPRBlocks: 5
; VGPRBlocks: 6
; NumSGPRsForWavesPerEU: 42
; NumVGPRsForWavesPerEU: 50
; AccumOffset: 52
; Occupancy: 8
; WaveLimiterHint : 0
; COMPUTE_PGM_RSRC2:SCRATCH_EN: 0
; COMPUTE_PGM_RSRC2:USER_SGPR: 2
; COMPUTE_PGM_RSRC2:TRAP_HANDLER: 0
; COMPUTE_PGM_RSRC2:TGID_X_EN: 1
; COMPUTE_PGM_RSRC2:TGID_Y_EN: 1
; COMPUTE_PGM_RSRC2:TGID_Z_EN: 1
; COMPUTE_PGM_RSRC2:TIDIG_COMP_CNT: 1
; COMPUTE_PGM_RSRC3_GFX90A:ACCUM_OFFSET: 12
; COMPUTE_PGM_RSRC3_GFX90A:TG_SPLIT: 0
	.section	.text._ZL29rocblas_internal_gemmt_kernelIlLi16ELi32ELi8ELc84ELc84ELc85ELb0ELb0EfPKfS1_PfEviT_T9_T10_S3_lS5_S3_lS4_T11_S3_li,"axG",@progbits,_ZL29rocblas_internal_gemmt_kernelIlLi16ELi32ELi8ELc84ELc84ELc85ELb0ELb0EfPKfS1_PfEviT_T9_T10_S3_lS5_S3_lS4_T11_S3_li,comdat
	.globl	_ZL29rocblas_internal_gemmt_kernelIlLi16ELi32ELi8ELc84ELc84ELc85ELb0ELb0EfPKfS1_PfEviT_T9_T10_S3_lS5_S3_lS4_T11_S3_li ; -- Begin function _ZL29rocblas_internal_gemmt_kernelIlLi16ELi32ELi8ELc84ELc84ELc85ELb0ELb0EfPKfS1_PfEviT_T9_T10_S3_lS5_S3_lS4_T11_S3_li
	.p2align	8
	.type	_ZL29rocblas_internal_gemmt_kernelIlLi16ELi32ELi8ELc84ELc84ELc85ELb0ELb0EfPKfS1_PfEviT_T9_T10_S3_lS5_S3_lS4_T11_S3_li,@function
_ZL29rocblas_internal_gemmt_kernelIlLi16ELi32ELi8ELc84ELc84ELc85ELb0ELb0EfPKfS1_PfEviT_T9_T10_S3_lS5_S3_lS4_T11_S3_li: ; @_ZL29rocblas_internal_gemmt_kernelIlLi16ELi32ELi8ELc84ELc84ELc85ELb0ELb0EfPKfS1_PfEviT_T9_T10_S3_lS5_S3_lS4_T11_S3_li
; %bb.0:
	s_load_dwordx8 s[24:31], s[0:1], 0x48
	s_load_dwordx16 s[8:23], s[0:1], 0x8
	s_waitcnt lgkmcnt(0)
	s_load_dword s33, s[24:25], 0x0
	s_load_dword s34, s[10:11], 0x0
	s_waitcnt lgkmcnt(0)
	v_cmp_neq_f32_e64 s[6:7], s33, 1.0
	s_and_b64 vcc, exec, s[6:7]
	s_cbranch_vccnz .LBB148_2
; %bb.1:
	s_cmp_lg_u64 s[8:9], 0
	s_cselect_b64 s[6:7], -1, 0
	v_cmp_neq_f32_e64 s[10:11], s34, 0
	s_and_b64 s[6:7], s[6:7], s[10:11]
.LBB148_2:
	s_andn2_b64 vcc, exec, s[6:7]
	s_cbranch_vccnz .LBB148_28
; %bb.3:
	s_load_dword s24, s[0:1], 0x0
	s_lshl_b32 s25, s2, 5
	s_lshl_b32 s35, s3, 5
	v_cmp_eq_f32_e64 s[0:1], s34, 0
	v_cmp_lt_i64_e64 s[2:3], s[8:9], 1
	v_mov_b32_e32 v3, 0
	s_or_b64 s[0:1], s[0:1], s[2:3]
	v_and_b32_e32 v5, 0x3ff, v0
	v_bfe_u32 v7, v0, 10, 10
	s_and_b64 vcc, exec, s[0:1]
	v_mov_b32_e32 v2, v3
	v_mov_b32_e32 v1, v3
	;; [unrolled: 1-line block ×3, first 2 shown]
	s_cbranch_vccnz .LBB148_12
; %bb.4:
	s_mul_i32 s0, s23, s4
	s_mul_hi_u32 s1, s22, s4
	s_add_i32 s1, s1, s0
	s_mul_i32 s0, s22, s4
	s_lshl_b64 s[0:1], s[0:1], 2
	s_add_u32 s6, s18, s0
	s_addc_u32 s7, s19, s1
	s_mul_i32 s0, s17, s4
	s_mul_hi_u32 s1, s16, s4
	s_add_i32 s1, s1, s0
	s_mul_i32 s0, s16, s4
	v_lshl_add_u32 v1, v7, 4, v5
	s_lshl_b64 s[0:1], s[0:1], 2
	v_lshrrev_b32_e32 v6, 5, v1
	v_lshrrev_b32_e32 v10, 3, v1
	v_and_b32_e32 v1, 31, v1
	s_add_u32 s2, s12, s0
	v_or_b32_e32 v2, s25, v1
	s_addc_u32 s3, s13, s1
	v_lshlrev_b32_e32 v1, 2, v1
	s_ashr_i32 s5, s25, 31
	v_and_b32_e32 v4, 7, v5
	s_waitcnt lgkmcnt(0)
	v_cmp_gt_i32_e64 s[0:1], s24, v2
	v_lshl_or_b32 v14, v6, 7, v1
	v_mul_lo_u32 v1, s15, v2
	v_mad_u64_u32 v[2:3], s[10:11], s14, v2, 0
	s_mul_i32 s5, s14, s5
	v_add3_u32 v3, v3, s5, v1
	v_lshlrev_b32_e32 v1, 2, v4
	v_add_u32_e32 v0, s35, v10
	v_lshl_or_b32 v1, v10, 5, v1
	v_add_u32_e32 v15, 0x400, v1
	v_ashrrev_i32_e32 v1, 31, v0
	v_lshl_add_u64 v[8:9], v[2:3], 2, s[2:3]
	v_cmp_gt_i32_e64 s[2:3], s24, v0
	v_lshl_add_u64 v[10:11], v[0:1], 2, s[6:7]
	v_mov_b32_e32 v0, 0x400
	v_mov_b32_e32 v13, 0
	v_lshlrev_b32_e32 v16, 2, v5
	v_lshl_add_u32 v17, v7, 5, v0
	s_mov_b64 s[6:7], 0
	v_mov_b32_e32 v0, v13
	v_mov_b32_e32 v1, v13
	v_mov_b32_e32 v2, v13
	v_mov_b32_e32 v3, v13
	s_branch .LBB148_6
.LBB148_5:                              ;   in Loop: Header=BB148_6 Depth=1
	s_or_b64 exec, exec, s[10:11]
	s_waitcnt vmcnt(0)
	ds_write_b32 v15, v18
	s_waitcnt lgkmcnt(0)
	s_barrier
	ds_read_b128 v[18:21], v17
	ds_read_b128 v[22:25], v17 offset:16
	ds_read2_b32 v[34:35], v16 offset1:16
	ds_read2_b32 v[36:37], v16 offset0:32 offset1:48
	ds_read2_b32 v[38:39], v16 offset0:64 offset1:80
	;; [unrolled: 1-line block ×4, first 2 shown]
	ds_read_b128 v[26:29], v17 offset:512
	ds_read_b128 v[30:33], v17 offset:528
	ds_read2_b32 v[44:45], v16 offset0:160 offset1:176
	ds_read2_b32 v[46:47], v16 offset0:192 offset1:208
	;; [unrolled: 1-line block ×3, first 2 shown]
	s_waitcnt lgkmcnt(9)
	v_pk_fma_f32 v[2:3], v[34:35], v[18:19], v[2:3] op_sel_hi:[1,0,1]
	v_mov_b32_e32 v12, v21
	s_waitcnt lgkmcnt(8)
	v_pk_fma_f32 v[2:3], v[36:37], v[18:19], v[2:3] op_sel:[0,1,0]
	s_waitcnt lgkmcnt(4)
	v_pk_fma_f32 v[0:1], v[34:35], v[26:27], v[0:1] op_sel_hi:[1,0,1]
	v_pk_fma_f32 v[2:3], v[38:39], v[20:21], v[2:3] op_sel_hi:[1,0,1]
	v_pk_fma_f32 v[0:1], v[36:37], v[26:27], v[0:1] op_sel:[0,1,0]
	v_pk_fma_f32 v[2:3], v[40:41], v[12:13], v[2:3] op_sel_hi:[1,0,1]
	v_mov_b32_e32 v12, v25
	v_pk_fma_f32 v[2:3], v[42:43], v[22:23], v[2:3] op_sel_hi:[1,0,1]
	v_pk_fma_f32 v[0:1], v[38:39], v[28:29], v[0:1] op_sel_hi:[1,0,1]
	s_waitcnt lgkmcnt(2)
	v_pk_fma_f32 v[2:3], v[44:45], v[22:23], v[2:3] op_sel:[0,1,0]
	s_add_u32 s6, s6, 8
	s_waitcnt lgkmcnt(1)
	v_pk_fma_f32 v[2:3], v[46:47], v[24:25], v[2:3] op_sel_hi:[1,0,1]
	s_addc_u32 s7, s7, 0
	s_waitcnt lgkmcnt(0)
	v_pk_fma_f32 v[2:3], v[48:49], v[12:13], v[2:3] op_sel_hi:[1,0,1]
	v_mov_b32_e32 v12, v29
	v_pk_fma_f32 v[0:1], v[40:41], v[12:13], v[0:1] op_sel_hi:[1,0,1]
	v_mov_b64_e32 v[18:19], s[6:7]
	v_pk_fma_f32 v[0:1], v[42:43], v[30:31], v[0:1] op_sel_hi:[1,0,1]
	v_mov_b32_e32 v12, v33
	v_pk_fma_f32 v[0:1], v[44:45], v[30:31], v[0:1] op_sel:[0,1,0]
	v_cmp_gt_i64_e32 vcc, s[8:9], v[18:19]
	v_pk_fma_f32 v[0:1], v[46:47], v[32:33], v[0:1] op_sel_hi:[1,0,1]
	s_nop 0
	v_pk_fma_f32 v[0:1], v[48:49], v[12:13], v[0:1] op_sel_hi:[1,0,1]
	s_barrier
	s_cbranch_vccz .LBB148_12
.LBB148_6:                              ; =>This Inner Loop Header: Depth=1
	v_mov_b32_e32 v18, 0
	s_and_saveexec_b64 s[10:11], s[0:1]
	s_cbranch_execz .LBB148_10
; %bb.7:                                ;   in Loop: Header=BB148_6 Depth=1
	v_add_u32_e32 v12, s6, v6
	v_cmp_gt_u64_e32 vcc, s[8:9], v[12:13]
	v_mov_b32_e32 v18, 0
	s_and_saveexec_b64 s[12:13], vcc
	s_cbranch_execz .LBB148_9
; %bb.8:                                ;   in Loop: Header=BB148_6 Depth=1
	v_lshl_add_u64 v[18:19], v[12:13], 2, v[8:9]
	global_load_dword v18, v[18:19], off
.LBB148_9:                              ;   in Loop: Header=BB148_6 Depth=1
	s_or_b64 exec, exec, s[12:13]
.LBB148_10:                             ;   in Loop: Header=BB148_6 Depth=1
	s_or_b64 exec, exec, s[10:11]
	v_add_u32_e32 v12, s6, v4
	v_cmp_gt_u64_e32 vcc, s[8:9], v[12:13]
	s_waitcnt vmcnt(0)
	ds_write_b32 v14, v18
	s_and_b64 s[12:13], vcc, s[2:3]
	v_mov_b32_e32 v18, 0
	s_and_saveexec_b64 s[10:11], s[12:13]
	s_cbranch_execz .LBB148_5
; %bb.11:                               ;   in Loop: Header=BB148_6 Depth=1
	v_mad_u64_u32 v[18:19], s[12:13], s20, v12, 0
	v_mov_b32_e32 v20, v19
	v_mad_u64_u32 v[20:21], s[12:13], s21, v12, v[20:21]
	v_mov_b32_e32 v19, v20
	v_lshl_add_u64 v[18:19], v[18:19], 2, v[10:11]
	global_load_dword v18, v[18:19], off
	s_branch .LBB148_5
.LBB148_12:
	s_mul_i32 s0, s31, s4
	s_mul_hi_u32 s1, s30, s4
	s_add_i32 s1, s1, s0
	s_mul_i32 s0, s30, s4
	s_lshl_b64 s[0:1], s[0:1], 2
	v_add_u32_e32 v10, s35, v7
	s_add_u32 s4, s26, s0
	v_add_u32_e32 v4, s25, v5
	v_ashrrev_i32_e32 v5, 31, v10
	s_addc_u32 s5, s27, s1
	v_mul_lo_u32 v5, s28, v5
	v_mul_lo_u32 v8, s29, v10
	v_mad_u64_u32 v[6:7], s[0:1], s28, v10, 0
	v_add3_u32 v7, v7, v5, v8
	v_cmp_neq_f32_e64 s[0:1], s33, 0
	s_waitcnt lgkmcnt(0)
	v_cmp_gt_i32_e64 s[2:3], s24, v10
	v_lshl_add_u64 v[8:9], v[6:7], 2, s[4:5]
	v_cmp_le_i32_e32 vcc, v4, v10
	v_cndmask_b32_e64 v6, 0, 1, s[0:1]
	s_and_b64 s[8:9], s[2:3], vcc
	v_ashrrev_i32_e32 v5, 31, v4
	v_cmp_ne_u32_e64 s[0:1], 1, v6
	s_and_saveexec_b64 s[6:7], s[8:9]
	s_cbranch_execz .LBB148_16
; %bb.13:
	v_mul_f32_e32 v2, s34, v2
	s_and_b64 vcc, exec, s[0:1]
	v_lshl_add_u64 v[6:7], v[4:5], 2, v[8:9]
	s_cbranch_vccnz .LBB148_15
; %bb.14:
	global_load_dword v11, v[6:7], off
	s_waitcnt vmcnt(0)
	v_fmac_f32_e32 v2, s33, v11
.LBB148_15:
	global_store_dword v[6:7], v2, off
.LBB148_16:
	s_or_b64 exec, exec, s[6:7]
	v_add_u32_e32 v6, 16, v4
	v_cmp_le_i32_e32 vcc, v6, v10
	s_and_b64 s[6:7], s[2:3], vcc
	v_ashrrev_i32_e32 v7, 31, v6
	s_and_saveexec_b64 s[2:3], s[6:7]
	s_cbranch_execz .LBB148_20
; %bb.17:
	v_mul_f32_e32 v11, s34, v3
	s_and_b64 vcc, exec, s[0:1]
	v_lshl_add_u64 v[2:3], v[6:7], 2, v[8:9]
	s_cbranch_vccnz .LBB148_19
; %bb.18:
	global_load_dword v8, v[2:3], off
	s_waitcnt vmcnt(0)
	v_fmac_f32_e32 v11, s33, v8
.LBB148_19:
	global_store_dword v[2:3], v11, off
.LBB148_20:
	s_or_b64 exec, exec, s[2:3]
	v_add_u32_e32 v8, 16, v10
	v_ashrrev_i32_e32 v2, 31, v8
	v_mul_lo_u32 v9, s28, v2
	v_mul_lo_u32 v10, s29, v8
	v_mad_u64_u32 v[2:3], s[6:7], s28, v8, 0
	v_cmp_gt_i32_e64 s[2:3], s24, v8
	v_add3_u32 v3, v3, v9, v10
	v_cmp_le_i32_e32 vcc, v4, v8
	v_lshl_add_u64 v[2:3], v[2:3], 2, s[4:5]
	s_and_b64 s[6:7], s[2:3], vcc
	s_and_saveexec_b64 s[4:5], s[6:7]
	s_cbranch_execz .LBB148_24
; %bb.21:
	v_mul_f32_e32 v0, s34, v0
	s_and_b64 vcc, exec, s[0:1]
	v_lshl_add_u64 v[4:5], v[4:5], 2, v[2:3]
	s_cbranch_vccnz .LBB148_23
; %bb.22:
	global_load_dword v9, v[4:5], off
	s_waitcnt vmcnt(0)
	v_fmac_f32_e32 v0, s33, v9
.LBB148_23:
	global_store_dword v[4:5], v0, off
.LBB148_24:
	s_or_b64 exec, exec, s[4:5]
	v_cmp_le_i32_e32 vcc, v6, v8
	s_and_b64 s[2:3], s[2:3], vcc
	s_and_saveexec_b64 s[4:5], s[2:3]
	s_cbranch_execz .LBB148_28
; %bb.25:
	v_mul_f32_e32 v4, s34, v1
	s_and_b64 vcc, exec, s[0:1]
	v_lshl_add_u64 v[0:1], v[6:7], 2, v[2:3]
	s_cbranch_vccnz .LBB148_27
; %bb.26:
	global_load_dword v2, v[0:1], off
	s_waitcnt vmcnt(0)
	v_fmac_f32_e32 v4, s33, v2
.LBB148_27:
	global_store_dword v[0:1], v4, off
.LBB148_28:
	s_endpgm
	.section	.rodata,"a",@progbits
	.p2align	6, 0x0
	.amdhsa_kernel _ZL29rocblas_internal_gemmt_kernelIlLi16ELi32ELi8ELc84ELc84ELc85ELb0ELb0EfPKfS1_PfEviT_T9_T10_S3_lS5_S3_lS4_T11_S3_li
		.amdhsa_group_segment_fixed_size 2048
		.amdhsa_private_segment_fixed_size 0
		.amdhsa_kernarg_size 108
		.amdhsa_user_sgpr_count 2
		.amdhsa_user_sgpr_dispatch_ptr 0
		.amdhsa_user_sgpr_queue_ptr 0
		.amdhsa_user_sgpr_kernarg_segment_ptr 1
		.amdhsa_user_sgpr_dispatch_id 0
		.amdhsa_user_sgpr_kernarg_preload_length 0
		.amdhsa_user_sgpr_kernarg_preload_offset 0
		.amdhsa_user_sgpr_private_segment_size 0
		.amdhsa_uses_dynamic_stack 0
		.amdhsa_enable_private_segment 0
		.amdhsa_system_sgpr_workgroup_id_x 1
		.amdhsa_system_sgpr_workgroup_id_y 1
		.amdhsa_system_sgpr_workgroup_id_z 1
		.amdhsa_system_sgpr_workgroup_info 0
		.amdhsa_system_vgpr_workitem_id 1
		.amdhsa_next_free_vgpr 50
		.amdhsa_next_free_sgpr 36
		.amdhsa_accum_offset 52
		.amdhsa_reserve_vcc 1
		.amdhsa_float_round_mode_32 0
		.amdhsa_float_round_mode_16_64 0
		.amdhsa_float_denorm_mode_32 3
		.amdhsa_float_denorm_mode_16_64 3
		.amdhsa_dx10_clamp 1
		.amdhsa_ieee_mode 1
		.amdhsa_fp16_overflow 0
		.amdhsa_tg_split 0
		.amdhsa_exception_fp_ieee_invalid_op 0
		.amdhsa_exception_fp_denorm_src 0
		.amdhsa_exception_fp_ieee_div_zero 0
		.amdhsa_exception_fp_ieee_overflow 0
		.amdhsa_exception_fp_ieee_underflow 0
		.amdhsa_exception_fp_ieee_inexact 0
		.amdhsa_exception_int_div_zero 0
	.end_amdhsa_kernel
	.section	.text._ZL29rocblas_internal_gemmt_kernelIlLi16ELi32ELi8ELc84ELc84ELc85ELb0ELb0EfPKfS1_PfEviT_T9_T10_S3_lS5_S3_lS4_T11_S3_li,"axG",@progbits,_ZL29rocblas_internal_gemmt_kernelIlLi16ELi32ELi8ELc84ELc84ELc85ELb0ELb0EfPKfS1_PfEviT_T9_T10_S3_lS5_S3_lS4_T11_S3_li,comdat
.Lfunc_end148:
	.size	_ZL29rocblas_internal_gemmt_kernelIlLi16ELi32ELi8ELc84ELc84ELc85ELb0ELb0EfPKfS1_PfEviT_T9_T10_S3_lS5_S3_lS4_T11_S3_li, .Lfunc_end148-_ZL29rocblas_internal_gemmt_kernelIlLi16ELi32ELi8ELc84ELc84ELc85ELb0ELb0EfPKfS1_PfEviT_T9_T10_S3_lS5_S3_lS4_T11_S3_li
                                        ; -- End function
	.set _ZL29rocblas_internal_gemmt_kernelIlLi16ELi32ELi8ELc84ELc84ELc85ELb0ELb0EfPKfS1_PfEviT_T9_T10_S3_lS5_S3_lS4_T11_S3_li.num_vgpr, 50
	.set _ZL29rocblas_internal_gemmt_kernelIlLi16ELi32ELi8ELc84ELc84ELc85ELb0ELb0EfPKfS1_PfEviT_T9_T10_S3_lS5_S3_lS4_T11_S3_li.num_agpr, 0
	.set _ZL29rocblas_internal_gemmt_kernelIlLi16ELi32ELi8ELc84ELc84ELc85ELb0ELb0EfPKfS1_PfEviT_T9_T10_S3_lS5_S3_lS4_T11_S3_li.numbered_sgpr, 36
	.set _ZL29rocblas_internal_gemmt_kernelIlLi16ELi32ELi8ELc84ELc84ELc85ELb0ELb0EfPKfS1_PfEviT_T9_T10_S3_lS5_S3_lS4_T11_S3_li.num_named_barrier, 0
	.set _ZL29rocblas_internal_gemmt_kernelIlLi16ELi32ELi8ELc84ELc84ELc85ELb0ELb0EfPKfS1_PfEviT_T9_T10_S3_lS5_S3_lS4_T11_S3_li.private_seg_size, 0
	.set _ZL29rocblas_internal_gemmt_kernelIlLi16ELi32ELi8ELc84ELc84ELc85ELb0ELb0EfPKfS1_PfEviT_T9_T10_S3_lS5_S3_lS4_T11_S3_li.uses_vcc, 1
	.set _ZL29rocblas_internal_gemmt_kernelIlLi16ELi32ELi8ELc84ELc84ELc85ELb0ELb0EfPKfS1_PfEviT_T9_T10_S3_lS5_S3_lS4_T11_S3_li.uses_flat_scratch, 0
	.set _ZL29rocblas_internal_gemmt_kernelIlLi16ELi32ELi8ELc84ELc84ELc85ELb0ELb0EfPKfS1_PfEviT_T9_T10_S3_lS5_S3_lS4_T11_S3_li.has_dyn_sized_stack, 0
	.set _ZL29rocblas_internal_gemmt_kernelIlLi16ELi32ELi8ELc84ELc84ELc85ELb0ELb0EfPKfS1_PfEviT_T9_T10_S3_lS5_S3_lS4_T11_S3_li.has_recursion, 0
	.set _ZL29rocblas_internal_gemmt_kernelIlLi16ELi32ELi8ELc84ELc84ELc85ELb0ELb0EfPKfS1_PfEviT_T9_T10_S3_lS5_S3_lS4_T11_S3_li.has_indirect_call, 0
	.section	.AMDGPU.csdata,"",@progbits
; Kernel info:
; codeLenInByte = 1292
; TotalNumSgprs: 42
; NumVgprs: 50
; NumAgprs: 0
; TotalNumVgprs: 50
; ScratchSize: 0
; MemoryBound: 0
; FloatMode: 240
; IeeeMode: 1
; LDSByteSize: 2048 bytes/workgroup (compile time only)
; SGPRBlocks: 5
; VGPRBlocks: 6
; NumSGPRsForWavesPerEU: 42
; NumVGPRsForWavesPerEU: 50
; AccumOffset: 52
; Occupancy: 8
; WaveLimiterHint : 0
; COMPUTE_PGM_RSRC2:SCRATCH_EN: 0
; COMPUTE_PGM_RSRC2:USER_SGPR: 2
; COMPUTE_PGM_RSRC2:TRAP_HANDLER: 0
; COMPUTE_PGM_RSRC2:TGID_X_EN: 1
; COMPUTE_PGM_RSRC2:TGID_Y_EN: 1
; COMPUTE_PGM_RSRC2:TGID_Z_EN: 1
; COMPUTE_PGM_RSRC2:TIDIG_COMP_CNT: 1
; COMPUTE_PGM_RSRC3_GFX90A:ACCUM_OFFSET: 12
; COMPUTE_PGM_RSRC3_GFX90A:TG_SPLIT: 0
	.section	.text._ZL29rocblas_internal_gemmt_kernelIlLi16ELi32ELi8ELc84ELc67ELc85ELb0ELb0EfPKfS1_PfEviT_T9_T10_S3_lS5_S3_lS4_T11_S3_li,"axG",@progbits,_ZL29rocblas_internal_gemmt_kernelIlLi16ELi32ELi8ELc84ELc67ELc85ELb0ELb0EfPKfS1_PfEviT_T9_T10_S3_lS5_S3_lS4_T11_S3_li,comdat
	.globl	_ZL29rocblas_internal_gemmt_kernelIlLi16ELi32ELi8ELc84ELc67ELc85ELb0ELb0EfPKfS1_PfEviT_T9_T10_S3_lS5_S3_lS4_T11_S3_li ; -- Begin function _ZL29rocblas_internal_gemmt_kernelIlLi16ELi32ELi8ELc84ELc67ELc85ELb0ELb0EfPKfS1_PfEviT_T9_T10_S3_lS5_S3_lS4_T11_S3_li
	.p2align	8
	.type	_ZL29rocblas_internal_gemmt_kernelIlLi16ELi32ELi8ELc84ELc67ELc85ELb0ELb0EfPKfS1_PfEviT_T9_T10_S3_lS5_S3_lS4_T11_S3_li,@function
_ZL29rocblas_internal_gemmt_kernelIlLi16ELi32ELi8ELc84ELc67ELc85ELb0ELb0EfPKfS1_PfEviT_T9_T10_S3_lS5_S3_lS4_T11_S3_li: ; @_ZL29rocblas_internal_gemmt_kernelIlLi16ELi32ELi8ELc84ELc67ELc85ELb0ELb0EfPKfS1_PfEviT_T9_T10_S3_lS5_S3_lS4_T11_S3_li
; %bb.0:
	s_load_dwordx8 s[24:31], s[0:1], 0x48
	s_load_dwordx16 s[8:23], s[0:1], 0x8
	s_waitcnt lgkmcnt(0)
	s_load_dword s33, s[24:25], 0x0
	s_load_dword s34, s[10:11], 0x0
	s_waitcnt lgkmcnt(0)
	v_cmp_neq_f32_e64 s[6:7], s33, 1.0
	s_and_b64 vcc, exec, s[6:7]
	s_cbranch_vccnz .LBB149_2
; %bb.1:
	s_cmp_lg_u64 s[8:9], 0
	s_cselect_b64 s[6:7], -1, 0
	v_cmp_neq_f32_e64 s[10:11], s34, 0
	s_and_b64 s[6:7], s[6:7], s[10:11]
.LBB149_2:
	s_andn2_b64 vcc, exec, s[6:7]
	s_cbranch_vccnz .LBB149_28
; %bb.3:
	s_load_dword s24, s[0:1], 0x0
	s_lshl_b32 s25, s2, 5
	s_lshl_b32 s35, s3, 5
	v_cmp_eq_f32_e64 s[0:1], s34, 0
	v_cmp_lt_i64_e64 s[2:3], s[8:9], 1
	v_mov_b32_e32 v3, 0
	s_or_b64 s[0:1], s[0:1], s[2:3]
	v_and_b32_e32 v5, 0x3ff, v0
	v_bfe_u32 v7, v0, 10, 10
	s_and_b64 vcc, exec, s[0:1]
	v_mov_b32_e32 v2, v3
	v_mov_b32_e32 v1, v3
	;; [unrolled: 1-line block ×3, first 2 shown]
	s_cbranch_vccnz .LBB149_12
; %bb.4:
	s_mul_i32 s0, s23, s4
	s_mul_hi_u32 s1, s22, s4
	s_add_i32 s1, s1, s0
	s_mul_i32 s0, s22, s4
	s_lshl_b64 s[0:1], s[0:1], 2
	s_add_u32 s6, s18, s0
	s_addc_u32 s7, s19, s1
	s_mul_i32 s0, s17, s4
	s_mul_hi_u32 s1, s16, s4
	s_add_i32 s1, s1, s0
	s_mul_i32 s0, s16, s4
	v_lshl_add_u32 v1, v7, 4, v5
	s_lshl_b64 s[0:1], s[0:1], 2
	v_lshrrev_b32_e32 v6, 5, v1
	v_lshrrev_b32_e32 v10, 3, v1
	v_and_b32_e32 v1, 31, v1
	s_add_u32 s2, s12, s0
	v_or_b32_e32 v2, s25, v1
	s_addc_u32 s3, s13, s1
	v_lshlrev_b32_e32 v1, 2, v1
	s_ashr_i32 s5, s25, 31
	v_and_b32_e32 v4, 7, v5
	s_waitcnt lgkmcnt(0)
	v_cmp_gt_i32_e64 s[0:1], s24, v2
	v_lshl_or_b32 v14, v6, 7, v1
	v_mul_lo_u32 v1, s15, v2
	v_mad_u64_u32 v[2:3], s[10:11], s14, v2, 0
	s_mul_i32 s5, s14, s5
	v_add3_u32 v3, v3, s5, v1
	v_lshlrev_b32_e32 v1, 2, v4
	v_add_u32_e32 v0, s35, v10
	v_lshl_or_b32 v1, v10, 5, v1
	v_add_u32_e32 v15, 0x400, v1
	v_ashrrev_i32_e32 v1, 31, v0
	v_lshl_add_u64 v[8:9], v[2:3], 2, s[2:3]
	v_cmp_gt_i32_e64 s[2:3], s24, v0
	v_lshl_add_u64 v[10:11], v[0:1], 2, s[6:7]
	v_mov_b32_e32 v0, 0x400
	v_mov_b32_e32 v13, 0
	v_lshlrev_b32_e32 v16, 2, v5
	v_lshl_add_u32 v17, v7, 5, v0
	s_mov_b64 s[6:7], 0
	v_mov_b32_e32 v0, v13
	v_mov_b32_e32 v1, v13
	;; [unrolled: 1-line block ×4, first 2 shown]
	s_branch .LBB149_6
.LBB149_5:                              ;   in Loop: Header=BB149_6 Depth=1
	s_or_b64 exec, exec, s[10:11]
	s_waitcnt vmcnt(0)
	ds_write_b32 v15, v18
	s_waitcnt lgkmcnt(0)
	s_barrier
	ds_read_b128 v[18:21], v17
	ds_read_b128 v[22:25], v17 offset:16
	ds_read2_b32 v[34:35], v16 offset1:16
	ds_read2_b32 v[36:37], v16 offset0:32 offset1:48
	ds_read2_b32 v[38:39], v16 offset0:64 offset1:80
	;; [unrolled: 1-line block ×4, first 2 shown]
	ds_read_b128 v[26:29], v17 offset:512
	ds_read_b128 v[30:33], v17 offset:528
	ds_read2_b32 v[44:45], v16 offset0:160 offset1:176
	ds_read2_b32 v[46:47], v16 offset0:192 offset1:208
	;; [unrolled: 1-line block ×3, first 2 shown]
	s_waitcnt lgkmcnt(9)
	v_pk_fma_f32 v[2:3], v[34:35], v[18:19], v[2:3] op_sel_hi:[1,0,1]
	v_mov_b32_e32 v12, v21
	s_waitcnt lgkmcnt(8)
	v_pk_fma_f32 v[2:3], v[36:37], v[18:19], v[2:3] op_sel:[0,1,0]
	s_waitcnt lgkmcnt(4)
	v_pk_fma_f32 v[0:1], v[34:35], v[26:27], v[0:1] op_sel_hi:[1,0,1]
	v_pk_fma_f32 v[2:3], v[38:39], v[20:21], v[2:3] op_sel_hi:[1,0,1]
	v_pk_fma_f32 v[0:1], v[36:37], v[26:27], v[0:1] op_sel:[0,1,0]
	v_pk_fma_f32 v[2:3], v[40:41], v[12:13], v[2:3] op_sel_hi:[1,0,1]
	v_mov_b32_e32 v12, v25
	v_pk_fma_f32 v[2:3], v[42:43], v[22:23], v[2:3] op_sel_hi:[1,0,1]
	v_pk_fma_f32 v[0:1], v[38:39], v[28:29], v[0:1] op_sel_hi:[1,0,1]
	s_waitcnt lgkmcnt(2)
	v_pk_fma_f32 v[2:3], v[44:45], v[22:23], v[2:3] op_sel:[0,1,0]
	s_add_u32 s6, s6, 8
	s_waitcnt lgkmcnt(1)
	v_pk_fma_f32 v[2:3], v[46:47], v[24:25], v[2:3] op_sel_hi:[1,0,1]
	s_addc_u32 s7, s7, 0
	s_waitcnt lgkmcnt(0)
	v_pk_fma_f32 v[2:3], v[48:49], v[12:13], v[2:3] op_sel_hi:[1,0,1]
	v_mov_b32_e32 v12, v29
	v_pk_fma_f32 v[0:1], v[40:41], v[12:13], v[0:1] op_sel_hi:[1,0,1]
	v_mov_b64_e32 v[18:19], s[6:7]
	v_pk_fma_f32 v[0:1], v[42:43], v[30:31], v[0:1] op_sel_hi:[1,0,1]
	v_mov_b32_e32 v12, v33
	v_pk_fma_f32 v[0:1], v[44:45], v[30:31], v[0:1] op_sel:[0,1,0]
	v_cmp_gt_i64_e32 vcc, s[8:9], v[18:19]
	v_pk_fma_f32 v[0:1], v[46:47], v[32:33], v[0:1] op_sel_hi:[1,0,1]
	s_nop 0
	v_pk_fma_f32 v[0:1], v[48:49], v[12:13], v[0:1] op_sel_hi:[1,0,1]
	s_barrier
	s_cbranch_vccz .LBB149_12
.LBB149_6:                              ; =>This Inner Loop Header: Depth=1
	v_mov_b32_e32 v18, 0
	s_and_saveexec_b64 s[10:11], s[0:1]
	s_cbranch_execz .LBB149_10
; %bb.7:                                ;   in Loop: Header=BB149_6 Depth=1
	v_add_u32_e32 v12, s6, v6
	v_cmp_gt_u64_e32 vcc, s[8:9], v[12:13]
	v_mov_b32_e32 v18, 0
	s_and_saveexec_b64 s[12:13], vcc
	s_cbranch_execz .LBB149_9
; %bb.8:                                ;   in Loop: Header=BB149_6 Depth=1
	v_lshl_add_u64 v[18:19], v[12:13], 2, v[8:9]
	global_load_dword v18, v[18:19], off
.LBB149_9:                              ;   in Loop: Header=BB149_6 Depth=1
	s_or_b64 exec, exec, s[12:13]
.LBB149_10:                             ;   in Loop: Header=BB149_6 Depth=1
	s_or_b64 exec, exec, s[10:11]
	v_add_u32_e32 v12, s6, v4
	v_cmp_gt_u64_e32 vcc, s[8:9], v[12:13]
	s_waitcnt vmcnt(0)
	ds_write_b32 v14, v18
	s_and_b64 s[12:13], vcc, s[2:3]
	v_mov_b32_e32 v18, 0
	s_and_saveexec_b64 s[10:11], s[12:13]
	s_cbranch_execz .LBB149_5
; %bb.11:                               ;   in Loop: Header=BB149_6 Depth=1
	v_mad_u64_u32 v[18:19], s[12:13], s20, v12, 0
	v_mov_b32_e32 v20, v19
	v_mad_u64_u32 v[20:21], s[12:13], s21, v12, v[20:21]
	v_mov_b32_e32 v19, v20
	v_lshl_add_u64 v[18:19], v[18:19], 2, v[10:11]
	global_load_dword v18, v[18:19], off
	s_branch .LBB149_5
.LBB149_12:
	s_mul_i32 s0, s31, s4
	s_mul_hi_u32 s1, s30, s4
	s_add_i32 s1, s1, s0
	s_mul_i32 s0, s30, s4
	s_lshl_b64 s[0:1], s[0:1], 2
	v_add_u32_e32 v10, s35, v7
	s_add_u32 s4, s26, s0
	v_add_u32_e32 v4, s25, v5
	v_ashrrev_i32_e32 v5, 31, v10
	s_addc_u32 s5, s27, s1
	v_mul_lo_u32 v5, s28, v5
	v_mul_lo_u32 v8, s29, v10
	v_mad_u64_u32 v[6:7], s[0:1], s28, v10, 0
	v_add3_u32 v7, v7, v5, v8
	v_cmp_neq_f32_e64 s[0:1], s33, 0
	s_waitcnt lgkmcnt(0)
	v_cmp_gt_i32_e64 s[2:3], s24, v10
	v_lshl_add_u64 v[8:9], v[6:7], 2, s[4:5]
	v_cmp_le_i32_e32 vcc, v4, v10
	v_cndmask_b32_e64 v6, 0, 1, s[0:1]
	s_and_b64 s[8:9], s[2:3], vcc
	v_ashrrev_i32_e32 v5, 31, v4
	v_cmp_ne_u32_e64 s[0:1], 1, v6
	s_and_saveexec_b64 s[6:7], s[8:9]
	s_cbranch_execz .LBB149_16
; %bb.13:
	v_mul_f32_e32 v2, s34, v2
	s_and_b64 vcc, exec, s[0:1]
	v_lshl_add_u64 v[6:7], v[4:5], 2, v[8:9]
	s_cbranch_vccnz .LBB149_15
; %bb.14:
	global_load_dword v11, v[6:7], off
	s_waitcnt vmcnt(0)
	v_fmac_f32_e32 v2, s33, v11
.LBB149_15:
	global_store_dword v[6:7], v2, off
.LBB149_16:
	s_or_b64 exec, exec, s[6:7]
	v_add_u32_e32 v6, 16, v4
	v_cmp_le_i32_e32 vcc, v6, v10
	s_and_b64 s[6:7], s[2:3], vcc
	v_ashrrev_i32_e32 v7, 31, v6
	s_and_saveexec_b64 s[2:3], s[6:7]
	s_cbranch_execz .LBB149_20
; %bb.17:
	v_mul_f32_e32 v11, s34, v3
	s_and_b64 vcc, exec, s[0:1]
	v_lshl_add_u64 v[2:3], v[6:7], 2, v[8:9]
	s_cbranch_vccnz .LBB149_19
; %bb.18:
	global_load_dword v8, v[2:3], off
	s_waitcnt vmcnt(0)
	v_fmac_f32_e32 v11, s33, v8
.LBB149_19:
	global_store_dword v[2:3], v11, off
.LBB149_20:
	s_or_b64 exec, exec, s[2:3]
	v_add_u32_e32 v8, 16, v10
	v_ashrrev_i32_e32 v2, 31, v8
	v_mul_lo_u32 v9, s28, v2
	v_mul_lo_u32 v10, s29, v8
	v_mad_u64_u32 v[2:3], s[6:7], s28, v8, 0
	v_cmp_gt_i32_e64 s[2:3], s24, v8
	v_add3_u32 v3, v3, v9, v10
	v_cmp_le_i32_e32 vcc, v4, v8
	v_lshl_add_u64 v[2:3], v[2:3], 2, s[4:5]
	s_and_b64 s[6:7], s[2:3], vcc
	s_and_saveexec_b64 s[4:5], s[6:7]
	s_cbranch_execz .LBB149_24
; %bb.21:
	v_mul_f32_e32 v0, s34, v0
	s_and_b64 vcc, exec, s[0:1]
	v_lshl_add_u64 v[4:5], v[4:5], 2, v[2:3]
	s_cbranch_vccnz .LBB149_23
; %bb.22:
	global_load_dword v9, v[4:5], off
	s_waitcnt vmcnt(0)
	v_fmac_f32_e32 v0, s33, v9
.LBB149_23:
	global_store_dword v[4:5], v0, off
.LBB149_24:
	s_or_b64 exec, exec, s[4:5]
	v_cmp_le_i32_e32 vcc, v6, v8
	s_and_b64 s[2:3], s[2:3], vcc
	s_and_saveexec_b64 s[4:5], s[2:3]
	s_cbranch_execz .LBB149_28
; %bb.25:
	v_mul_f32_e32 v4, s34, v1
	s_and_b64 vcc, exec, s[0:1]
	v_lshl_add_u64 v[0:1], v[6:7], 2, v[2:3]
	s_cbranch_vccnz .LBB149_27
; %bb.26:
	global_load_dword v2, v[0:1], off
	s_waitcnt vmcnt(0)
	v_fmac_f32_e32 v4, s33, v2
.LBB149_27:
	global_store_dword v[0:1], v4, off
.LBB149_28:
	s_endpgm
	.section	.rodata,"a",@progbits
	.p2align	6, 0x0
	.amdhsa_kernel _ZL29rocblas_internal_gemmt_kernelIlLi16ELi32ELi8ELc84ELc67ELc85ELb0ELb0EfPKfS1_PfEviT_T9_T10_S3_lS5_S3_lS4_T11_S3_li
		.amdhsa_group_segment_fixed_size 2048
		.amdhsa_private_segment_fixed_size 0
		.amdhsa_kernarg_size 108
		.amdhsa_user_sgpr_count 2
		.amdhsa_user_sgpr_dispatch_ptr 0
		.amdhsa_user_sgpr_queue_ptr 0
		.amdhsa_user_sgpr_kernarg_segment_ptr 1
		.amdhsa_user_sgpr_dispatch_id 0
		.amdhsa_user_sgpr_kernarg_preload_length 0
		.amdhsa_user_sgpr_kernarg_preload_offset 0
		.amdhsa_user_sgpr_private_segment_size 0
		.amdhsa_uses_dynamic_stack 0
		.amdhsa_enable_private_segment 0
		.amdhsa_system_sgpr_workgroup_id_x 1
		.amdhsa_system_sgpr_workgroup_id_y 1
		.amdhsa_system_sgpr_workgroup_id_z 1
		.amdhsa_system_sgpr_workgroup_info 0
		.amdhsa_system_vgpr_workitem_id 1
		.amdhsa_next_free_vgpr 50
		.amdhsa_next_free_sgpr 36
		.amdhsa_accum_offset 52
		.amdhsa_reserve_vcc 1
		.amdhsa_float_round_mode_32 0
		.amdhsa_float_round_mode_16_64 0
		.amdhsa_float_denorm_mode_32 3
		.amdhsa_float_denorm_mode_16_64 3
		.amdhsa_dx10_clamp 1
		.amdhsa_ieee_mode 1
		.amdhsa_fp16_overflow 0
		.amdhsa_tg_split 0
		.amdhsa_exception_fp_ieee_invalid_op 0
		.amdhsa_exception_fp_denorm_src 0
		.amdhsa_exception_fp_ieee_div_zero 0
		.amdhsa_exception_fp_ieee_overflow 0
		.amdhsa_exception_fp_ieee_underflow 0
		.amdhsa_exception_fp_ieee_inexact 0
		.amdhsa_exception_int_div_zero 0
	.end_amdhsa_kernel
	.section	.text._ZL29rocblas_internal_gemmt_kernelIlLi16ELi32ELi8ELc84ELc67ELc85ELb0ELb0EfPKfS1_PfEviT_T9_T10_S3_lS5_S3_lS4_T11_S3_li,"axG",@progbits,_ZL29rocblas_internal_gemmt_kernelIlLi16ELi32ELi8ELc84ELc67ELc85ELb0ELb0EfPKfS1_PfEviT_T9_T10_S3_lS5_S3_lS4_T11_S3_li,comdat
.Lfunc_end149:
	.size	_ZL29rocblas_internal_gemmt_kernelIlLi16ELi32ELi8ELc84ELc67ELc85ELb0ELb0EfPKfS1_PfEviT_T9_T10_S3_lS5_S3_lS4_T11_S3_li, .Lfunc_end149-_ZL29rocblas_internal_gemmt_kernelIlLi16ELi32ELi8ELc84ELc67ELc85ELb0ELb0EfPKfS1_PfEviT_T9_T10_S3_lS5_S3_lS4_T11_S3_li
                                        ; -- End function
	.set _ZL29rocblas_internal_gemmt_kernelIlLi16ELi32ELi8ELc84ELc67ELc85ELb0ELb0EfPKfS1_PfEviT_T9_T10_S3_lS5_S3_lS4_T11_S3_li.num_vgpr, 50
	.set _ZL29rocblas_internal_gemmt_kernelIlLi16ELi32ELi8ELc84ELc67ELc85ELb0ELb0EfPKfS1_PfEviT_T9_T10_S3_lS5_S3_lS4_T11_S3_li.num_agpr, 0
	.set _ZL29rocblas_internal_gemmt_kernelIlLi16ELi32ELi8ELc84ELc67ELc85ELb0ELb0EfPKfS1_PfEviT_T9_T10_S3_lS5_S3_lS4_T11_S3_li.numbered_sgpr, 36
	.set _ZL29rocblas_internal_gemmt_kernelIlLi16ELi32ELi8ELc84ELc67ELc85ELb0ELb0EfPKfS1_PfEviT_T9_T10_S3_lS5_S3_lS4_T11_S3_li.num_named_barrier, 0
	.set _ZL29rocblas_internal_gemmt_kernelIlLi16ELi32ELi8ELc84ELc67ELc85ELb0ELb0EfPKfS1_PfEviT_T9_T10_S3_lS5_S3_lS4_T11_S3_li.private_seg_size, 0
	.set _ZL29rocblas_internal_gemmt_kernelIlLi16ELi32ELi8ELc84ELc67ELc85ELb0ELb0EfPKfS1_PfEviT_T9_T10_S3_lS5_S3_lS4_T11_S3_li.uses_vcc, 1
	.set _ZL29rocblas_internal_gemmt_kernelIlLi16ELi32ELi8ELc84ELc67ELc85ELb0ELb0EfPKfS1_PfEviT_T9_T10_S3_lS5_S3_lS4_T11_S3_li.uses_flat_scratch, 0
	.set _ZL29rocblas_internal_gemmt_kernelIlLi16ELi32ELi8ELc84ELc67ELc85ELb0ELb0EfPKfS1_PfEviT_T9_T10_S3_lS5_S3_lS4_T11_S3_li.has_dyn_sized_stack, 0
	.set _ZL29rocblas_internal_gemmt_kernelIlLi16ELi32ELi8ELc84ELc67ELc85ELb0ELb0EfPKfS1_PfEviT_T9_T10_S3_lS5_S3_lS4_T11_S3_li.has_recursion, 0
	.set _ZL29rocblas_internal_gemmt_kernelIlLi16ELi32ELi8ELc84ELc67ELc85ELb0ELb0EfPKfS1_PfEviT_T9_T10_S3_lS5_S3_lS4_T11_S3_li.has_indirect_call, 0
	.section	.AMDGPU.csdata,"",@progbits
; Kernel info:
; codeLenInByte = 1292
; TotalNumSgprs: 42
; NumVgprs: 50
; NumAgprs: 0
; TotalNumVgprs: 50
; ScratchSize: 0
; MemoryBound: 0
; FloatMode: 240
; IeeeMode: 1
; LDSByteSize: 2048 bytes/workgroup (compile time only)
; SGPRBlocks: 5
; VGPRBlocks: 6
; NumSGPRsForWavesPerEU: 42
; NumVGPRsForWavesPerEU: 50
; AccumOffset: 52
; Occupancy: 8
; WaveLimiterHint : 0
; COMPUTE_PGM_RSRC2:SCRATCH_EN: 0
; COMPUTE_PGM_RSRC2:USER_SGPR: 2
; COMPUTE_PGM_RSRC2:TRAP_HANDLER: 0
; COMPUTE_PGM_RSRC2:TGID_X_EN: 1
; COMPUTE_PGM_RSRC2:TGID_Y_EN: 1
; COMPUTE_PGM_RSRC2:TGID_Z_EN: 1
; COMPUTE_PGM_RSRC2:TIDIG_COMP_CNT: 1
; COMPUTE_PGM_RSRC3_GFX90A:ACCUM_OFFSET: 12
; COMPUTE_PGM_RSRC3_GFX90A:TG_SPLIT: 0
	.section	.text._ZL29rocblas_internal_gemmt_kernelIlLi16ELi32ELi8ELc67ELc78ELc85ELb0ELb0EfPKfS1_PfEviT_T9_T10_S3_lS5_S3_lS4_T11_S3_li,"axG",@progbits,_ZL29rocblas_internal_gemmt_kernelIlLi16ELi32ELi8ELc67ELc78ELc85ELb0ELb0EfPKfS1_PfEviT_T9_T10_S3_lS5_S3_lS4_T11_S3_li,comdat
	.globl	_ZL29rocblas_internal_gemmt_kernelIlLi16ELi32ELi8ELc67ELc78ELc85ELb0ELb0EfPKfS1_PfEviT_T9_T10_S3_lS5_S3_lS4_T11_S3_li ; -- Begin function _ZL29rocblas_internal_gemmt_kernelIlLi16ELi32ELi8ELc67ELc78ELc85ELb0ELb0EfPKfS1_PfEviT_T9_T10_S3_lS5_S3_lS4_T11_S3_li
	.p2align	8
	.type	_ZL29rocblas_internal_gemmt_kernelIlLi16ELi32ELi8ELc67ELc78ELc85ELb0ELb0EfPKfS1_PfEviT_T9_T10_S3_lS5_S3_lS4_T11_S3_li,@function
_ZL29rocblas_internal_gemmt_kernelIlLi16ELi32ELi8ELc67ELc78ELc85ELb0ELb0EfPKfS1_PfEviT_T9_T10_S3_lS5_S3_lS4_T11_S3_li: ; @_ZL29rocblas_internal_gemmt_kernelIlLi16ELi32ELi8ELc67ELc78ELc85ELb0ELb0EfPKfS1_PfEviT_T9_T10_S3_lS5_S3_lS4_T11_S3_li
; %bb.0:
	s_load_dwordx8 s[24:31], s[0:1], 0x48
	s_load_dwordx16 s[8:23], s[0:1], 0x8
	s_waitcnt lgkmcnt(0)
	s_load_dword s33, s[24:25], 0x0
	s_load_dword s34, s[10:11], 0x0
	s_waitcnt lgkmcnt(0)
	v_cmp_neq_f32_e64 s[6:7], s33, 1.0
	s_and_b64 vcc, exec, s[6:7]
	s_cbranch_vccnz .LBB150_2
; %bb.1:
	s_cmp_lg_u64 s[8:9], 0
	s_cselect_b64 s[6:7], -1, 0
	v_cmp_neq_f32_e64 s[10:11], s34, 0
	s_and_b64 s[6:7], s[6:7], s[10:11]
.LBB150_2:
	s_andn2_b64 vcc, exec, s[6:7]
	s_cbranch_vccnz .LBB150_28
; %bb.3:
	s_load_dword s24, s[0:1], 0x0
	s_lshl_b32 s25, s2, 5
	s_lshl_b32 s35, s3, 5
	v_cmp_eq_f32_e64 s[0:1], s34, 0
	v_cmp_lt_i64_e64 s[2:3], s[8:9], 1
	v_mov_b32_e32 v3, 0
	s_or_b64 s[0:1], s[0:1], s[2:3]
	v_and_b32_e32 v5, 0x3ff, v0
	v_bfe_u32 v7, v0, 10, 10
	s_and_b64 vcc, exec, s[0:1]
	v_mov_b32_e32 v2, v3
	v_mov_b32_e32 v1, v3
	;; [unrolled: 1-line block ×3, first 2 shown]
	s_cbranch_vccnz .LBB150_12
; %bb.4:
	s_mul_i32 s0, s23, s4
	s_mul_hi_u32 s1, s22, s4
	s_add_i32 s1, s1, s0
	s_mul_i32 s0, s22, s4
	s_lshl_b64 s[0:1], s[0:1], 2
	s_add_u32 s6, s18, s0
	s_addc_u32 s7, s19, s1
	s_mul_i32 s0, s17, s4
	s_mul_hi_u32 s1, s16, s4
	s_add_i32 s1, s1, s0
	s_mul_i32 s0, s16, s4
	v_lshl_add_u32 v0, v7, 4, v5
	s_lshl_b64 s[0:1], s[0:1], 2
	v_lshrrev_b32_e32 v6, 5, v0
	v_lshrrev_b32_e32 v2, 3, v0
	v_and_b32_e32 v0, 31, v0
	s_add_u32 s2, s12, s0
	v_or_b32_e32 v1, s25, v0
	s_addc_u32 s3, s13, s1
	v_lshlrev_b32_e32 v0, 2, v0
	s_ashr_i32 s5, s25, 31
	s_waitcnt lgkmcnt(0)
	v_cmp_gt_i32_e64 s[0:1], s24, v1
	v_lshl_or_b32 v14, v6, 7, v0
	v_mul_lo_u32 v8, s15, v1
	v_mad_u64_u32 v[0:1], s[10:11], s14, v1, 0
	s_mul_i32 s5, s14, s5
	v_and_b32_e32 v4, 7, v5
	v_add3_u32 v1, v1, s5, v8
	v_lshl_add_u64 v[8:9], v[0:1], 2, s[2:3]
	v_lshlrev_b32_e32 v0, 2, v4
	v_add_u32_e32 v3, s35, v2
	v_lshl_or_b32 v0, v2, 5, v0
	v_add_u32_e32 v15, 0x400, v0
	v_ashrrev_i32_e32 v0, 31, v3
	v_mul_lo_u32 v2, s20, v0
	v_mul_lo_u32 v10, s21, v3
	v_mad_u64_u32 v[0:1], s[10:11], s20, v3, 0
	v_add3_u32 v1, v1, v2, v10
	v_lshl_add_u64 v[10:11], v[0:1], 2, s[6:7]
	v_mov_b32_e32 v0, 0x400
	v_mov_b32_e32 v13, 0
	v_cmp_gt_i32_e64 s[2:3], s24, v3
	v_lshlrev_b32_e32 v16, 2, v5
	v_lshl_add_u32 v17, v7, 5, v0
	s_mov_b64 s[6:7], 0
	v_mov_b32_e32 v0, v13
	v_mov_b32_e32 v1, v13
	;; [unrolled: 1-line block ×4, first 2 shown]
	s_branch .LBB150_6
.LBB150_5:                              ;   in Loop: Header=BB150_6 Depth=1
	s_or_b64 exec, exec, s[10:11]
	s_waitcnt vmcnt(0)
	ds_write_b32 v15, v18
	s_waitcnt lgkmcnt(0)
	s_barrier
	ds_read_b128 v[18:21], v17
	ds_read_b128 v[22:25], v17 offset:16
	ds_read2_b32 v[34:35], v16 offset1:16
	ds_read2_b32 v[36:37], v16 offset0:32 offset1:48
	ds_read2_b32 v[38:39], v16 offset0:64 offset1:80
	;; [unrolled: 1-line block ×4, first 2 shown]
	ds_read_b128 v[26:29], v17 offset:512
	ds_read_b128 v[30:33], v17 offset:528
	ds_read2_b32 v[44:45], v16 offset0:160 offset1:176
	ds_read2_b32 v[46:47], v16 offset0:192 offset1:208
	;; [unrolled: 1-line block ×3, first 2 shown]
	s_waitcnt lgkmcnt(9)
	v_pk_fma_f32 v[2:3], v[34:35], v[18:19], v[2:3] op_sel_hi:[1,0,1]
	v_mov_b32_e32 v12, v21
	s_waitcnt lgkmcnt(8)
	v_pk_fma_f32 v[2:3], v[36:37], v[18:19], v[2:3] op_sel:[0,1,0]
	s_waitcnt lgkmcnt(4)
	v_pk_fma_f32 v[0:1], v[34:35], v[26:27], v[0:1] op_sel_hi:[1,0,1]
	v_pk_fma_f32 v[2:3], v[38:39], v[20:21], v[2:3] op_sel_hi:[1,0,1]
	v_pk_fma_f32 v[0:1], v[36:37], v[26:27], v[0:1] op_sel:[0,1,0]
	v_pk_fma_f32 v[2:3], v[40:41], v[12:13], v[2:3] op_sel_hi:[1,0,1]
	v_mov_b32_e32 v12, v25
	v_pk_fma_f32 v[2:3], v[42:43], v[22:23], v[2:3] op_sel_hi:[1,0,1]
	v_pk_fma_f32 v[0:1], v[38:39], v[28:29], v[0:1] op_sel_hi:[1,0,1]
	s_waitcnt lgkmcnt(2)
	v_pk_fma_f32 v[2:3], v[44:45], v[22:23], v[2:3] op_sel:[0,1,0]
	s_add_u32 s6, s6, 8
	s_waitcnt lgkmcnt(1)
	v_pk_fma_f32 v[2:3], v[46:47], v[24:25], v[2:3] op_sel_hi:[1,0,1]
	s_addc_u32 s7, s7, 0
	s_waitcnt lgkmcnt(0)
	v_pk_fma_f32 v[2:3], v[48:49], v[12:13], v[2:3] op_sel_hi:[1,0,1]
	v_mov_b32_e32 v12, v29
	v_pk_fma_f32 v[0:1], v[40:41], v[12:13], v[0:1] op_sel_hi:[1,0,1]
	v_mov_b64_e32 v[18:19], s[6:7]
	v_pk_fma_f32 v[0:1], v[42:43], v[30:31], v[0:1] op_sel_hi:[1,0,1]
	v_mov_b32_e32 v12, v33
	v_pk_fma_f32 v[0:1], v[44:45], v[30:31], v[0:1] op_sel:[0,1,0]
	v_cmp_gt_i64_e32 vcc, s[8:9], v[18:19]
	v_pk_fma_f32 v[0:1], v[46:47], v[32:33], v[0:1] op_sel_hi:[1,0,1]
	s_nop 0
	v_pk_fma_f32 v[0:1], v[48:49], v[12:13], v[0:1] op_sel_hi:[1,0,1]
	s_barrier
	s_cbranch_vccz .LBB150_12
.LBB150_6:                              ; =>This Inner Loop Header: Depth=1
	v_mov_b32_e32 v18, 0
	s_and_saveexec_b64 s[10:11], s[0:1]
	s_cbranch_execz .LBB150_10
; %bb.7:                                ;   in Loop: Header=BB150_6 Depth=1
	v_add_u32_e32 v12, s6, v6
	v_cmp_gt_u64_e32 vcc, s[8:9], v[12:13]
	v_mov_b32_e32 v18, 0
	s_and_saveexec_b64 s[12:13], vcc
	s_cbranch_execz .LBB150_9
; %bb.8:                                ;   in Loop: Header=BB150_6 Depth=1
	v_lshl_add_u64 v[18:19], v[12:13], 2, v[8:9]
	global_load_dword v18, v[18:19], off
.LBB150_9:                              ;   in Loop: Header=BB150_6 Depth=1
	s_or_b64 exec, exec, s[12:13]
.LBB150_10:                             ;   in Loop: Header=BB150_6 Depth=1
	s_or_b64 exec, exec, s[10:11]
	v_add_u32_e32 v12, s6, v4
	v_cmp_gt_u64_e32 vcc, s[8:9], v[12:13]
	s_waitcnt vmcnt(0)
	ds_write_b32 v14, v18
	s_and_b64 s[12:13], vcc, s[2:3]
	v_mov_b32_e32 v18, 0
	s_and_saveexec_b64 s[10:11], s[12:13]
	s_cbranch_execz .LBB150_5
; %bb.11:                               ;   in Loop: Header=BB150_6 Depth=1
	v_lshl_add_u64 v[18:19], v[12:13], 2, v[10:11]
	global_load_dword v18, v[18:19], off
	s_branch .LBB150_5
.LBB150_12:
	s_mul_i32 s0, s31, s4
	s_mul_hi_u32 s1, s30, s4
	s_add_i32 s1, s1, s0
	s_mul_i32 s0, s30, s4
	s_lshl_b64 s[0:1], s[0:1], 2
	v_add_u32_e32 v10, s35, v7
	s_add_u32 s4, s26, s0
	v_add_u32_e32 v4, s25, v5
	v_ashrrev_i32_e32 v5, 31, v10
	s_addc_u32 s5, s27, s1
	v_mul_lo_u32 v5, s28, v5
	v_mul_lo_u32 v8, s29, v10
	v_mad_u64_u32 v[6:7], s[0:1], s28, v10, 0
	v_add3_u32 v7, v7, v5, v8
	v_cmp_neq_f32_e64 s[0:1], s33, 0
	s_waitcnt lgkmcnt(0)
	v_cmp_gt_i32_e64 s[2:3], s24, v10
	v_lshl_add_u64 v[8:9], v[6:7], 2, s[4:5]
	v_cmp_le_i32_e32 vcc, v4, v10
	v_cndmask_b32_e64 v6, 0, 1, s[0:1]
	s_and_b64 s[8:9], s[2:3], vcc
	v_ashrrev_i32_e32 v5, 31, v4
	v_cmp_ne_u32_e64 s[0:1], 1, v6
	s_and_saveexec_b64 s[6:7], s[8:9]
	s_cbranch_execz .LBB150_16
; %bb.13:
	v_mul_f32_e32 v2, s34, v2
	s_and_b64 vcc, exec, s[0:1]
	v_lshl_add_u64 v[6:7], v[4:5], 2, v[8:9]
	s_cbranch_vccnz .LBB150_15
; %bb.14:
	global_load_dword v11, v[6:7], off
	s_waitcnt vmcnt(0)
	v_fmac_f32_e32 v2, s33, v11
.LBB150_15:
	global_store_dword v[6:7], v2, off
.LBB150_16:
	s_or_b64 exec, exec, s[6:7]
	v_add_u32_e32 v6, 16, v4
	v_cmp_le_i32_e32 vcc, v6, v10
	s_and_b64 s[6:7], s[2:3], vcc
	v_ashrrev_i32_e32 v7, 31, v6
	s_and_saveexec_b64 s[2:3], s[6:7]
	s_cbranch_execz .LBB150_20
; %bb.17:
	v_mul_f32_e32 v11, s34, v3
	s_and_b64 vcc, exec, s[0:1]
	v_lshl_add_u64 v[2:3], v[6:7], 2, v[8:9]
	s_cbranch_vccnz .LBB150_19
; %bb.18:
	global_load_dword v8, v[2:3], off
	s_waitcnt vmcnt(0)
	v_fmac_f32_e32 v11, s33, v8
.LBB150_19:
	global_store_dword v[2:3], v11, off
.LBB150_20:
	s_or_b64 exec, exec, s[2:3]
	v_add_u32_e32 v8, 16, v10
	v_ashrrev_i32_e32 v2, 31, v8
	v_mul_lo_u32 v9, s28, v2
	v_mul_lo_u32 v10, s29, v8
	v_mad_u64_u32 v[2:3], s[6:7], s28, v8, 0
	v_cmp_gt_i32_e64 s[2:3], s24, v8
	v_add3_u32 v3, v3, v9, v10
	v_cmp_le_i32_e32 vcc, v4, v8
	v_lshl_add_u64 v[2:3], v[2:3], 2, s[4:5]
	s_and_b64 s[6:7], s[2:3], vcc
	s_and_saveexec_b64 s[4:5], s[6:7]
	s_cbranch_execz .LBB150_24
; %bb.21:
	v_mul_f32_e32 v0, s34, v0
	s_and_b64 vcc, exec, s[0:1]
	v_lshl_add_u64 v[4:5], v[4:5], 2, v[2:3]
	s_cbranch_vccnz .LBB150_23
; %bb.22:
	global_load_dword v9, v[4:5], off
	s_waitcnt vmcnt(0)
	v_fmac_f32_e32 v0, s33, v9
.LBB150_23:
	global_store_dword v[4:5], v0, off
.LBB150_24:
	s_or_b64 exec, exec, s[4:5]
	v_cmp_le_i32_e32 vcc, v6, v8
	s_and_b64 s[2:3], s[2:3], vcc
	s_and_saveexec_b64 s[4:5], s[2:3]
	s_cbranch_execz .LBB150_28
; %bb.25:
	v_mul_f32_e32 v4, s34, v1
	s_and_b64 vcc, exec, s[0:1]
	v_lshl_add_u64 v[0:1], v[6:7], 2, v[2:3]
	s_cbranch_vccnz .LBB150_27
; %bb.26:
	global_load_dword v2, v[0:1], off
	s_waitcnt vmcnt(0)
	v_fmac_f32_e32 v4, s33, v2
.LBB150_27:
	global_store_dword v[0:1], v4, off
.LBB150_28:
	s_endpgm
	.section	.rodata,"a",@progbits
	.p2align	6, 0x0
	.amdhsa_kernel _ZL29rocblas_internal_gemmt_kernelIlLi16ELi32ELi8ELc67ELc78ELc85ELb0ELb0EfPKfS1_PfEviT_T9_T10_S3_lS5_S3_lS4_T11_S3_li
		.amdhsa_group_segment_fixed_size 2048
		.amdhsa_private_segment_fixed_size 0
		.amdhsa_kernarg_size 108
		.amdhsa_user_sgpr_count 2
		.amdhsa_user_sgpr_dispatch_ptr 0
		.amdhsa_user_sgpr_queue_ptr 0
		.amdhsa_user_sgpr_kernarg_segment_ptr 1
		.amdhsa_user_sgpr_dispatch_id 0
		.amdhsa_user_sgpr_kernarg_preload_length 0
		.amdhsa_user_sgpr_kernarg_preload_offset 0
		.amdhsa_user_sgpr_private_segment_size 0
		.amdhsa_uses_dynamic_stack 0
		.amdhsa_enable_private_segment 0
		.amdhsa_system_sgpr_workgroup_id_x 1
		.amdhsa_system_sgpr_workgroup_id_y 1
		.amdhsa_system_sgpr_workgroup_id_z 1
		.amdhsa_system_sgpr_workgroup_info 0
		.amdhsa_system_vgpr_workitem_id 1
		.amdhsa_next_free_vgpr 50
		.amdhsa_next_free_sgpr 36
		.amdhsa_accum_offset 52
		.amdhsa_reserve_vcc 1
		.amdhsa_float_round_mode_32 0
		.amdhsa_float_round_mode_16_64 0
		.amdhsa_float_denorm_mode_32 3
		.amdhsa_float_denorm_mode_16_64 3
		.amdhsa_dx10_clamp 1
		.amdhsa_ieee_mode 1
		.amdhsa_fp16_overflow 0
		.amdhsa_tg_split 0
		.amdhsa_exception_fp_ieee_invalid_op 0
		.amdhsa_exception_fp_denorm_src 0
		.amdhsa_exception_fp_ieee_div_zero 0
		.amdhsa_exception_fp_ieee_overflow 0
		.amdhsa_exception_fp_ieee_underflow 0
		.amdhsa_exception_fp_ieee_inexact 0
		.amdhsa_exception_int_div_zero 0
	.end_amdhsa_kernel
	.section	.text._ZL29rocblas_internal_gemmt_kernelIlLi16ELi32ELi8ELc67ELc78ELc85ELb0ELb0EfPKfS1_PfEviT_T9_T10_S3_lS5_S3_lS4_T11_S3_li,"axG",@progbits,_ZL29rocblas_internal_gemmt_kernelIlLi16ELi32ELi8ELc67ELc78ELc85ELb0ELb0EfPKfS1_PfEviT_T9_T10_S3_lS5_S3_lS4_T11_S3_li,comdat
.Lfunc_end150:
	.size	_ZL29rocblas_internal_gemmt_kernelIlLi16ELi32ELi8ELc67ELc78ELc85ELb0ELb0EfPKfS1_PfEviT_T9_T10_S3_lS5_S3_lS4_T11_S3_li, .Lfunc_end150-_ZL29rocblas_internal_gemmt_kernelIlLi16ELi32ELi8ELc67ELc78ELc85ELb0ELb0EfPKfS1_PfEviT_T9_T10_S3_lS5_S3_lS4_T11_S3_li
                                        ; -- End function
	.set _ZL29rocblas_internal_gemmt_kernelIlLi16ELi32ELi8ELc67ELc78ELc85ELb0ELb0EfPKfS1_PfEviT_T9_T10_S3_lS5_S3_lS4_T11_S3_li.num_vgpr, 50
	.set _ZL29rocblas_internal_gemmt_kernelIlLi16ELi32ELi8ELc67ELc78ELc85ELb0ELb0EfPKfS1_PfEviT_T9_T10_S3_lS5_S3_lS4_T11_S3_li.num_agpr, 0
	.set _ZL29rocblas_internal_gemmt_kernelIlLi16ELi32ELi8ELc67ELc78ELc85ELb0ELb0EfPKfS1_PfEviT_T9_T10_S3_lS5_S3_lS4_T11_S3_li.numbered_sgpr, 36
	.set _ZL29rocblas_internal_gemmt_kernelIlLi16ELi32ELi8ELc67ELc78ELc85ELb0ELb0EfPKfS1_PfEviT_T9_T10_S3_lS5_S3_lS4_T11_S3_li.num_named_barrier, 0
	.set _ZL29rocblas_internal_gemmt_kernelIlLi16ELi32ELi8ELc67ELc78ELc85ELb0ELb0EfPKfS1_PfEviT_T9_T10_S3_lS5_S3_lS4_T11_S3_li.private_seg_size, 0
	.set _ZL29rocblas_internal_gemmt_kernelIlLi16ELi32ELi8ELc67ELc78ELc85ELb0ELb0EfPKfS1_PfEviT_T9_T10_S3_lS5_S3_lS4_T11_S3_li.uses_vcc, 1
	.set _ZL29rocblas_internal_gemmt_kernelIlLi16ELi32ELi8ELc67ELc78ELc85ELb0ELb0EfPKfS1_PfEviT_T9_T10_S3_lS5_S3_lS4_T11_S3_li.uses_flat_scratch, 0
	.set _ZL29rocblas_internal_gemmt_kernelIlLi16ELi32ELi8ELc67ELc78ELc85ELb0ELb0EfPKfS1_PfEviT_T9_T10_S3_lS5_S3_lS4_T11_S3_li.has_dyn_sized_stack, 0
	.set _ZL29rocblas_internal_gemmt_kernelIlLi16ELi32ELi8ELc67ELc78ELc85ELb0ELb0EfPKfS1_PfEviT_T9_T10_S3_lS5_S3_lS4_T11_S3_li.has_recursion, 0
	.set _ZL29rocblas_internal_gemmt_kernelIlLi16ELi32ELi8ELc67ELc78ELc85ELb0ELb0EfPKfS1_PfEviT_T9_T10_S3_lS5_S3_lS4_T11_S3_li.has_indirect_call, 0
	.section	.AMDGPU.csdata,"",@progbits
; Kernel info:
; codeLenInByte = 1300
; TotalNumSgprs: 42
; NumVgprs: 50
; NumAgprs: 0
; TotalNumVgprs: 50
; ScratchSize: 0
; MemoryBound: 0
; FloatMode: 240
; IeeeMode: 1
; LDSByteSize: 2048 bytes/workgroup (compile time only)
; SGPRBlocks: 5
; VGPRBlocks: 6
; NumSGPRsForWavesPerEU: 42
; NumVGPRsForWavesPerEU: 50
; AccumOffset: 52
; Occupancy: 8
; WaveLimiterHint : 0
; COMPUTE_PGM_RSRC2:SCRATCH_EN: 0
; COMPUTE_PGM_RSRC2:USER_SGPR: 2
; COMPUTE_PGM_RSRC2:TRAP_HANDLER: 0
; COMPUTE_PGM_RSRC2:TGID_X_EN: 1
; COMPUTE_PGM_RSRC2:TGID_Y_EN: 1
; COMPUTE_PGM_RSRC2:TGID_Z_EN: 1
; COMPUTE_PGM_RSRC2:TIDIG_COMP_CNT: 1
; COMPUTE_PGM_RSRC3_GFX90A:ACCUM_OFFSET: 12
; COMPUTE_PGM_RSRC3_GFX90A:TG_SPLIT: 0
	.section	.text._ZL29rocblas_internal_gemmt_kernelIlLi16ELi32ELi8ELc67ELc84ELc85ELb0ELb0EfPKfS1_PfEviT_T9_T10_S3_lS5_S3_lS4_T11_S3_li,"axG",@progbits,_ZL29rocblas_internal_gemmt_kernelIlLi16ELi32ELi8ELc67ELc84ELc85ELb0ELb0EfPKfS1_PfEviT_T9_T10_S3_lS5_S3_lS4_T11_S3_li,comdat
	.globl	_ZL29rocblas_internal_gemmt_kernelIlLi16ELi32ELi8ELc67ELc84ELc85ELb0ELb0EfPKfS1_PfEviT_T9_T10_S3_lS5_S3_lS4_T11_S3_li ; -- Begin function _ZL29rocblas_internal_gemmt_kernelIlLi16ELi32ELi8ELc67ELc84ELc85ELb0ELb0EfPKfS1_PfEviT_T9_T10_S3_lS5_S3_lS4_T11_S3_li
	.p2align	8
	.type	_ZL29rocblas_internal_gemmt_kernelIlLi16ELi32ELi8ELc67ELc84ELc85ELb0ELb0EfPKfS1_PfEviT_T9_T10_S3_lS5_S3_lS4_T11_S3_li,@function
_ZL29rocblas_internal_gemmt_kernelIlLi16ELi32ELi8ELc67ELc84ELc85ELb0ELb0EfPKfS1_PfEviT_T9_T10_S3_lS5_S3_lS4_T11_S3_li: ; @_ZL29rocblas_internal_gemmt_kernelIlLi16ELi32ELi8ELc67ELc84ELc85ELb0ELb0EfPKfS1_PfEviT_T9_T10_S3_lS5_S3_lS4_T11_S3_li
; %bb.0:
	s_load_dwordx8 s[24:31], s[0:1], 0x48
	s_load_dwordx16 s[8:23], s[0:1], 0x8
	s_waitcnt lgkmcnt(0)
	s_load_dword s33, s[24:25], 0x0
	s_load_dword s34, s[10:11], 0x0
	s_waitcnt lgkmcnt(0)
	v_cmp_neq_f32_e64 s[6:7], s33, 1.0
	s_and_b64 vcc, exec, s[6:7]
	s_cbranch_vccnz .LBB151_2
; %bb.1:
	s_cmp_lg_u64 s[8:9], 0
	s_cselect_b64 s[6:7], -1, 0
	v_cmp_neq_f32_e64 s[10:11], s34, 0
	s_and_b64 s[6:7], s[6:7], s[10:11]
.LBB151_2:
	s_andn2_b64 vcc, exec, s[6:7]
	s_cbranch_vccnz .LBB151_28
; %bb.3:
	s_load_dword s24, s[0:1], 0x0
	s_lshl_b32 s25, s2, 5
	s_lshl_b32 s35, s3, 5
	v_cmp_eq_f32_e64 s[0:1], s34, 0
	v_cmp_lt_i64_e64 s[2:3], s[8:9], 1
	v_mov_b32_e32 v3, 0
	s_or_b64 s[0:1], s[0:1], s[2:3]
	v_and_b32_e32 v5, 0x3ff, v0
	v_bfe_u32 v7, v0, 10, 10
	s_and_b64 vcc, exec, s[0:1]
	v_mov_b32_e32 v2, v3
	v_mov_b32_e32 v1, v3
	;; [unrolled: 1-line block ×3, first 2 shown]
	s_cbranch_vccnz .LBB151_12
; %bb.4:
	s_mul_i32 s0, s23, s4
	s_mul_hi_u32 s1, s22, s4
	s_add_i32 s1, s1, s0
	s_mul_i32 s0, s22, s4
	s_lshl_b64 s[0:1], s[0:1], 2
	s_add_u32 s6, s18, s0
	s_addc_u32 s7, s19, s1
	s_mul_i32 s0, s17, s4
	s_mul_hi_u32 s1, s16, s4
	s_add_i32 s1, s1, s0
	s_mul_i32 s0, s16, s4
	v_lshl_add_u32 v1, v7, 4, v5
	s_lshl_b64 s[0:1], s[0:1], 2
	v_lshrrev_b32_e32 v6, 5, v1
	v_lshrrev_b32_e32 v10, 3, v1
	v_and_b32_e32 v1, 31, v1
	s_add_u32 s2, s12, s0
	v_or_b32_e32 v2, s25, v1
	s_addc_u32 s3, s13, s1
	v_lshlrev_b32_e32 v1, 2, v1
	s_ashr_i32 s5, s25, 31
	v_and_b32_e32 v4, 7, v5
	s_waitcnt lgkmcnt(0)
	v_cmp_gt_i32_e64 s[0:1], s24, v2
	v_lshl_or_b32 v14, v6, 7, v1
	v_mul_lo_u32 v1, s15, v2
	v_mad_u64_u32 v[2:3], s[10:11], s14, v2, 0
	s_mul_i32 s5, s14, s5
	v_add3_u32 v3, v3, s5, v1
	v_lshlrev_b32_e32 v1, 2, v4
	v_add_u32_e32 v0, s35, v10
	v_lshl_or_b32 v1, v10, 5, v1
	v_add_u32_e32 v15, 0x400, v1
	v_ashrrev_i32_e32 v1, 31, v0
	v_lshl_add_u64 v[8:9], v[2:3], 2, s[2:3]
	v_cmp_gt_i32_e64 s[2:3], s24, v0
	v_lshl_add_u64 v[10:11], v[0:1], 2, s[6:7]
	v_mov_b32_e32 v0, 0x400
	v_mov_b32_e32 v13, 0
	v_lshlrev_b32_e32 v16, 2, v5
	v_lshl_add_u32 v17, v7, 5, v0
	s_mov_b64 s[6:7], 0
	v_mov_b32_e32 v0, v13
	v_mov_b32_e32 v1, v13
	;; [unrolled: 1-line block ×4, first 2 shown]
	s_branch .LBB151_6
.LBB151_5:                              ;   in Loop: Header=BB151_6 Depth=1
	s_or_b64 exec, exec, s[10:11]
	s_waitcnt vmcnt(0)
	ds_write_b32 v15, v18
	s_waitcnt lgkmcnt(0)
	s_barrier
	ds_read_b128 v[18:21], v17
	ds_read_b128 v[22:25], v17 offset:16
	ds_read2_b32 v[34:35], v16 offset1:16
	ds_read2_b32 v[36:37], v16 offset0:32 offset1:48
	ds_read2_b32 v[38:39], v16 offset0:64 offset1:80
	;; [unrolled: 1-line block ×4, first 2 shown]
	ds_read_b128 v[26:29], v17 offset:512
	ds_read_b128 v[30:33], v17 offset:528
	ds_read2_b32 v[44:45], v16 offset0:160 offset1:176
	ds_read2_b32 v[46:47], v16 offset0:192 offset1:208
	;; [unrolled: 1-line block ×3, first 2 shown]
	s_waitcnt lgkmcnt(9)
	v_pk_fma_f32 v[2:3], v[34:35], v[18:19], v[2:3] op_sel_hi:[1,0,1]
	v_mov_b32_e32 v12, v21
	s_waitcnt lgkmcnt(8)
	v_pk_fma_f32 v[2:3], v[36:37], v[18:19], v[2:3] op_sel:[0,1,0]
	s_waitcnt lgkmcnt(4)
	v_pk_fma_f32 v[0:1], v[34:35], v[26:27], v[0:1] op_sel_hi:[1,0,1]
	v_pk_fma_f32 v[2:3], v[38:39], v[20:21], v[2:3] op_sel_hi:[1,0,1]
	v_pk_fma_f32 v[0:1], v[36:37], v[26:27], v[0:1] op_sel:[0,1,0]
	v_pk_fma_f32 v[2:3], v[40:41], v[12:13], v[2:3] op_sel_hi:[1,0,1]
	v_mov_b32_e32 v12, v25
	v_pk_fma_f32 v[2:3], v[42:43], v[22:23], v[2:3] op_sel_hi:[1,0,1]
	v_pk_fma_f32 v[0:1], v[38:39], v[28:29], v[0:1] op_sel_hi:[1,0,1]
	s_waitcnt lgkmcnt(2)
	v_pk_fma_f32 v[2:3], v[44:45], v[22:23], v[2:3] op_sel:[0,1,0]
	s_add_u32 s6, s6, 8
	s_waitcnt lgkmcnt(1)
	v_pk_fma_f32 v[2:3], v[46:47], v[24:25], v[2:3] op_sel_hi:[1,0,1]
	s_addc_u32 s7, s7, 0
	s_waitcnt lgkmcnt(0)
	v_pk_fma_f32 v[2:3], v[48:49], v[12:13], v[2:3] op_sel_hi:[1,0,1]
	v_mov_b32_e32 v12, v29
	v_pk_fma_f32 v[0:1], v[40:41], v[12:13], v[0:1] op_sel_hi:[1,0,1]
	v_mov_b64_e32 v[18:19], s[6:7]
	v_pk_fma_f32 v[0:1], v[42:43], v[30:31], v[0:1] op_sel_hi:[1,0,1]
	v_mov_b32_e32 v12, v33
	v_pk_fma_f32 v[0:1], v[44:45], v[30:31], v[0:1] op_sel:[0,1,0]
	v_cmp_gt_i64_e32 vcc, s[8:9], v[18:19]
	v_pk_fma_f32 v[0:1], v[46:47], v[32:33], v[0:1] op_sel_hi:[1,0,1]
	s_nop 0
	v_pk_fma_f32 v[0:1], v[48:49], v[12:13], v[0:1] op_sel_hi:[1,0,1]
	s_barrier
	s_cbranch_vccz .LBB151_12
.LBB151_6:                              ; =>This Inner Loop Header: Depth=1
	v_mov_b32_e32 v18, 0
	s_and_saveexec_b64 s[10:11], s[0:1]
	s_cbranch_execz .LBB151_10
; %bb.7:                                ;   in Loop: Header=BB151_6 Depth=1
	v_add_u32_e32 v12, s6, v6
	v_cmp_gt_u64_e32 vcc, s[8:9], v[12:13]
	v_mov_b32_e32 v18, 0
	s_and_saveexec_b64 s[12:13], vcc
	s_cbranch_execz .LBB151_9
; %bb.8:                                ;   in Loop: Header=BB151_6 Depth=1
	v_lshl_add_u64 v[18:19], v[12:13], 2, v[8:9]
	global_load_dword v18, v[18:19], off
.LBB151_9:                              ;   in Loop: Header=BB151_6 Depth=1
	s_or_b64 exec, exec, s[12:13]
.LBB151_10:                             ;   in Loop: Header=BB151_6 Depth=1
	s_or_b64 exec, exec, s[10:11]
	v_add_u32_e32 v12, s6, v4
	v_cmp_gt_u64_e32 vcc, s[8:9], v[12:13]
	s_waitcnt vmcnt(0)
	ds_write_b32 v14, v18
	s_and_b64 s[12:13], vcc, s[2:3]
	v_mov_b32_e32 v18, 0
	s_and_saveexec_b64 s[10:11], s[12:13]
	s_cbranch_execz .LBB151_5
; %bb.11:                               ;   in Loop: Header=BB151_6 Depth=1
	v_mad_u64_u32 v[18:19], s[12:13], s20, v12, 0
	v_mov_b32_e32 v20, v19
	v_mad_u64_u32 v[20:21], s[12:13], s21, v12, v[20:21]
	v_mov_b32_e32 v19, v20
	v_lshl_add_u64 v[18:19], v[18:19], 2, v[10:11]
	global_load_dword v18, v[18:19], off
	s_branch .LBB151_5
.LBB151_12:
	s_mul_i32 s0, s31, s4
	s_mul_hi_u32 s1, s30, s4
	s_add_i32 s1, s1, s0
	s_mul_i32 s0, s30, s4
	s_lshl_b64 s[0:1], s[0:1], 2
	v_add_u32_e32 v10, s35, v7
	s_add_u32 s4, s26, s0
	v_add_u32_e32 v4, s25, v5
	v_ashrrev_i32_e32 v5, 31, v10
	s_addc_u32 s5, s27, s1
	v_mul_lo_u32 v5, s28, v5
	v_mul_lo_u32 v8, s29, v10
	v_mad_u64_u32 v[6:7], s[0:1], s28, v10, 0
	v_add3_u32 v7, v7, v5, v8
	v_cmp_neq_f32_e64 s[0:1], s33, 0
	s_waitcnt lgkmcnt(0)
	v_cmp_gt_i32_e64 s[2:3], s24, v10
	v_lshl_add_u64 v[8:9], v[6:7], 2, s[4:5]
	v_cmp_le_i32_e32 vcc, v4, v10
	v_cndmask_b32_e64 v6, 0, 1, s[0:1]
	s_and_b64 s[8:9], s[2:3], vcc
	v_ashrrev_i32_e32 v5, 31, v4
	v_cmp_ne_u32_e64 s[0:1], 1, v6
	s_and_saveexec_b64 s[6:7], s[8:9]
	s_cbranch_execz .LBB151_16
; %bb.13:
	v_mul_f32_e32 v2, s34, v2
	s_and_b64 vcc, exec, s[0:1]
	v_lshl_add_u64 v[6:7], v[4:5], 2, v[8:9]
	s_cbranch_vccnz .LBB151_15
; %bb.14:
	global_load_dword v11, v[6:7], off
	s_waitcnt vmcnt(0)
	v_fmac_f32_e32 v2, s33, v11
.LBB151_15:
	global_store_dword v[6:7], v2, off
.LBB151_16:
	s_or_b64 exec, exec, s[6:7]
	v_add_u32_e32 v6, 16, v4
	v_cmp_le_i32_e32 vcc, v6, v10
	s_and_b64 s[6:7], s[2:3], vcc
	v_ashrrev_i32_e32 v7, 31, v6
	s_and_saveexec_b64 s[2:3], s[6:7]
	s_cbranch_execz .LBB151_20
; %bb.17:
	v_mul_f32_e32 v11, s34, v3
	s_and_b64 vcc, exec, s[0:1]
	v_lshl_add_u64 v[2:3], v[6:7], 2, v[8:9]
	s_cbranch_vccnz .LBB151_19
; %bb.18:
	global_load_dword v8, v[2:3], off
	s_waitcnt vmcnt(0)
	v_fmac_f32_e32 v11, s33, v8
.LBB151_19:
	global_store_dword v[2:3], v11, off
.LBB151_20:
	s_or_b64 exec, exec, s[2:3]
	v_add_u32_e32 v8, 16, v10
	v_ashrrev_i32_e32 v2, 31, v8
	v_mul_lo_u32 v9, s28, v2
	v_mul_lo_u32 v10, s29, v8
	v_mad_u64_u32 v[2:3], s[6:7], s28, v8, 0
	v_cmp_gt_i32_e64 s[2:3], s24, v8
	v_add3_u32 v3, v3, v9, v10
	v_cmp_le_i32_e32 vcc, v4, v8
	v_lshl_add_u64 v[2:3], v[2:3], 2, s[4:5]
	s_and_b64 s[6:7], s[2:3], vcc
	s_and_saveexec_b64 s[4:5], s[6:7]
	s_cbranch_execz .LBB151_24
; %bb.21:
	v_mul_f32_e32 v0, s34, v0
	s_and_b64 vcc, exec, s[0:1]
	v_lshl_add_u64 v[4:5], v[4:5], 2, v[2:3]
	s_cbranch_vccnz .LBB151_23
; %bb.22:
	global_load_dword v9, v[4:5], off
	s_waitcnt vmcnt(0)
	v_fmac_f32_e32 v0, s33, v9
.LBB151_23:
	global_store_dword v[4:5], v0, off
.LBB151_24:
	s_or_b64 exec, exec, s[4:5]
	v_cmp_le_i32_e32 vcc, v6, v8
	s_and_b64 s[2:3], s[2:3], vcc
	s_and_saveexec_b64 s[4:5], s[2:3]
	s_cbranch_execz .LBB151_28
; %bb.25:
	v_mul_f32_e32 v4, s34, v1
	s_and_b64 vcc, exec, s[0:1]
	v_lshl_add_u64 v[0:1], v[6:7], 2, v[2:3]
	s_cbranch_vccnz .LBB151_27
; %bb.26:
	global_load_dword v2, v[0:1], off
	s_waitcnt vmcnt(0)
	v_fmac_f32_e32 v4, s33, v2
.LBB151_27:
	global_store_dword v[0:1], v4, off
.LBB151_28:
	s_endpgm
	.section	.rodata,"a",@progbits
	.p2align	6, 0x0
	.amdhsa_kernel _ZL29rocblas_internal_gemmt_kernelIlLi16ELi32ELi8ELc67ELc84ELc85ELb0ELb0EfPKfS1_PfEviT_T9_T10_S3_lS5_S3_lS4_T11_S3_li
		.amdhsa_group_segment_fixed_size 2048
		.amdhsa_private_segment_fixed_size 0
		.amdhsa_kernarg_size 108
		.amdhsa_user_sgpr_count 2
		.amdhsa_user_sgpr_dispatch_ptr 0
		.amdhsa_user_sgpr_queue_ptr 0
		.amdhsa_user_sgpr_kernarg_segment_ptr 1
		.amdhsa_user_sgpr_dispatch_id 0
		.amdhsa_user_sgpr_kernarg_preload_length 0
		.amdhsa_user_sgpr_kernarg_preload_offset 0
		.amdhsa_user_sgpr_private_segment_size 0
		.amdhsa_uses_dynamic_stack 0
		.amdhsa_enable_private_segment 0
		.amdhsa_system_sgpr_workgroup_id_x 1
		.amdhsa_system_sgpr_workgroup_id_y 1
		.amdhsa_system_sgpr_workgroup_id_z 1
		.amdhsa_system_sgpr_workgroup_info 0
		.amdhsa_system_vgpr_workitem_id 1
		.amdhsa_next_free_vgpr 50
		.amdhsa_next_free_sgpr 36
		.amdhsa_accum_offset 52
		.amdhsa_reserve_vcc 1
		.amdhsa_float_round_mode_32 0
		.amdhsa_float_round_mode_16_64 0
		.amdhsa_float_denorm_mode_32 3
		.amdhsa_float_denorm_mode_16_64 3
		.amdhsa_dx10_clamp 1
		.amdhsa_ieee_mode 1
		.amdhsa_fp16_overflow 0
		.amdhsa_tg_split 0
		.amdhsa_exception_fp_ieee_invalid_op 0
		.amdhsa_exception_fp_denorm_src 0
		.amdhsa_exception_fp_ieee_div_zero 0
		.amdhsa_exception_fp_ieee_overflow 0
		.amdhsa_exception_fp_ieee_underflow 0
		.amdhsa_exception_fp_ieee_inexact 0
		.amdhsa_exception_int_div_zero 0
	.end_amdhsa_kernel
	.section	.text._ZL29rocblas_internal_gemmt_kernelIlLi16ELi32ELi8ELc67ELc84ELc85ELb0ELb0EfPKfS1_PfEviT_T9_T10_S3_lS5_S3_lS4_T11_S3_li,"axG",@progbits,_ZL29rocblas_internal_gemmt_kernelIlLi16ELi32ELi8ELc67ELc84ELc85ELb0ELb0EfPKfS1_PfEviT_T9_T10_S3_lS5_S3_lS4_T11_S3_li,comdat
.Lfunc_end151:
	.size	_ZL29rocblas_internal_gemmt_kernelIlLi16ELi32ELi8ELc67ELc84ELc85ELb0ELb0EfPKfS1_PfEviT_T9_T10_S3_lS5_S3_lS4_T11_S3_li, .Lfunc_end151-_ZL29rocblas_internal_gemmt_kernelIlLi16ELi32ELi8ELc67ELc84ELc85ELb0ELb0EfPKfS1_PfEviT_T9_T10_S3_lS5_S3_lS4_T11_S3_li
                                        ; -- End function
	.set _ZL29rocblas_internal_gemmt_kernelIlLi16ELi32ELi8ELc67ELc84ELc85ELb0ELb0EfPKfS1_PfEviT_T9_T10_S3_lS5_S3_lS4_T11_S3_li.num_vgpr, 50
	.set _ZL29rocblas_internal_gemmt_kernelIlLi16ELi32ELi8ELc67ELc84ELc85ELb0ELb0EfPKfS1_PfEviT_T9_T10_S3_lS5_S3_lS4_T11_S3_li.num_agpr, 0
	.set _ZL29rocblas_internal_gemmt_kernelIlLi16ELi32ELi8ELc67ELc84ELc85ELb0ELb0EfPKfS1_PfEviT_T9_T10_S3_lS5_S3_lS4_T11_S3_li.numbered_sgpr, 36
	.set _ZL29rocblas_internal_gemmt_kernelIlLi16ELi32ELi8ELc67ELc84ELc85ELb0ELb0EfPKfS1_PfEviT_T9_T10_S3_lS5_S3_lS4_T11_S3_li.num_named_barrier, 0
	.set _ZL29rocblas_internal_gemmt_kernelIlLi16ELi32ELi8ELc67ELc84ELc85ELb0ELb0EfPKfS1_PfEviT_T9_T10_S3_lS5_S3_lS4_T11_S3_li.private_seg_size, 0
	.set _ZL29rocblas_internal_gemmt_kernelIlLi16ELi32ELi8ELc67ELc84ELc85ELb0ELb0EfPKfS1_PfEviT_T9_T10_S3_lS5_S3_lS4_T11_S3_li.uses_vcc, 1
	.set _ZL29rocblas_internal_gemmt_kernelIlLi16ELi32ELi8ELc67ELc84ELc85ELb0ELb0EfPKfS1_PfEviT_T9_T10_S3_lS5_S3_lS4_T11_S3_li.uses_flat_scratch, 0
	.set _ZL29rocblas_internal_gemmt_kernelIlLi16ELi32ELi8ELc67ELc84ELc85ELb0ELb0EfPKfS1_PfEviT_T9_T10_S3_lS5_S3_lS4_T11_S3_li.has_dyn_sized_stack, 0
	.set _ZL29rocblas_internal_gemmt_kernelIlLi16ELi32ELi8ELc67ELc84ELc85ELb0ELb0EfPKfS1_PfEviT_T9_T10_S3_lS5_S3_lS4_T11_S3_li.has_recursion, 0
	.set _ZL29rocblas_internal_gemmt_kernelIlLi16ELi32ELi8ELc67ELc84ELc85ELb0ELb0EfPKfS1_PfEviT_T9_T10_S3_lS5_S3_lS4_T11_S3_li.has_indirect_call, 0
	.section	.AMDGPU.csdata,"",@progbits
; Kernel info:
; codeLenInByte = 1292
; TotalNumSgprs: 42
; NumVgprs: 50
; NumAgprs: 0
; TotalNumVgprs: 50
; ScratchSize: 0
; MemoryBound: 0
; FloatMode: 240
; IeeeMode: 1
; LDSByteSize: 2048 bytes/workgroup (compile time only)
; SGPRBlocks: 5
; VGPRBlocks: 6
; NumSGPRsForWavesPerEU: 42
; NumVGPRsForWavesPerEU: 50
; AccumOffset: 52
; Occupancy: 8
; WaveLimiterHint : 0
; COMPUTE_PGM_RSRC2:SCRATCH_EN: 0
; COMPUTE_PGM_RSRC2:USER_SGPR: 2
; COMPUTE_PGM_RSRC2:TRAP_HANDLER: 0
; COMPUTE_PGM_RSRC2:TGID_X_EN: 1
; COMPUTE_PGM_RSRC2:TGID_Y_EN: 1
; COMPUTE_PGM_RSRC2:TGID_Z_EN: 1
; COMPUTE_PGM_RSRC2:TIDIG_COMP_CNT: 1
; COMPUTE_PGM_RSRC3_GFX90A:ACCUM_OFFSET: 12
; COMPUTE_PGM_RSRC3_GFX90A:TG_SPLIT: 0
	.section	.text._ZL29rocblas_internal_gemmt_kernelIlLi16ELi32ELi8ELc67ELc67ELc85ELb0ELb0EfPKfS1_PfEviT_T9_T10_S3_lS5_S3_lS4_T11_S3_li,"axG",@progbits,_ZL29rocblas_internal_gemmt_kernelIlLi16ELi32ELi8ELc67ELc67ELc85ELb0ELb0EfPKfS1_PfEviT_T9_T10_S3_lS5_S3_lS4_T11_S3_li,comdat
	.globl	_ZL29rocblas_internal_gemmt_kernelIlLi16ELi32ELi8ELc67ELc67ELc85ELb0ELb0EfPKfS1_PfEviT_T9_T10_S3_lS5_S3_lS4_T11_S3_li ; -- Begin function _ZL29rocblas_internal_gemmt_kernelIlLi16ELi32ELi8ELc67ELc67ELc85ELb0ELb0EfPKfS1_PfEviT_T9_T10_S3_lS5_S3_lS4_T11_S3_li
	.p2align	8
	.type	_ZL29rocblas_internal_gemmt_kernelIlLi16ELi32ELi8ELc67ELc67ELc85ELb0ELb0EfPKfS1_PfEviT_T9_T10_S3_lS5_S3_lS4_T11_S3_li,@function
_ZL29rocblas_internal_gemmt_kernelIlLi16ELi32ELi8ELc67ELc67ELc85ELb0ELb0EfPKfS1_PfEviT_T9_T10_S3_lS5_S3_lS4_T11_S3_li: ; @_ZL29rocblas_internal_gemmt_kernelIlLi16ELi32ELi8ELc67ELc67ELc85ELb0ELb0EfPKfS1_PfEviT_T9_T10_S3_lS5_S3_lS4_T11_S3_li
; %bb.0:
	s_load_dwordx8 s[24:31], s[0:1], 0x48
	s_load_dwordx16 s[8:23], s[0:1], 0x8
	s_waitcnt lgkmcnt(0)
	s_load_dword s33, s[24:25], 0x0
	s_load_dword s34, s[10:11], 0x0
	s_waitcnt lgkmcnt(0)
	v_cmp_neq_f32_e64 s[6:7], s33, 1.0
	s_and_b64 vcc, exec, s[6:7]
	s_cbranch_vccnz .LBB152_2
; %bb.1:
	s_cmp_lg_u64 s[8:9], 0
	s_cselect_b64 s[6:7], -1, 0
	v_cmp_neq_f32_e64 s[10:11], s34, 0
	s_and_b64 s[6:7], s[6:7], s[10:11]
.LBB152_2:
	s_andn2_b64 vcc, exec, s[6:7]
	s_cbranch_vccnz .LBB152_28
; %bb.3:
	s_load_dword s24, s[0:1], 0x0
	s_lshl_b32 s25, s2, 5
	s_lshl_b32 s35, s3, 5
	v_cmp_eq_f32_e64 s[0:1], s34, 0
	v_cmp_lt_i64_e64 s[2:3], s[8:9], 1
	v_mov_b32_e32 v3, 0
	s_or_b64 s[0:1], s[0:1], s[2:3]
	v_and_b32_e32 v5, 0x3ff, v0
	v_bfe_u32 v7, v0, 10, 10
	s_and_b64 vcc, exec, s[0:1]
	v_mov_b32_e32 v2, v3
	v_mov_b32_e32 v1, v3
	;; [unrolled: 1-line block ×3, first 2 shown]
	s_cbranch_vccnz .LBB152_12
; %bb.4:
	s_mul_i32 s0, s23, s4
	s_mul_hi_u32 s1, s22, s4
	s_add_i32 s1, s1, s0
	s_mul_i32 s0, s22, s4
	s_lshl_b64 s[0:1], s[0:1], 2
	s_add_u32 s6, s18, s0
	s_addc_u32 s7, s19, s1
	s_mul_i32 s0, s17, s4
	s_mul_hi_u32 s1, s16, s4
	s_add_i32 s1, s1, s0
	s_mul_i32 s0, s16, s4
	v_lshl_add_u32 v1, v7, 4, v5
	s_lshl_b64 s[0:1], s[0:1], 2
	v_lshrrev_b32_e32 v6, 5, v1
	v_lshrrev_b32_e32 v10, 3, v1
	v_and_b32_e32 v1, 31, v1
	s_add_u32 s2, s12, s0
	v_or_b32_e32 v2, s25, v1
	s_addc_u32 s3, s13, s1
	v_lshlrev_b32_e32 v1, 2, v1
	s_ashr_i32 s5, s25, 31
	v_and_b32_e32 v4, 7, v5
	s_waitcnt lgkmcnt(0)
	v_cmp_gt_i32_e64 s[0:1], s24, v2
	v_lshl_or_b32 v14, v6, 7, v1
	v_mul_lo_u32 v1, s15, v2
	v_mad_u64_u32 v[2:3], s[10:11], s14, v2, 0
	s_mul_i32 s5, s14, s5
	v_add3_u32 v3, v3, s5, v1
	v_lshlrev_b32_e32 v1, 2, v4
	v_add_u32_e32 v0, s35, v10
	v_lshl_or_b32 v1, v10, 5, v1
	v_add_u32_e32 v15, 0x400, v1
	v_ashrrev_i32_e32 v1, 31, v0
	v_lshl_add_u64 v[8:9], v[2:3], 2, s[2:3]
	v_cmp_gt_i32_e64 s[2:3], s24, v0
	v_lshl_add_u64 v[10:11], v[0:1], 2, s[6:7]
	v_mov_b32_e32 v0, 0x400
	v_mov_b32_e32 v13, 0
	v_lshlrev_b32_e32 v16, 2, v5
	v_lshl_add_u32 v17, v7, 5, v0
	s_mov_b64 s[6:7], 0
	v_mov_b32_e32 v0, v13
	v_mov_b32_e32 v1, v13
	;; [unrolled: 1-line block ×4, first 2 shown]
	s_branch .LBB152_6
.LBB152_5:                              ;   in Loop: Header=BB152_6 Depth=1
	s_or_b64 exec, exec, s[10:11]
	s_waitcnt vmcnt(0)
	ds_write_b32 v15, v18
	s_waitcnt lgkmcnt(0)
	s_barrier
	ds_read_b128 v[18:21], v17
	ds_read_b128 v[22:25], v17 offset:16
	ds_read2_b32 v[34:35], v16 offset1:16
	ds_read2_b32 v[36:37], v16 offset0:32 offset1:48
	ds_read2_b32 v[38:39], v16 offset0:64 offset1:80
	;; [unrolled: 1-line block ×4, first 2 shown]
	ds_read_b128 v[26:29], v17 offset:512
	ds_read_b128 v[30:33], v17 offset:528
	ds_read2_b32 v[44:45], v16 offset0:160 offset1:176
	ds_read2_b32 v[46:47], v16 offset0:192 offset1:208
	ds_read2_b32 v[48:49], v16 offset0:224 offset1:240
	s_waitcnt lgkmcnt(9)
	v_pk_fma_f32 v[2:3], v[34:35], v[18:19], v[2:3] op_sel_hi:[1,0,1]
	v_mov_b32_e32 v12, v21
	s_waitcnt lgkmcnt(8)
	v_pk_fma_f32 v[2:3], v[36:37], v[18:19], v[2:3] op_sel:[0,1,0]
	s_waitcnt lgkmcnt(4)
	v_pk_fma_f32 v[0:1], v[34:35], v[26:27], v[0:1] op_sel_hi:[1,0,1]
	v_pk_fma_f32 v[2:3], v[38:39], v[20:21], v[2:3] op_sel_hi:[1,0,1]
	v_pk_fma_f32 v[0:1], v[36:37], v[26:27], v[0:1] op_sel:[0,1,0]
	v_pk_fma_f32 v[2:3], v[40:41], v[12:13], v[2:3] op_sel_hi:[1,0,1]
	v_mov_b32_e32 v12, v25
	v_pk_fma_f32 v[2:3], v[42:43], v[22:23], v[2:3] op_sel_hi:[1,0,1]
	v_pk_fma_f32 v[0:1], v[38:39], v[28:29], v[0:1] op_sel_hi:[1,0,1]
	s_waitcnt lgkmcnt(2)
	v_pk_fma_f32 v[2:3], v[44:45], v[22:23], v[2:3] op_sel:[0,1,0]
	s_add_u32 s6, s6, 8
	s_waitcnt lgkmcnt(1)
	v_pk_fma_f32 v[2:3], v[46:47], v[24:25], v[2:3] op_sel_hi:[1,0,1]
	s_addc_u32 s7, s7, 0
	s_waitcnt lgkmcnt(0)
	v_pk_fma_f32 v[2:3], v[48:49], v[12:13], v[2:3] op_sel_hi:[1,0,1]
	v_mov_b32_e32 v12, v29
	v_pk_fma_f32 v[0:1], v[40:41], v[12:13], v[0:1] op_sel_hi:[1,0,1]
	v_mov_b64_e32 v[18:19], s[6:7]
	v_pk_fma_f32 v[0:1], v[42:43], v[30:31], v[0:1] op_sel_hi:[1,0,1]
	v_mov_b32_e32 v12, v33
	v_pk_fma_f32 v[0:1], v[44:45], v[30:31], v[0:1] op_sel:[0,1,0]
	v_cmp_gt_i64_e32 vcc, s[8:9], v[18:19]
	v_pk_fma_f32 v[0:1], v[46:47], v[32:33], v[0:1] op_sel_hi:[1,0,1]
	s_nop 0
	v_pk_fma_f32 v[0:1], v[48:49], v[12:13], v[0:1] op_sel_hi:[1,0,1]
	s_barrier
	s_cbranch_vccz .LBB152_12
.LBB152_6:                              ; =>This Inner Loop Header: Depth=1
	v_mov_b32_e32 v18, 0
	s_and_saveexec_b64 s[10:11], s[0:1]
	s_cbranch_execz .LBB152_10
; %bb.7:                                ;   in Loop: Header=BB152_6 Depth=1
	v_add_u32_e32 v12, s6, v6
	v_cmp_gt_u64_e32 vcc, s[8:9], v[12:13]
	v_mov_b32_e32 v18, 0
	s_and_saveexec_b64 s[12:13], vcc
	s_cbranch_execz .LBB152_9
; %bb.8:                                ;   in Loop: Header=BB152_6 Depth=1
	v_lshl_add_u64 v[18:19], v[12:13], 2, v[8:9]
	global_load_dword v18, v[18:19], off
.LBB152_9:                              ;   in Loop: Header=BB152_6 Depth=1
	s_or_b64 exec, exec, s[12:13]
.LBB152_10:                             ;   in Loop: Header=BB152_6 Depth=1
	s_or_b64 exec, exec, s[10:11]
	v_add_u32_e32 v12, s6, v4
	v_cmp_gt_u64_e32 vcc, s[8:9], v[12:13]
	s_waitcnt vmcnt(0)
	ds_write_b32 v14, v18
	s_and_b64 s[12:13], vcc, s[2:3]
	v_mov_b32_e32 v18, 0
	s_and_saveexec_b64 s[10:11], s[12:13]
	s_cbranch_execz .LBB152_5
; %bb.11:                               ;   in Loop: Header=BB152_6 Depth=1
	v_mad_u64_u32 v[18:19], s[12:13], s20, v12, 0
	v_mov_b32_e32 v20, v19
	v_mad_u64_u32 v[20:21], s[12:13], s21, v12, v[20:21]
	v_mov_b32_e32 v19, v20
	v_lshl_add_u64 v[18:19], v[18:19], 2, v[10:11]
	global_load_dword v18, v[18:19], off
	s_branch .LBB152_5
.LBB152_12:
	s_mul_i32 s0, s31, s4
	s_mul_hi_u32 s1, s30, s4
	s_add_i32 s1, s1, s0
	s_mul_i32 s0, s30, s4
	s_lshl_b64 s[0:1], s[0:1], 2
	v_add_u32_e32 v10, s35, v7
	s_add_u32 s4, s26, s0
	v_add_u32_e32 v4, s25, v5
	v_ashrrev_i32_e32 v5, 31, v10
	s_addc_u32 s5, s27, s1
	v_mul_lo_u32 v5, s28, v5
	v_mul_lo_u32 v8, s29, v10
	v_mad_u64_u32 v[6:7], s[0:1], s28, v10, 0
	v_add3_u32 v7, v7, v5, v8
	v_cmp_neq_f32_e64 s[0:1], s33, 0
	s_waitcnt lgkmcnt(0)
	v_cmp_gt_i32_e64 s[2:3], s24, v10
	v_lshl_add_u64 v[8:9], v[6:7], 2, s[4:5]
	v_cmp_le_i32_e32 vcc, v4, v10
	v_cndmask_b32_e64 v6, 0, 1, s[0:1]
	s_and_b64 s[8:9], s[2:3], vcc
	v_ashrrev_i32_e32 v5, 31, v4
	v_cmp_ne_u32_e64 s[0:1], 1, v6
	s_and_saveexec_b64 s[6:7], s[8:9]
	s_cbranch_execz .LBB152_16
; %bb.13:
	v_mul_f32_e32 v2, s34, v2
	s_and_b64 vcc, exec, s[0:1]
	v_lshl_add_u64 v[6:7], v[4:5], 2, v[8:9]
	s_cbranch_vccnz .LBB152_15
; %bb.14:
	global_load_dword v11, v[6:7], off
	s_waitcnt vmcnt(0)
	v_fmac_f32_e32 v2, s33, v11
.LBB152_15:
	global_store_dword v[6:7], v2, off
.LBB152_16:
	s_or_b64 exec, exec, s[6:7]
	v_add_u32_e32 v6, 16, v4
	v_cmp_le_i32_e32 vcc, v6, v10
	s_and_b64 s[6:7], s[2:3], vcc
	v_ashrrev_i32_e32 v7, 31, v6
	s_and_saveexec_b64 s[2:3], s[6:7]
	s_cbranch_execz .LBB152_20
; %bb.17:
	v_mul_f32_e32 v11, s34, v3
	s_and_b64 vcc, exec, s[0:1]
	v_lshl_add_u64 v[2:3], v[6:7], 2, v[8:9]
	s_cbranch_vccnz .LBB152_19
; %bb.18:
	global_load_dword v8, v[2:3], off
	s_waitcnt vmcnt(0)
	v_fmac_f32_e32 v11, s33, v8
.LBB152_19:
	global_store_dword v[2:3], v11, off
.LBB152_20:
	s_or_b64 exec, exec, s[2:3]
	v_add_u32_e32 v8, 16, v10
	v_ashrrev_i32_e32 v2, 31, v8
	v_mul_lo_u32 v9, s28, v2
	v_mul_lo_u32 v10, s29, v8
	v_mad_u64_u32 v[2:3], s[6:7], s28, v8, 0
	v_cmp_gt_i32_e64 s[2:3], s24, v8
	v_add3_u32 v3, v3, v9, v10
	v_cmp_le_i32_e32 vcc, v4, v8
	v_lshl_add_u64 v[2:3], v[2:3], 2, s[4:5]
	s_and_b64 s[6:7], s[2:3], vcc
	s_and_saveexec_b64 s[4:5], s[6:7]
	s_cbranch_execz .LBB152_24
; %bb.21:
	v_mul_f32_e32 v0, s34, v0
	s_and_b64 vcc, exec, s[0:1]
	v_lshl_add_u64 v[4:5], v[4:5], 2, v[2:3]
	s_cbranch_vccnz .LBB152_23
; %bb.22:
	global_load_dword v9, v[4:5], off
	s_waitcnt vmcnt(0)
	v_fmac_f32_e32 v0, s33, v9
.LBB152_23:
	global_store_dword v[4:5], v0, off
.LBB152_24:
	s_or_b64 exec, exec, s[4:5]
	v_cmp_le_i32_e32 vcc, v6, v8
	s_and_b64 s[2:3], s[2:3], vcc
	s_and_saveexec_b64 s[4:5], s[2:3]
	s_cbranch_execz .LBB152_28
; %bb.25:
	v_mul_f32_e32 v4, s34, v1
	s_and_b64 vcc, exec, s[0:1]
	v_lshl_add_u64 v[0:1], v[6:7], 2, v[2:3]
	s_cbranch_vccnz .LBB152_27
; %bb.26:
	global_load_dword v2, v[0:1], off
	s_waitcnt vmcnt(0)
	v_fmac_f32_e32 v4, s33, v2
.LBB152_27:
	global_store_dword v[0:1], v4, off
.LBB152_28:
	s_endpgm
	.section	.rodata,"a",@progbits
	.p2align	6, 0x0
	.amdhsa_kernel _ZL29rocblas_internal_gemmt_kernelIlLi16ELi32ELi8ELc67ELc67ELc85ELb0ELb0EfPKfS1_PfEviT_T9_T10_S3_lS5_S3_lS4_T11_S3_li
		.amdhsa_group_segment_fixed_size 2048
		.amdhsa_private_segment_fixed_size 0
		.amdhsa_kernarg_size 108
		.amdhsa_user_sgpr_count 2
		.amdhsa_user_sgpr_dispatch_ptr 0
		.amdhsa_user_sgpr_queue_ptr 0
		.amdhsa_user_sgpr_kernarg_segment_ptr 1
		.amdhsa_user_sgpr_dispatch_id 0
		.amdhsa_user_sgpr_kernarg_preload_length 0
		.amdhsa_user_sgpr_kernarg_preload_offset 0
		.amdhsa_user_sgpr_private_segment_size 0
		.amdhsa_uses_dynamic_stack 0
		.amdhsa_enable_private_segment 0
		.amdhsa_system_sgpr_workgroup_id_x 1
		.amdhsa_system_sgpr_workgroup_id_y 1
		.amdhsa_system_sgpr_workgroup_id_z 1
		.amdhsa_system_sgpr_workgroup_info 0
		.amdhsa_system_vgpr_workitem_id 1
		.amdhsa_next_free_vgpr 50
		.amdhsa_next_free_sgpr 36
		.amdhsa_accum_offset 52
		.amdhsa_reserve_vcc 1
		.amdhsa_float_round_mode_32 0
		.amdhsa_float_round_mode_16_64 0
		.amdhsa_float_denorm_mode_32 3
		.amdhsa_float_denorm_mode_16_64 3
		.amdhsa_dx10_clamp 1
		.amdhsa_ieee_mode 1
		.amdhsa_fp16_overflow 0
		.amdhsa_tg_split 0
		.amdhsa_exception_fp_ieee_invalid_op 0
		.amdhsa_exception_fp_denorm_src 0
		.amdhsa_exception_fp_ieee_div_zero 0
		.amdhsa_exception_fp_ieee_overflow 0
		.amdhsa_exception_fp_ieee_underflow 0
		.amdhsa_exception_fp_ieee_inexact 0
		.amdhsa_exception_int_div_zero 0
	.end_amdhsa_kernel
	.section	.text._ZL29rocblas_internal_gemmt_kernelIlLi16ELi32ELi8ELc67ELc67ELc85ELb0ELb0EfPKfS1_PfEviT_T9_T10_S3_lS5_S3_lS4_T11_S3_li,"axG",@progbits,_ZL29rocblas_internal_gemmt_kernelIlLi16ELi32ELi8ELc67ELc67ELc85ELb0ELb0EfPKfS1_PfEviT_T9_T10_S3_lS5_S3_lS4_T11_S3_li,comdat
.Lfunc_end152:
	.size	_ZL29rocblas_internal_gemmt_kernelIlLi16ELi32ELi8ELc67ELc67ELc85ELb0ELb0EfPKfS1_PfEviT_T9_T10_S3_lS5_S3_lS4_T11_S3_li, .Lfunc_end152-_ZL29rocblas_internal_gemmt_kernelIlLi16ELi32ELi8ELc67ELc67ELc85ELb0ELb0EfPKfS1_PfEviT_T9_T10_S3_lS5_S3_lS4_T11_S3_li
                                        ; -- End function
	.set _ZL29rocblas_internal_gemmt_kernelIlLi16ELi32ELi8ELc67ELc67ELc85ELb0ELb0EfPKfS1_PfEviT_T9_T10_S3_lS5_S3_lS4_T11_S3_li.num_vgpr, 50
	.set _ZL29rocblas_internal_gemmt_kernelIlLi16ELi32ELi8ELc67ELc67ELc85ELb0ELb0EfPKfS1_PfEviT_T9_T10_S3_lS5_S3_lS4_T11_S3_li.num_agpr, 0
	.set _ZL29rocblas_internal_gemmt_kernelIlLi16ELi32ELi8ELc67ELc67ELc85ELb0ELb0EfPKfS1_PfEviT_T9_T10_S3_lS5_S3_lS4_T11_S3_li.numbered_sgpr, 36
	.set _ZL29rocblas_internal_gemmt_kernelIlLi16ELi32ELi8ELc67ELc67ELc85ELb0ELb0EfPKfS1_PfEviT_T9_T10_S3_lS5_S3_lS4_T11_S3_li.num_named_barrier, 0
	.set _ZL29rocblas_internal_gemmt_kernelIlLi16ELi32ELi8ELc67ELc67ELc85ELb0ELb0EfPKfS1_PfEviT_T9_T10_S3_lS5_S3_lS4_T11_S3_li.private_seg_size, 0
	.set _ZL29rocblas_internal_gemmt_kernelIlLi16ELi32ELi8ELc67ELc67ELc85ELb0ELb0EfPKfS1_PfEviT_T9_T10_S3_lS5_S3_lS4_T11_S3_li.uses_vcc, 1
	.set _ZL29rocblas_internal_gemmt_kernelIlLi16ELi32ELi8ELc67ELc67ELc85ELb0ELb0EfPKfS1_PfEviT_T9_T10_S3_lS5_S3_lS4_T11_S3_li.uses_flat_scratch, 0
	.set _ZL29rocblas_internal_gemmt_kernelIlLi16ELi32ELi8ELc67ELc67ELc85ELb0ELb0EfPKfS1_PfEviT_T9_T10_S3_lS5_S3_lS4_T11_S3_li.has_dyn_sized_stack, 0
	.set _ZL29rocblas_internal_gemmt_kernelIlLi16ELi32ELi8ELc67ELc67ELc85ELb0ELb0EfPKfS1_PfEviT_T9_T10_S3_lS5_S3_lS4_T11_S3_li.has_recursion, 0
	.set _ZL29rocblas_internal_gemmt_kernelIlLi16ELi32ELi8ELc67ELc67ELc85ELb0ELb0EfPKfS1_PfEviT_T9_T10_S3_lS5_S3_lS4_T11_S3_li.has_indirect_call, 0
	.section	.AMDGPU.csdata,"",@progbits
; Kernel info:
; codeLenInByte = 1292
; TotalNumSgprs: 42
; NumVgprs: 50
; NumAgprs: 0
; TotalNumVgprs: 50
; ScratchSize: 0
; MemoryBound: 0
; FloatMode: 240
; IeeeMode: 1
; LDSByteSize: 2048 bytes/workgroup (compile time only)
; SGPRBlocks: 5
; VGPRBlocks: 6
; NumSGPRsForWavesPerEU: 42
; NumVGPRsForWavesPerEU: 50
; AccumOffset: 52
; Occupancy: 8
; WaveLimiterHint : 0
; COMPUTE_PGM_RSRC2:SCRATCH_EN: 0
; COMPUTE_PGM_RSRC2:USER_SGPR: 2
; COMPUTE_PGM_RSRC2:TRAP_HANDLER: 0
; COMPUTE_PGM_RSRC2:TGID_X_EN: 1
; COMPUTE_PGM_RSRC2:TGID_Y_EN: 1
; COMPUTE_PGM_RSRC2:TGID_Z_EN: 1
; COMPUTE_PGM_RSRC2:TIDIG_COMP_CNT: 1
; COMPUTE_PGM_RSRC3_GFX90A:ACCUM_OFFSET: 12
; COMPUTE_PGM_RSRC3_GFX90A:TG_SPLIT: 0
	.section	.text._ZL29rocblas_internal_gemmt_kernelIlLi16ELi32ELi8ELc78ELc78ELc76ELb0ELb0EfPKfS1_PfEviT_T9_T10_S3_lS5_S3_lS4_T11_S3_li,"axG",@progbits,_ZL29rocblas_internal_gemmt_kernelIlLi16ELi32ELi8ELc78ELc78ELc76ELb0ELb0EfPKfS1_PfEviT_T9_T10_S3_lS5_S3_lS4_T11_S3_li,comdat
	.globl	_ZL29rocblas_internal_gemmt_kernelIlLi16ELi32ELi8ELc78ELc78ELc76ELb0ELb0EfPKfS1_PfEviT_T9_T10_S3_lS5_S3_lS4_T11_S3_li ; -- Begin function _ZL29rocblas_internal_gemmt_kernelIlLi16ELi32ELi8ELc78ELc78ELc76ELb0ELb0EfPKfS1_PfEviT_T9_T10_S3_lS5_S3_lS4_T11_S3_li
	.p2align	8
	.type	_ZL29rocblas_internal_gemmt_kernelIlLi16ELi32ELi8ELc78ELc78ELc76ELb0ELb0EfPKfS1_PfEviT_T9_T10_S3_lS5_S3_lS4_T11_S3_li,@function
_ZL29rocblas_internal_gemmt_kernelIlLi16ELi32ELi8ELc78ELc78ELc76ELb0ELb0EfPKfS1_PfEviT_T9_T10_S3_lS5_S3_lS4_T11_S3_li: ; @_ZL29rocblas_internal_gemmt_kernelIlLi16ELi32ELi8ELc78ELc78ELc76ELb0ELb0EfPKfS1_PfEviT_T9_T10_S3_lS5_S3_lS4_T11_S3_li
; %bb.0:
	s_load_dwordx8 s[24:31], s[0:1], 0x48
	s_load_dwordx16 s[8:23], s[0:1], 0x8
	s_waitcnt lgkmcnt(0)
	s_load_dword s33, s[24:25], 0x0
	s_load_dword s34, s[10:11], 0x0
	s_waitcnt lgkmcnt(0)
	v_cmp_neq_f32_e64 s[6:7], s33, 1.0
	s_and_b64 vcc, exec, s[6:7]
	s_cbranch_vccnz .LBB153_2
; %bb.1:
	s_cmp_lg_u64 s[8:9], 0
	s_cselect_b64 s[6:7], -1, 0
	v_cmp_neq_f32_e64 s[10:11], s34, 0
	s_and_b64 s[6:7], s[6:7], s[10:11]
.LBB153_2:
	s_andn2_b64 vcc, exec, s[6:7]
	s_cbranch_vccnz .LBB153_28
; %bb.3:
	s_load_dword s24, s[0:1], 0x0
	s_lshl_b32 s5, s2, 5
	s_lshl_b32 s25, s3, 5
	v_cmp_eq_f32_e64 s[0:1], s34, 0
	v_cmp_lt_i64_e64 s[2:3], s[8:9], 1
	v_mov_b32_e32 v3, 0
	s_or_b64 s[0:1], s[0:1], s[2:3]
	v_and_b32_e32 v5, 0x3ff, v0
	v_bfe_u32 v7, v0, 10, 10
	s_and_b64 vcc, exec, s[0:1]
	v_mov_b32_e32 v2, v3
	v_mov_b32_e32 v1, v3
	v_mov_b32_e32 v0, v3
	s_cbranch_vccnz .LBB153_12
; %bb.4:
	s_mul_i32 s0, s23, s4
	s_mul_hi_u32 s1, s22, s4
	s_add_i32 s1, s1, s0
	s_mul_i32 s0, s22, s4
	s_lshl_b64 s[0:1], s[0:1], 2
	s_add_u32 s6, s18, s0
	s_addc_u32 s7, s19, s1
	s_mul_i32 s0, s17, s4
	s_mul_hi_u32 s1, s16, s4
	v_lshl_add_u32 v0, v7, 4, v5
	s_add_i32 s1, s1, s0
	s_mul_i32 s0, s16, s4
	v_and_b32_e32 v1, 31, v0
	s_lshl_b64 s[0:1], s[0:1], 2
	v_lshrrev_b32_e32 v6, 5, v0
	v_lshrrev_b32_e32 v2, 3, v0
	v_or_b32_e32 v0, s5, v1
	s_add_u32 s2, s12, s0
	v_lshlrev_b32_e32 v1, 2, v1
	v_and_b32_e32 v4, 7, v5
	s_addc_u32 s3, s13, s1
	v_lshl_or_b32 v14, v6, 7, v1
	v_ashrrev_i32_e32 v1, 31, v0
	s_waitcnt lgkmcnt(0)
	v_cmp_gt_i32_e64 s[0:1], s24, v0
	v_lshl_add_u64 v[8:9], v[0:1], 2, s[2:3]
	v_lshlrev_b32_e32 v0, 2, v4
	v_add_u32_e32 v3, s25, v2
	v_lshl_or_b32 v0, v2, 5, v0
	v_add_u32_e32 v15, 0x400, v0
	v_ashrrev_i32_e32 v0, 31, v3
	v_mul_lo_u32 v2, s20, v0
	v_mul_lo_u32 v10, s21, v3
	v_mad_u64_u32 v[0:1], s[10:11], s20, v3, 0
	v_add3_u32 v1, v1, v2, v10
	v_lshl_add_u64 v[10:11], v[0:1], 2, s[6:7]
	v_mov_b32_e32 v0, 0x400
	v_mov_b32_e32 v13, 0
	v_cmp_gt_i32_e64 s[2:3], s24, v3
	v_lshlrev_b32_e32 v16, 2, v5
	v_lshl_add_u32 v17, v7, 5, v0
	s_mov_b64 s[6:7], 0
	v_mov_b32_e32 v0, v13
	v_mov_b32_e32 v1, v13
	;; [unrolled: 1-line block ×4, first 2 shown]
	s_branch .LBB153_6
.LBB153_5:                              ;   in Loop: Header=BB153_6 Depth=1
	s_or_b64 exec, exec, s[10:11]
	s_waitcnt vmcnt(0)
	ds_write_b32 v15, v18
	s_waitcnt lgkmcnt(0)
	s_barrier
	ds_read_b128 v[18:21], v17
	ds_read_b128 v[22:25], v17 offset:16
	ds_read2_b32 v[34:35], v16 offset1:16
	ds_read2_b32 v[36:37], v16 offset0:32 offset1:48
	ds_read2_b32 v[38:39], v16 offset0:64 offset1:80
	;; [unrolled: 1-line block ×4, first 2 shown]
	ds_read_b128 v[26:29], v17 offset:512
	ds_read_b128 v[30:33], v17 offset:528
	ds_read2_b32 v[44:45], v16 offset0:160 offset1:176
	ds_read2_b32 v[46:47], v16 offset0:192 offset1:208
	;; [unrolled: 1-line block ×3, first 2 shown]
	s_waitcnt lgkmcnt(9)
	v_pk_fma_f32 v[2:3], v[34:35], v[18:19], v[2:3] op_sel_hi:[1,0,1]
	v_mov_b32_e32 v12, v21
	s_waitcnt lgkmcnt(8)
	v_pk_fma_f32 v[2:3], v[36:37], v[18:19], v[2:3] op_sel:[0,1,0]
	s_waitcnt lgkmcnt(4)
	v_pk_fma_f32 v[0:1], v[34:35], v[26:27], v[0:1] op_sel_hi:[1,0,1]
	v_pk_fma_f32 v[2:3], v[38:39], v[20:21], v[2:3] op_sel_hi:[1,0,1]
	v_pk_fma_f32 v[0:1], v[36:37], v[26:27], v[0:1] op_sel:[0,1,0]
	v_pk_fma_f32 v[2:3], v[40:41], v[12:13], v[2:3] op_sel_hi:[1,0,1]
	v_mov_b32_e32 v12, v25
	v_pk_fma_f32 v[2:3], v[42:43], v[22:23], v[2:3] op_sel_hi:[1,0,1]
	v_pk_fma_f32 v[0:1], v[38:39], v[28:29], v[0:1] op_sel_hi:[1,0,1]
	s_waitcnt lgkmcnt(2)
	v_pk_fma_f32 v[2:3], v[44:45], v[22:23], v[2:3] op_sel:[0,1,0]
	s_add_u32 s6, s6, 8
	s_waitcnt lgkmcnt(1)
	v_pk_fma_f32 v[2:3], v[46:47], v[24:25], v[2:3] op_sel_hi:[1,0,1]
	s_addc_u32 s7, s7, 0
	s_waitcnt lgkmcnt(0)
	v_pk_fma_f32 v[2:3], v[48:49], v[12:13], v[2:3] op_sel_hi:[1,0,1]
	v_mov_b32_e32 v12, v29
	v_pk_fma_f32 v[0:1], v[40:41], v[12:13], v[0:1] op_sel_hi:[1,0,1]
	v_mov_b64_e32 v[18:19], s[6:7]
	v_pk_fma_f32 v[0:1], v[42:43], v[30:31], v[0:1] op_sel_hi:[1,0,1]
	v_mov_b32_e32 v12, v33
	v_pk_fma_f32 v[0:1], v[44:45], v[30:31], v[0:1] op_sel:[0,1,0]
	v_cmp_gt_i64_e32 vcc, s[8:9], v[18:19]
	v_pk_fma_f32 v[0:1], v[46:47], v[32:33], v[0:1] op_sel_hi:[1,0,1]
	s_nop 0
	v_pk_fma_f32 v[0:1], v[48:49], v[12:13], v[0:1] op_sel_hi:[1,0,1]
	s_barrier
	s_cbranch_vccz .LBB153_12
.LBB153_6:                              ; =>This Inner Loop Header: Depth=1
	v_mov_b32_e32 v18, 0
	s_and_saveexec_b64 s[10:11], s[0:1]
	s_cbranch_execz .LBB153_10
; %bb.7:                                ;   in Loop: Header=BB153_6 Depth=1
	v_add_u32_e32 v12, s6, v6
	v_cmp_gt_u64_e32 vcc, s[8:9], v[12:13]
	v_mov_b32_e32 v18, 0
	s_and_saveexec_b64 s[12:13], vcc
	s_cbranch_execz .LBB153_9
; %bb.8:                                ;   in Loop: Header=BB153_6 Depth=1
	v_mad_u64_u32 v[18:19], s[16:17], s14, v12, 0
	v_mov_b32_e32 v20, v19
	v_mad_u64_u32 v[20:21], s[16:17], s15, v12, v[20:21]
	v_mov_b32_e32 v19, v20
	v_lshl_add_u64 v[18:19], v[18:19], 2, v[8:9]
	global_load_dword v18, v[18:19], off
.LBB153_9:                              ;   in Loop: Header=BB153_6 Depth=1
	s_or_b64 exec, exec, s[12:13]
.LBB153_10:                             ;   in Loop: Header=BB153_6 Depth=1
	s_or_b64 exec, exec, s[10:11]
	v_add_u32_e32 v12, s6, v4
	v_cmp_gt_u64_e32 vcc, s[8:9], v[12:13]
	s_waitcnt vmcnt(0)
	ds_write_b32 v14, v18
	s_and_b64 s[12:13], vcc, s[2:3]
	v_mov_b32_e32 v18, 0
	s_and_saveexec_b64 s[10:11], s[12:13]
	s_cbranch_execz .LBB153_5
; %bb.11:                               ;   in Loop: Header=BB153_6 Depth=1
	v_lshl_add_u64 v[18:19], v[12:13], 2, v[10:11]
	global_load_dword v18, v[18:19], off
	s_branch .LBB153_5
.LBB153_12:
	s_mul_i32 s0, s31, s4
	s_mul_hi_u32 s1, s30, s4
	s_add_i32 s1, s1, s0
	s_mul_i32 s0, s30, s4
	s_lshl_b64 s[0:1], s[0:1], 2
	v_add_u32_e32 v10, s25, v7
	s_add_u32 s6, s26, s0
	v_add_u32_e32 v4, s5, v5
	v_ashrrev_i32_e32 v5, 31, v10
	s_addc_u32 s7, s27, s1
	v_mul_lo_u32 v5, s28, v5
	v_mul_lo_u32 v8, s29, v10
	v_mad_u64_u32 v[6:7], s[0:1], s28, v10, 0
	v_add3_u32 v7, v7, v5, v8
	v_cmp_neq_f32_e64 s[0:1], s33, 0
	v_lshl_add_u64 v[8:9], v[6:7], 2, s[6:7]
	v_cmp_le_i32_e32 vcc, v10, v4
	s_waitcnt lgkmcnt(0)
	v_cmp_gt_i32_e64 s[2:3], s24, v4
	v_cndmask_b32_e64 v6, 0, 1, s[0:1]
	s_and_b64 s[8:9], vcc, s[2:3]
	v_ashrrev_i32_e32 v5, 31, v4
	v_cmp_ne_u32_e64 s[0:1], 1, v6
	s_and_saveexec_b64 s[4:5], s[8:9]
	s_cbranch_execz .LBB153_16
; %bb.13:
	v_mul_f32_e32 v2, s34, v2
	s_and_b64 vcc, exec, s[0:1]
	v_lshl_add_u64 v[6:7], v[4:5], 2, v[8:9]
	s_cbranch_vccnz .LBB153_15
; %bb.14:
	global_load_dword v11, v[6:7], off
	s_waitcnt vmcnt(0)
	v_fmac_f32_e32 v2, s33, v11
.LBB153_15:
	global_store_dword v[6:7], v2, off
.LBB153_16:
	s_or_b64 exec, exec, s[4:5]
	v_add_u32_e32 v6, 16, v4
	v_cmp_le_i32_e32 vcc, v10, v6
	v_cmp_gt_i32_e64 s[4:5], s24, v6
	s_and_b64 s[10:11], vcc, s[4:5]
	v_ashrrev_i32_e32 v7, 31, v6
	s_and_saveexec_b64 s[8:9], s[10:11]
	s_cbranch_execz .LBB153_20
; %bb.17:
	v_mul_f32_e32 v11, s34, v3
	s_and_b64 vcc, exec, s[0:1]
	v_lshl_add_u64 v[2:3], v[6:7], 2, v[8:9]
	s_cbranch_vccnz .LBB153_19
; %bb.18:
	global_load_dword v8, v[2:3], off
	s_waitcnt vmcnt(0)
	v_fmac_f32_e32 v11, s33, v8
.LBB153_19:
	global_store_dword v[2:3], v11, off
.LBB153_20:
	s_or_b64 exec, exec, s[8:9]
	v_add_u32_e32 v8, 16, v10
	v_ashrrev_i32_e32 v2, 31, v8
	v_mul_lo_u32 v9, s28, v2
	v_mul_lo_u32 v10, s29, v8
	v_mad_u64_u32 v[2:3], s[8:9], s28, v8, 0
	v_add3_u32 v3, v3, v9, v10
	v_cmp_le_i32_e32 vcc, v8, v4
	v_lshl_add_u64 v[2:3], v[2:3], 2, s[6:7]
	s_and_b64 s[6:7], vcc, s[2:3]
	s_and_saveexec_b64 s[2:3], s[6:7]
	s_cbranch_execz .LBB153_24
; %bb.21:
	v_mul_f32_e32 v0, s34, v0
	s_and_b64 vcc, exec, s[0:1]
	v_lshl_add_u64 v[4:5], v[4:5], 2, v[2:3]
	s_cbranch_vccnz .LBB153_23
; %bb.22:
	global_load_dword v9, v[4:5], off
	s_waitcnt vmcnt(0)
	v_fmac_f32_e32 v0, s33, v9
.LBB153_23:
	global_store_dword v[4:5], v0, off
.LBB153_24:
	s_or_b64 exec, exec, s[2:3]
	v_cmp_le_i32_e32 vcc, v8, v6
	s_and_b64 s[2:3], vcc, s[4:5]
	s_and_saveexec_b64 s[4:5], s[2:3]
	s_cbranch_execz .LBB153_28
; %bb.25:
	v_mul_f32_e32 v4, s34, v1
	s_and_b64 vcc, exec, s[0:1]
	v_lshl_add_u64 v[0:1], v[6:7], 2, v[2:3]
	s_cbranch_vccnz .LBB153_27
; %bb.26:
	global_load_dword v2, v[0:1], off
	s_waitcnt vmcnt(0)
	v_fmac_f32_e32 v4, s33, v2
.LBB153_27:
	global_store_dword v[0:1], v4, off
.LBB153_28:
	s_endpgm
	.section	.rodata,"a",@progbits
	.p2align	6, 0x0
	.amdhsa_kernel _ZL29rocblas_internal_gemmt_kernelIlLi16ELi32ELi8ELc78ELc78ELc76ELb0ELb0EfPKfS1_PfEviT_T9_T10_S3_lS5_S3_lS4_T11_S3_li
		.amdhsa_group_segment_fixed_size 2048
		.amdhsa_private_segment_fixed_size 0
		.amdhsa_kernarg_size 108
		.amdhsa_user_sgpr_count 2
		.amdhsa_user_sgpr_dispatch_ptr 0
		.amdhsa_user_sgpr_queue_ptr 0
		.amdhsa_user_sgpr_kernarg_segment_ptr 1
		.amdhsa_user_sgpr_dispatch_id 0
		.amdhsa_user_sgpr_kernarg_preload_length 0
		.amdhsa_user_sgpr_kernarg_preload_offset 0
		.amdhsa_user_sgpr_private_segment_size 0
		.amdhsa_uses_dynamic_stack 0
		.amdhsa_enable_private_segment 0
		.amdhsa_system_sgpr_workgroup_id_x 1
		.amdhsa_system_sgpr_workgroup_id_y 1
		.amdhsa_system_sgpr_workgroup_id_z 1
		.amdhsa_system_sgpr_workgroup_info 0
		.amdhsa_system_vgpr_workitem_id 1
		.amdhsa_next_free_vgpr 50
		.amdhsa_next_free_sgpr 35
		.amdhsa_accum_offset 52
		.amdhsa_reserve_vcc 1
		.amdhsa_float_round_mode_32 0
		.amdhsa_float_round_mode_16_64 0
		.amdhsa_float_denorm_mode_32 3
		.amdhsa_float_denorm_mode_16_64 3
		.amdhsa_dx10_clamp 1
		.amdhsa_ieee_mode 1
		.amdhsa_fp16_overflow 0
		.amdhsa_tg_split 0
		.amdhsa_exception_fp_ieee_invalid_op 0
		.amdhsa_exception_fp_denorm_src 0
		.amdhsa_exception_fp_ieee_div_zero 0
		.amdhsa_exception_fp_ieee_overflow 0
		.amdhsa_exception_fp_ieee_underflow 0
		.amdhsa_exception_fp_ieee_inexact 0
		.amdhsa_exception_int_div_zero 0
	.end_amdhsa_kernel
	.section	.text._ZL29rocblas_internal_gemmt_kernelIlLi16ELi32ELi8ELc78ELc78ELc76ELb0ELb0EfPKfS1_PfEviT_T9_T10_S3_lS5_S3_lS4_T11_S3_li,"axG",@progbits,_ZL29rocblas_internal_gemmt_kernelIlLi16ELi32ELi8ELc78ELc78ELc76ELb0ELb0EfPKfS1_PfEviT_T9_T10_S3_lS5_S3_lS4_T11_S3_li,comdat
.Lfunc_end153:
	.size	_ZL29rocblas_internal_gemmt_kernelIlLi16ELi32ELi8ELc78ELc78ELc76ELb0ELb0EfPKfS1_PfEviT_T9_T10_S3_lS5_S3_lS4_T11_S3_li, .Lfunc_end153-_ZL29rocblas_internal_gemmt_kernelIlLi16ELi32ELi8ELc78ELc78ELc76ELb0ELb0EfPKfS1_PfEviT_T9_T10_S3_lS5_S3_lS4_T11_S3_li
                                        ; -- End function
	.set _ZL29rocblas_internal_gemmt_kernelIlLi16ELi32ELi8ELc78ELc78ELc76ELb0ELb0EfPKfS1_PfEviT_T9_T10_S3_lS5_S3_lS4_T11_S3_li.num_vgpr, 50
	.set _ZL29rocblas_internal_gemmt_kernelIlLi16ELi32ELi8ELc78ELc78ELc76ELb0ELb0EfPKfS1_PfEviT_T9_T10_S3_lS5_S3_lS4_T11_S3_li.num_agpr, 0
	.set _ZL29rocblas_internal_gemmt_kernelIlLi16ELi32ELi8ELc78ELc78ELc76ELb0ELb0EfPKfS1_PfEviT_T9_T10_S3_lS5_S3_lS4_T11_S3_li.numbered_sgpr, 35
	.set _ZL29rocblas_internal_gemmt_kernelIlLi16ELi32ELi8ELc78ELc78ELc76ELb0ELb0EfPKfS1_PfEviT_T9_T10_S3_lS5_S3_lS4_T11_S3_li.num_named_barrier, 0
	.set _ZL29rocblas_internal_gemmt_kernelIlLi16ELi32ELi8ELc78ELc78ELc76ELb0ELb0EfPKfS1_PfEviT_T9_T10_S3_lS5_S3_lS4_T11_S3_li.private_seg_size, 0
	.set _ZL29rocblas_internal_gemmt_kernelIlLi16ELi32ELi8ELc78ELc78ELc76ELb0ELb0EfPKfS1_PfEviT_T9_T10_S3_lS5_S3_lS4_T11_S3_li.uses_vcc, 1
	.set _ZL29rocblas_internal_gemmt_kernelIlLi16ELi32ELi8ELc78ELc78ELc76ELb0ELb0EfPKfS1_PfEviT_T9_T10_S3_lS5_S3_lS4_T11_S3_li.uses_flat_scratch, 0
	.set _ZL29rocblas_internal_gemmt_kernelIlLi16ELi32ELi8ELc78ELc78ELc76ELb0ELb0EfPKfS1_PfEviT_T9_T10_S3_lS5_S3_lS4_T11_S3_li.has_dyn_sized_stack, 0
	.set _ZL29rocblas_internal_gemmt_kernelIlLi16ELi32ELi8ELc78ELc78ELc76ELb0ELb0EfPKfS1_PfEviT_T9_T10_S3_lS5_S3_lS4_T11_S3_li.has_recursion, 0
	.set _ZL29rocblas_internal_gemmt_kernelIlLi16ELi32ELi8ELc78ELc78ELc76ELb0ELb0EfPKfS1_PfEviT_T9_T10_S3_lS5_S3_lS4_T11_S3_li.has_indirect_call, 0
	.section	.AMDGPU.csdata,"",@progbits
; Kernel info:
; codeLenInByte = 1296
; TotalNumSgprs: 41
; NumVgprs: 50
; NumAgprs: 0
; TotalNumVgprs: 50
; ScratchSize: 0
; MemoryBound: 0
; FloatMode: 240
; IeeeMode: 1
; LDSByteSize: 2048 bytes/workgroup (compile time only)
; SGPRBlocks: 5
; VGPRBlocks: 6
; NumSGPRsForWavesPerEU: 41
; NumVGPRsForWavesPerEU: 50
; AccumOffset: 52
; Occupancy: 8
; WaveLimiterHint : 0
; COMPUTE_PGM_RSRC2:SCRATCH_EN: 0
; COMPUTE_PGM_RSRC2:USER_SGPR: 2
; COMPUTE_PGM_RSRC2:TRAP_HANDLER: 0
; COMPUTE_PGM_RSRC2:TGID_X_EN: 1
; COMPUTE_PGM_RSRC2:TGID_Y_EN: 1
; COMPUTE_PGM_RSRC2:TGID_Z_EN: 1
; COMPUTE_PGM_RSRC2:TIDIG_COMP_CNT: 1
; COMPUTE_PGM_RSRC3_GFX90A:ACCUM_OFFSET: 12
; COMPUTE_PGM_RSRC3_GFX90A:TG_SPLIT: 0
	.section	.text._ZL29rocblas_internal_gemmt_kernelIlLi16ELi32ELi8ELc78ELc84ELc76ELb0ELb0EfPKfS1_PfEviT_T9_T10_S3_lS5_S3_lS4_T11_S3_li,"axG",@progbits,_ZL29rocblas_internal_gemmt_kernelIlLi16ELi32ELi8ELc78ELc84ELc76ELb0ELb0EfPKfS1_PfEviT_T9_T10_S3_lS5_S3_lS4_T11_S3_li,comdat
	.globl	_ZL29rocblas_internal_gemmt_kernelIlLi16ELi32ELi8ELc78ELc84ELc76ELb0ELb0EfPKfS1_PfEviT_T9_T10_S3_lS5_S3_lS4_T11_S3_li ; -- Begin function _ZL29rocblas_internal_gemmt_kernelIlLi16ELi32ELi8ELc78ELc84ELc76ELb0ELb0EfPKfS1_PfEviT_T9_T10_S3_lS5_S3_lS4_T11_S3_li
	.p2align	8
	.type	_ZL29rocblas_internal_gemmt_kernelIlLi16ELi32ELi8ELc78ELc84ELc76ELb0ELb0EfPKfS1_PfEviT_T9_T10_S3_lS5_S3_lS4_T11_S3_li,@function
_ZL29rocblas_internal_gemmt_kernelIlLi16ELi32ELi8ELc78ELc84ELc76ELb0ELb0EfPKfS1_PfEviT_T9_T10_S3_lS5_S3_lS4_T11_S3_li: ; @_ZL29rocblas_internal_gemmt_kernelIlLi16ELi32ELi8ELc78ELc84ELc76ELb0ELb0EfPKfS1_PfEviT_T9_T10_S3_lS5_S3_lS4_T11_S3_li
; %bb.0:
	s_load_dwordx8 s[24:31], s[0:1], 0x48
	s_load_dwordx16 s[8:23], s[0:1], 0x8
	s_waitcnt lgkmcnt(0)
	s_load_dword s33, s[24:25], 0x0
	s_load_dword s34, s[10:11], 0x0
	s_waitcnt lgkmcnt(0)
	v_cmp_neq_f32_e64 s[6:7], s33, 1.0
	s_and_b64 vcc, exec, s[6:7]
	s_cbranch_vccnz .LBB154_2
; %bb.1:
	s_cmp_lg_u64 s[8:9], 0
	s_cselect_b64 s[6:7], -1, 0
	v_cmp_neq_f32_e64 s[10:11], s34, 0
	s_and_b64 s[6:7], s[6:7], s[10:11]
.LBB154_2:
	s_andn2_b64 vcc, exec, s[6:7]
	s_cbranch_vccnz .LBB154_28
; %bb.3:
	s_load_dword s24, s[0:1], 0x0
	s_lshl_b32 s5, s2, 5
	s_lshl_b32 s25, s3, 5
	v_cmp_eq_f32_e64 s[0:1], s34, 0
	v_cmp_lt_i64_e64 s[2:3], s[8:9], 1
	v_mov_b32_e32 v3, 0
	s_or_b64 s[0:1], s[0:1], s[2:3]
	v_and_b32_e32 v5, 0x3ff, v0
	v_bfe_u32 v7, v0, 10, 10
	s_and_b64 vcc, exec, s[0:1]
	v_mov_b32_e32 v2, v3
	v_mov_b32_e32 v1, v3
	;; [unrolled: 1-line block ×3, first 2 shown]
	s_cbranch_vccnz .LBB154_12
; %bb.4:
	s_mul_i32 s0, s23, s4
	s_mul_hi_u32 s1, s22, s4
	s_add_i32 s1, s1, s0
	s_mul_i32 s0, s22, s4
	s_lshl_b64 s[0:1], s[0:1], 2
	v_lshl_add_u32 v1, v7, 4, v5
	s_add_u32 s6, s18, s0
	v_lshrrev_b32_e32 v6, 5, v1
	v_lshrrev_b32_e32 v10, 3, v1
	v_and_b32_e32 v1, 31, v1
	s_addc_u32 s7, s19, s1
	s_mul_i32 s0, s17, s4
	s_mul_hi_u32 s1, s16, s4
	v_and_b32_e32 v4, 7, v5
	v_or_b32_e32 v2, s5, v1
	s_add_i32 s1, s1, s0
	s_mul_i32 s0, s16, s4
	v_lshlrev_b32_e32 v1, 2, v1
	s_lshl_b64 s[0:1], s[0:1], 2
	v_lshl_or_b32 v14, v6, 7, v1
	v_lshlrev_b32_e32 v1, 2, v4
	v_add_u32_e32 v0, s25, v10
	s_add_u32 s2, s12, s0
	v_lshl_or_b32 v1, v10, 5, v1
	s_addc_u32 s3, s13, s1
	v_ashrrev_i32_e32 v3, 31, v2
	v_add_u32_e32 v15, 0x400, v1
	v_ashrrev_i32_e32 v1, 31, v0
	v_lshl_add_u64 v[8:9], v[2:3], 2, s[2:3]
	s_waitcnt lgkmcnt(0)
	v_cmp_gt_i32_e64 s[2:3], s24, v0
	v_lshl_add_u64 v[10:11], v[0:1], 2, s[6:7]
	v_mov_b32_e32 v0, 0x400
	v_mov_b32_e32 v13, 0
	v_cmp_gt_i32_e64 s[0:1], s24, v2
	v_lshlrev_b32_e32 v16, 2, v5
	v_lshl_add_u32 v17, v7, 5, v0
	s_mov_b64 s[6:7], 0
	v_mov_b32_e32 v0, v13
	v_mov_b32_e32 v1, v13
	;; [unrolled: 1-line block ×4, first 2 shown]
	s_branch .LBB154_6
.LBB154_5:                              ;   in Loop: Header=BB154_6 Depth=1
	s_or_b64 exec, exec, s[10:11]
	s_waitcnt vmcnt(0)
	ds_write_b32 v15, v18
	s_waitcnt lgkmcnt(0)
	s_barrier
	ds_read_b128 v[18:21], v17
	ds_read_b128 v[22:25], v17 offset:16
	ds_read2_b32 v[34:35], v16 offset1:16
	ds_read2_b32 v[36:37], v16 offset0:32 offset1:48
	ds_read2_b32 v[38:39], v16 offset0:64 offset1:80
	;; [unrolled: 1-line block ×4, first 2 shown]
	ds_read_b128 v[26:29], v17 offset:512
	ds_read_b128 v[30:33], v17 offset:528
	ds_read2_b32 v[44:45], v16 offset0:160 offset1:176
	ds_read2_b32 v[46:47], v16 offset0:192 offset1:208
	;; [unrolled: 1-line block ×3, first 2 shown]
	s_waitcnt lgkmcnt(9)
	v_pk_fma_f32 v[2:3], v[34:35], v[18:19], v[2:3] op_sel_hi:[1,0,1]
	v_mov_b32_e32 v12, v21
	s_waitcnt lgkmcnt(8)
	v_pk_fma_f32 v[2:3], v[36:37], v[18:19], v[2:3] op_sel:[0,1,0]
	s_waitcnt lgkmcnt(4)
	v_pk_fma_f32 v[0:1], v[34:35], v[26:27], v[0:1] op_sel_hi:[1,0,1]
	v_pk_fma_f32 v[2:3], v[38:39], v[20:21], v[2:3] op_sel_hi:[1,0,1]
	v_pk_fma_f32 v[0:1], v[36:37], v[26:27], v[0:1] op_sel:[0,1,0]
	v_pk_fma_f32 v[2:3], v[40:41], v[12:13], v[2:3] op_sel_hi:[1,0,1]
	v_mov_b32_e32 v12, v25
	v_pk_fma_f32 v[2:3], v[42:43], v[22:23], v[2:3] op_sel_hi:[1,0,1]
	v_pk_fma_f32 v[0:1], v[38:39], v[28:29], v[0:1] op_sel_hi:[1,0,1]
	s_waitcnt lgkmcnt(2)
	v_pk_fma_f32 v[2:3], v[44:45], v[22:23], v[2:3] op_sel:[0,1,0]
	s_add_u32 s6, s6, 8
	s_waitcnt lgkmcnt(1)
	v_pk_fma_f32 v[2:3], v[46:47], v[24:25], v[2:3] op_sel_hi:[1,0,1]
	s_addc_u32 s7, s7, 0
	s_waitcnt lgkmcnt(0)
	v_pk_fma_f32 v[2:3], v[48:49], v[12:13], v[2:3] op_sel_hi:[1,0,1]
	v_mov_b32_e32 v12, v29
	v_pk_fma_f32 v[0:1], v[40:41], v[12:13], v[0:1] op_sel_hi:[1,0,1]
	v_mov_b64_e32 v[18:19], s[6:7]
	v_pk_fma_f32 v[0:1], v[42:43], v[30:31], v[0:1] op_sel_hi:[1,0,1]
	v_mov_b32_e32 v12, v33
	v_pk_fma_f32 v[0:1], v[44:45], v[30:31], v[0:1] op_sel:[0,1,0]
	v_cmp_gt_i64_e32 vcc, s[8:9], v[18:19]
	v_pk_fma_f32 v[0:1], v[46:47], v[32:33], v[0:1] op_sel_hi:[1,0,1]
	s_nop 0
	v_pk_fma_f32 v[0:1], v[48:49], v[12:13], v[0:1] op_sel_hi:[1,0,1]
	s_barrier
	s_cbranch_vccz .LBB154_12
.LBB154_6:                              ; =>This Inner Loop Header: Depth=1
	v_mov_b32_e32 v18, 0
	s_and_saveexec_b64 s[10:11], s[0:1]
	s_cbranch_execz .LBB154_10
; %bb.7:                                ;   in Loop: Header=BB154_6 Depth=1
	v_add_u32_e32 v12, s6, v6
	v_cmp_gt_u64_e32 vcc, s[8:9], v[12:13]
	v_mov_b32_e32 v18, 0
	s_and_saveexec_b64 s[12:13], vcc
	s_cbranch_execz .LBB154_9
; %bb.8:                                ;   in Loop: Header=BB154_6 Depth=1
	v_mad_u64_u32 v[18:19], s[16:17], s14, v12, 0
	v_mov_b32_e32 v20, v19
	v_mad_u64_u32 v[20:21], s[16:17], s15, v12, v[20:21]
	v_mov_b32_e32 v19, v20
	v_lshl_add_u64 v[18:19], v[18:19], 2, v[8:9]
	global_load_dword v18, v[18:19], off
.LBB154_9:                              ;   in Loop: Header=BB154_6 Depth=1
	s_or_b64 exec, exec, s[12:13]
.LBB154_10:                             ;   in Loop: Header=BB154_6 Depth=1
	s_or_b64 exec, exec, s[10:11]
	v_add_u32_e32 v12, s6, v4
	v_cmp_gt_u64_e32 vcc, s[8:9], v[12:13]
	s_waitcnt vmcnt(0)
	ds_write_b32 v14, v18
	s_and_b64 s[12:13], vcc, s[2:3]
	v_mov_b32_e32 v18, 0
	s_and_saveexec_b64 s[10:11], s[12:13]
	s_cbranch_execz .LBB154_5
; %bb.11:                               ;   in Loop: Header=BB154_6 Depth=1
	v_mad_u64_u32 v[18:19], s[12:13], s20, v12, 0
	v_mov_b32_e32 v20, v19
	v_mad_u64_u32 v[20:21], s[12:13], s21, v12, v[20:21]
	v_mov_b32_e32 v19, v20
	v_lshl_add_u64 v[18:19], v[18:19], 2, v[10:11]
	global_load_dword v18, v[18:19], off
	s_branch .LBB154_5
.LBB154_12:
	s_mul_i32 s0, s31, s4
	s_mul_hi_u32 s1, s30, s4
	s_add_i32 s1, s1, s0
	s_mul_i32 s0, s30, s4
	s_lshl_b64 s[0:1], s[0:1], 2
	v_add_u32_e32 v10, s25, v7
	s_add_u32 s6, s26, s0
	v_add_u32_e32 v4, s5, v5
	v_ashrrev_i32_e32 v5, 31, v10
	s_addc_u32 s7, s27, s1
	v_mul_lo_u32 v5, s28, v5
	v_mul_lo_u32 v8, s29, v10
	v_mad_u64_u32 v[6:7], s[0:1], s28, v10, 0
	v_add3_u32 v7, v7, v5, v8
	v_cmp_neq_f32_e64 s[0:1], s33, 0
	v_lshl_add_u64 v[8:9], v[6:7], 2, s[6:7]
	v_cmp_le_i32_e32 vcc, v10, v4
	s_waitcnt lgkmcnt(0)
	v_cmp_gt_i32_e64 s[2:3], s24, v4
	v_cndmask_b32_e64 v6, 0, 1, s[0:1]
	s_and_b64 s[8:9], vcc, s[2:3]
	v_ashrrev_i32_e32 v5, 31, v4
	v_cmp_ne_u32_e64 s[0:1], 1, v6
	s_and_saveexec_b64 s[4:5], s[8:9]
	s_cbranch_execz .LBB154_16
; %bb.13:
	v_mul_f32_e32 v2, s34, v2
	s_and_b64 vcc, exec, s[0:1]
	v_lshl_add_u64 v[6:7], v[4:5], 2, v[8:9]
	s_cbranch_vccnz .LBB154_15
; %bb.14:
	global_load_dword v11, v[6:7], off
	s_waitcnt vmcnt(0)
	v_fmac_f32_e32 v2, s33, v11
.LBB154_15:
	global_store_dword v[6:7], v2, off
.LBB154_16:
	s_or_b64 exec, exec, s[4:5]
	v_add_u32_e32 v6, 16, v4
	v_cmp_le_i32_e32 vcc, v10, v6
	v_cmp_gt_i32_e64 s[4:5], s24, v6
	s_and_b64 s[10:11], vcc, s[4:5]
	v_ashrrev_i32_e32 v7, 31, v6
	s_and_saveexec_b64 s[8:9], s[10:11]
	s_cbranch_execz .LBB154_20
; %bb.17:
	v_mul_f32_e32 v11, s34, v3
	s_and_b64 vcc, exec, s[0:1]
	v_lshl_add_u64 v[2:3], v[6:7], 2, v[8:9]
	s_cbranch_vccnz .LBB154_19
; %bb.18:
	global_load_dword v8, v[2:3], off
	s_waitcnt vmcnt(0)
	v_fmac_f32_e32 v11, s33, v8
.LBB154_19:
	global_store_dword v[2:3], v11, off
.LBB154_20:
	s_or_b64 exec, exec, s[8:9]
	v_add_u32_e32 v8, 16, v10
	v_ashrrev_i32_e32 v2, 31, v8
	v_mul_lo_u32 v9, s28, v2
	v_mul_lo_u32 v10, s29, v8
	v_mad_u64_u32 v[2:3], s[8:9], s28, v8, 0
	v_add3_u32 v3, v3, v9, v10
	v_cmp_le_i32_e32 vcc, v8, v4
	v_lshl_add_u64 v[2:3], v[2:3], 2, s[6:7]
	s_and_b64 s[6:7], vcc, s[2:3]
	s_and_saveexec_b64 s[2:3], s[6:7]
	s_cbranch_execz .LBB154_24
; %bb.21:
	v_mul_f32_e32 v0, s34, v0
	s_and_b64 vcc, exec, s[0:1]
	v_lshl_add_u64 v[4:5], v[4:5], 2, v[2:3]
	s_cbranch_vccnz .LBB154_23
; %bb.22:
	global_load_dword v9, v[4:5], off
	s_waitcnt vmcnt(0)
	v_fmac_f32_e32 v0, s33, v9
.LBB154_23:
	global_store_dword v[4:5], v0, off
.LBB154_24:
	s_or_b64 exec, exec, s[2:3]
	v_cmp_le_i32_e32 vcc, v8, v6
	s_and_b64 s[2:3], vcc, s[4:5]
	s_and_saveexec_b64 s[4:5], s[2:3]
	s_cbranch_execz .LBB154_28
; %bb.25:
	v_mul_f32_e32 v4, s34, v1
	s_and_b64 vcc, exec, s[0:1]
	v_lshl_add_u64 v[0:1], v[6:7], 2, v[2:3]
	s_cbranch_vccnz .LBB154_27
; %bb.26:
	global_load_dword v2, v[0:1], off
	s_waitcnt vmcnt(0)
	v_fmac_f32_e32 v4, s33, v2
.LBB154_27:
	global_store_dword v[0:1], v4, off
.LBB154_28:
	s_endpgm
	.section	.rodata,"a",@progbits
	.p2align	6, 0x0
	.amdhsa_kernel _ZL29rocblas_internal_gemmt_kernelIlLi16ELi32ELi8ELc78ELc84ELc76ELb0ELb0EfPKfS1_PfEviT_T9_T10_S3_lS5_S3_lS4_T11_S3_li
		.amdhsa_group_segment_fixed_size 2048
		.amdhsa_private_segment_fixed_size 0
		.amdhsa_kernarg_size 108
		.amdhsa_user_sgpr_count 2
		.amdhsa_user_sgpr_dispatch_ptr 0
		.amdhsa_user_sgpr_queue_ptr 0
		.amdhsa_user_sgpr_kernarg_segment_ptr 1
		.amdhsa_user_sgpr_dispatch_id 0
		.amdhsa_user_sgpr_kernarg_preload_length 0
		.amdhsa_user_sgpr_kernarg_preload_offset 0
		.amdhsa_user_sgpr_private_segment_size 0
		.amdhsa_uses_dynamic_stack 0
		.amdhsa_enable_private_segment 0
		.amdhsa_system_sgpr_workgroup_id_x 1
		.amdhsa_system_sgpr_workgroup_id_y 1
		.amdhsa_system_sgpr_workgroup_id_z 1
		.amdhsa_system_sgpr_workgroup_info 0
		.amdhsa_system_vgpr_workitem_id 1
		.amdhsa_next_free_vgpr 50
		.amdhsa_next_free_sgpr 35
		.amdhsa_accum_offset 52
		.amdhsa_reserve_vcc 1
		.amdhsa_float_round_mode_32 0
		.amdhsa_float_round_mode_16_64 0
		.amdhsa_float_denorm_mode_32 3
		.amdhsa_float_denorm_mode_16_64 3
		.amdhsa_dx10_clamp 1
		.amdhsa_ieee_mode 1
		.amdhsa_fp16_overflow 0
		.amdhsa_tg_split 0
		.amdhsa_exception_fp_ieee_invalid_op 0
		.amdhsa_exception_fp_denorm_src 0
		.amdhsa_exception_fp_ieee_div_zero 0
		.amdhsa_exception_fp_ieee_overflow 0
		.amdhsa_exception_fp_ieee_underflow 0
		.amdhsa_exception_fp_ieee_inexact 0
		.amdhsa_exception_int_div_zero 0
	.end_amdhsa_kernel
	.section	.text._ZL29rocblas_internal_gemmt_kernelIlLi16ELi32ELi8ELc78ELc84ELc76ELb0ELb0EfPKfS1_PfEviT_T9_T10_S3_lS5_S3_lS4_T11_S3_li,"axG",@progbits,_ZL29rocblas_internal_gemmt_kernelIlLi16ELi32ELi8ELc78ELc84ELc76ELb0ELb0EfPKfS1_PfEviT_T9_T10_S3_lS5_S3_lS4_T11_S3_li,comdat
.Lfunc_end154:
	.size	_ZL29rocblas_internal_gemmt_kernelIlLi16ELi32ELi8ELc78ELc84ELc76ELb0ELb0EfPKfS1_PfEviT_T9_T10_S3_lS5_S3_lS4_T11_S3_li, .Lfunc_end154-_ZL29rocblas_internal_gemmt_kernelIlLi16ELi32ELi8ELc78ELc84ELc76ELb0ELb0EfPKfS1_PfEviT_T9_T10_S3_lS5_S3_lS4_T11_S3_li
                                        ; -- End function
	.set _ZL29rocblas_internal_gemmt_kernelIlLi16ELi32ELi8ELc78ELc84ELc76ELb0ELb0EfPKfS1_PfEviT_T9_T10_S3_lS5_S3_lS4_T11_S3_li.num_vgpr, 50
	.set _ZL29rocblas_internal_gemmt_kernelIlLi16ELi32ELi8ELc78ELc84ELc76ELb0ELb0EfPKfS1_PfEviT_T9_T10_S3_lS5_S3_lS4_T11_S3_li.num_agpr, 0
	.set _ZL29rocblas_internal_gemmt_kernelIlLi16ELi32ELi8ELc78ELc84ELc76ELb0ELb0EfPKfS1_PfEviT_T9_T10_S3_lS5_S3_lS4_T11_S3_li.numbered_sgpr, 35
	.set _ZL29rocblas_internal_gemmt_kernelIlLi16ELi32ELi8ELc78ELc84ELc76ELb0ELb0EfPKfS1_PfEviT_T9_T10_S3_lS5_S3_lS4_T11_S3_li.num_named_barrier, 0
	.set _ZL29rocblas_internal_gemmt_kernelIlLi16ELi32ELi8ELc78ELc84ELc76ELb0ELb0EfPKfS1_PfEviT_T9_T10_S3_lS5_S3_lS4_T11_S3_li.private_seg_size, 0
	.set _ZL29rocblas_internal_gemmt_kernelIlLi16ELi32ELi8ELc78ELc84ELc76ELb0ELb0EfPKfS1_PfEviT_T9_T10_S3_lS5_S3_lS4_T11_S3_li.uses_vcc, 1
	.set _ZL29rocblas_internal_gemmt_kernelIlLi16ELi32ELi8ELc78ELc84ELc76ELb0ELb0EfPKfS1_PfEviT_T9_T10_S3_lS5_S3_lS4_T11_S3_li.uses_flat_scratch, 0
	.set _ZL29rocblas_internal_gemmt_kernelIlLi16ELi32ELi8ELc78ELc84ELc76ELb0ELb0EfPKfS1_PfEviT_T9_T10_S3_lS5_S3_lS4_T11_S3_li.has_dyn_sized_stack, 0
	.set _ZL29rocblas_internal_gemmt_kernelIlLi16ELi32ELi8ELc78ELc84ELc76ELb0ELb0EfPKfS1_PfEviT_T9_T10_S3_lS5_S3_lS4_T11_S3_li.has_recursion, 0
	.set _ZL29rocblas_internal_gemmt_kernelIlLi16ELi32ELi8ELc78ELc84ELc76ELb0ELb0EfPKfS1_PfEviT_T9_T10_S3_lS5_S3_lS4_T11_S3_li.has_indirect_call, 0
	.section	.AMDGPU.csdata,"",@progbits
; Kernel info:
; codeLenInByte = 1288
; TotalNumSgprs: 41
; NumVgprs: 50
; NumAgprs: 0
; TotalNumVgprs: 50
; ScratchSize: 0
; MemoryBound: 0
; FloatMode: 240
; IeeeMode: 1
; LDSByteSize: 2048 bytes/workgroup (compile time only)
; SGPRBlocks: 5
; VGPRBlocks: 6
; NumSGPRsForWavesPerEU: 41
; NumVGPRsForWavesPerEU: 50
; AccumOffset: 52
; Occupancy: 8
; WaveLimiterHint : 0
; COMPUTE_PGM_RSRC2:SCRATCH_EN: 0
; COMPUTE_PGM_RSRC2:USER_SGPR: 2
; COMPUTE_PGM_RSRC2:TRAP_HANDLER: 0
; COMPUTE_PGM_RSRC2:TGID_X_EN: 1
; COMPUTE_PGM_RSRC2:TGID_Y_EN: 1
; COMPUTE_PGM_RSRC2:TGID_Z_EN: 1
; COMPUTE_PGM_RSRC2:TIDIG_COMP_CNT: 1
; COMPUTE_PGM_RSRC3_GFX90A:ACCUM_OFFSET: 12
; COMPUTE_PGM_RSRC3_GFX90A:TG_SPLIT: 0
	.section	.text._ZL29rocblas_internal_gemmt_kernelIlLi16ELi32ELi8ELc78ELc67ELc76ELb0ELb0EfPKfS1_PfEviT_T9_T10_S3_lS5_S3_lS4_T11_S3_li,"axG",@progbits,_ZL29rocblas_internal_gemmt_kernelIlLi16ELi32ELi8ELc78ELc67ELc76ELb0ELb0EfPKfS1_PfEviT_T9_T10_S3_lS5_S3_lS4_T11_S3_li,comdat
	.globl	_ZL29rocblas_internal_gemmt_kernelIlLi16ELi32ELi8ELc78ELc67ELc76ELb0ELb0EfPKfS1_PfEviT_T9_T10_S3_lS5_S3_lS4_T11_S3_li ; -- Begin function _ZL29rocblas_internal_gemmt_kernelIlLi16ELi32ELi8ELc78ELc67ELc76ELb0ELb0EfPKfS1_PfEviT_T9_T10_S3_lS5_S3_lS4_T11_S3_li
	.p2align	8
	.type	_ZL29rocblas_internal_gemmt_kernelIlLi16ELi32ELi8ELc78ELc67ELc76ELb0ELb0EfPKfS1_PfEviT_T9_T10_S3_lS5_S3_lS4_T11_S3_li,@function
_ZL29rocblas_internal_gemmt_kernelIlLi16ELi32ELi8ELc78ELc67ELc76ELb0ELb0EfPKfS1_PfEviT_T9_T10_S3_lS5_S3_lS4_T11_S3_li: ; @_ZL29rocblas_internal_gemmt_kernelIlLi16ELi32ELi8ELc78ELc67ELc76ELb0ELb0EfPKfS1_PfEviT_T9_T10_S3_lS5_S3_lS4_T11_S3_li
; %bb.0:
	s_load_dwordx8 s[24:31], s[0:1], 0x48
	s_load_dwordx16 s[8:23], s[0:1], 0x8
	s_waitcnt lgkmcnt(0)
	s_load_dword s33, s[24:25], 0x0
	s_load_dword s34, s[10:11], 0x0
	s_waitcnt lgkmcnt(0)
	v_cmp_neq_f32_e64 s[6:7], s33, 1.0
	s_and_b64 vcc, exec, s[6:7]
	s_cbranch_vccnz .LBB155_2
; %bb.1:
	s_cmp_lg_u64 s[8:9], 0
	s_cselect_b64 s[6:7], -1, 0
	v_cmp_neq_f32_e64 s[10:11], s34, 0
	s_and_b64 s[6:7], s[6:7], s[10:11]
.LBB155_2:
	s_andn2_b64 vcc, exec, s[6:7]
	s_cbranch_vccnz .LBB155_28
; %bb.3:
	s_load_dword s24, s[0:1], 0x0
	s_lshl_b32 s5, s2, 5
	s_lshl_b32 s25, s3, 5
	v_cmp_eq_f32_e64 s[0:1], s34, 0
	v_cmp_lt_i64_e64 s[2:3], s[8:9], 1
	v_mov_b32_e32 v3, 0
	s_or_b64 s[0:1], s[0:1], s[2:3]
	v_and_b32_e32 v5, 0x3ff, v0
	v_bfe_u32 v7, v0, 10, 10
	s_and_b64 vcc, exec, s[0:1]
	v_mov_b32_e32 v2, v3
	v_mov_b32_e32 v1, v3
	;; [unrolled: 1-line block ×3, first 2 shown]
	s_cbranch_vccnz .LBB155_12
; %bb.4:
	s_mul_i32 s0, s23, s4
	s_mul_hi_u32 s1, s22, s4
	s_add_i32 s1, s1, s0
	s_mul_i32 s0, s22, s4
	s_lshl_b64 s[0:1], s[0:1], 2
	v_lshl_add_u32 v1, v7, 4, v5
	s_add_u32 s6, s18, s0
	v_lshrrev_b32_e32 v6, 5, v1
	v_lshrrev_b32_e32 v10, 3, v1
	v_and_b32_e32 v1, 31, v1
	s_addc_u32 s7, s19, s1
	s_mul_i32 s0, s17, s4
	s_mul_hi_u32 s1, s16, s4
	v_and_b32_e32 v4, 7, v5
	v_or_b32_e32 v2, s5, v1
	s_add_i32 s1, s1, s0
	s_mul_i32 s0, s16, s4
	v_lshlrev_b32_e32 v1, 2, v1
	s_lshl_b64 s[0:1], s[0:1], 2
	v_lshl_or_b32 v14, v6, 7, v1
	v_lshlrev_b32_e32 v1, 2, v4
	v_add_u32_e32 v0, s25, v10
	s_add_u32 s2, s12, s0
	v_lshl_or_b32 v1, v10, 5, v1
	s_addc_u32 s3, s13, s1
	v_ashrrev_i32_e32 v3, 31, v2
	v_add_u32_e32 v15, 0x400, v1
	v_ashrrev_i32_e32 v1, 31, v0
	v_lshl_add_u64 v[8:9], v[2:3], 2, s[2:3]
	s_waitcnt lgkmcnt(0)
	v_cmp_gt_i32_e64 s[2:3], s24, v0
	v_lshl_add_u64 v[10:11], v[0:1], 2, s[6:7]
	v_mov_b32_e32 v0, 0x400
	v_mov_b32_e32 v13, 0
	v_cmp_gt_i32_e64 s[0:1], s24, v2
	v_lshlrev_b32_e32 v16, 2, v5
	v_lshl_add_u32 v17, v7, 5, v0
	s_mov_b64 s[6:7], 0
	v_mov_b32_e32 v0, v13
	v_mov_b32_e32 v1, v13
	;; [unrolled: 1-line block ×4, first 2 shown]
	s_branch .LBB155_6
.LBB155_5:                              ;   in Loop: Header=BB155_6 Depth=1
	s_or_b64 exec, exec, s[10:11]
	s_waitcnt vmcnt(0)
	ds_write_b32 v15, v18
	s_waitcnt lgkmcnt(0)
	s_barrier
	ds_read_b128 v[18:21], v17
	ds_read_b128 v[22:25], v17 offset:16
	ds_read2_b32 v[34:35], v16 offset1:16
	ds_read2_b32 v[36:37], v16 offset0:32 offset1:48
	ds_read2_b32 v[38:39], v16 offset0:64 offset1:80
	;; [unrolled: 1-line block ×4, first 2 shown]
	ds_read_b128 v[26:29], v17 offset:512
	ds_read_b128 v[30:33], v17 offset:528
	ds_read2_b32 v[44:45], v16 offset0:160 offset1:176
	ds_read2_b32 v[46:47], v16 offset0:192 offset1:208
	;; [unrolled: 1-line block ×3, first 2 shown]
	s_waitcnt lgkmcnt(9)
	v_pk_fma_f32 v[2:3], v[34:35], v[18:19], v[2:3] op_sel_hi:[1,0,1]
	v_mov_b32_e32 v12, v21
	s_waitcnt lgkmcnt(8)
	v_pk_fma_f32 v[2:3], v[36:37], v[18:19], v[2:3] op_sel:[0,1,0]
	s_waitcnt lgkmcnt(4)
	v_pk_fma_f32 v[0:1], v[34:35], v[26:27], v[0:1] op_sel_hi:[1,0,1]
	v_pk_fma_f32 v[2:3], v[38:39], v[20:21], v[2:3] op_sel_hi:[1,0,1]
	v_pk_fma_f32 v[0:1], v[36:37], v[26:27], v[0:1] op_sel:[0,1,0]
	v_pk_fma_f32 v[2:3], v[40:41], v[12:13], v[2:3] op_sel_hi:[1,0,1]
	v_mov_b32_e32 v12, v25
	v_pk_fma_f32 v[2:3], v[42:43], v[22:23], v[2:3] op_sel_hi:[1,0,1]
	v_pk_fma_f32 v[0:1], v[38:39], v[28:29], v[0:1] op_sel_hi:[1,0,1]
	s_waitcnt lgkmcnt(2)
	v_pk_fma_f32 v[2:3], v[44:45], v[22:23], v[2:3] op_sel:[0,1,0]
	s_add_u32 s6, s6, 8
	s_waitcnt lgkmcnt(1)
	v_pk_fma_f32 v[2:3], v[46:47], v[24:25], v[2:3] op_sel_hi:[1,0,1]
	s_addc_u32 s7, s7, 0
	s_waitcnt lgkmcnt(0)
	v_pk_fma_f32 v[2:3], v[48:49], v[12:13], v[2:3] op_sel_hi:[1,0,1]
	v_mov_b32_e32 v12, v29
	v_pk_fma_f32 v[0:1], v[40:41], v[12:13], v[0:1] op_sel_hi:[1,0,1]
	v_mov_b64_e32 v[18:19], s[6:7]
	v_pk_fma_f32 v[0:1], v[42:43], v[30:31], v[0:1] op_sel_hi:[1,0,1]
	v_mov_b32_e32 v12, v33
	v_pk_fma_f32 v[0:1], v[44:45], v[30:31], v[0:1] op_sel:[0,1,0]
	v_cmp_gt_i64_e32 vcc, s[8:9], v[18:19]
	v_pk_fma_f32 v[0:1], v[46:47], v[32:33], v[0:1] op_sel_hi:[1,0,1]
	s_nop 0
	v_pk_fma_f32 v[0:1], v[48:49], v[12:13], v[0:1] op_sel_hi:[1,0,1]
	s_barrier
	s_cbranch_vccz .LBB155_12
.LBB155_6:                              ; =>This Inner Loop Header: Depth=1
	v_mov_b32_e32 v18, 0
	s_and_saveexec_b64 s[10:11], s[0:1]
	s_cbranch_execz .LBB155_10
; %bb.7:                                ;   in Loop: Header=BB155_6 Depth=1
	v_add_u32_e32 v12, s6, v6
	v_cmp_gt_u64_e32 vcc, s[8:9], v[12:13]
	v_mov_b32_e32 v18, 0
	s_and_saveexec_b64 s[12:13], vcc
	s_cbranch_execz .LBB155_9
; %bb.8:                                ;   in Loop: Header=BB155_6 Depth=1
	v_mad_u64_u32 v[18:19], s[16:17], s14, v12, 0
	v_mov_b32_e32 v20, v19
	v_mad_u64_u32 v[20:21], s[16:17], s15, v12, v[20:21]
	v_mov_b32_e32 v19, v20
	v_lshl_add_u64 v[18:19], v[18:19], 2, v[8:9]
	global_load_dword v18, v[18:19], off
.LBB155_9:                              ;   in Loop: Header=BB155_6 Depth=1
	s_or_b64 exec, exec, s[12:13]
.LBB155_10:                             ;   in Loop: Header=BB155_6 Depth=1
	s_or_b64 exec, exec, s[10:11]
	v_add_u32_e32 v12, s6, v4
	v_cmp_gt_u64_e32 vcc, s[8:9], v[12:13]
	s_waitcnt vmcnt(0)
	ds_write_b32 v14, v18
	s_and_b64 s[12:13], vcc, s[2:3]
	v_mov_b32_e32 v18, 0
	s_and_saveexec_b64 s[10:11], s[12:13]
	s_cbranch_execz .LBB155_5
; %bb.11:                               ;   in Loop: Header=BB155_6 Depth=1
	v_mad_u64_u32 v[18:19], s[12:13], s20, v12, 0
	v_mov_b32_e32 v20, v19
	v_mad_u64_u32 v[20:21], s[12:13], s21, v12, v[20:21]
	v_mov_b32_e32 v19, v20
	v_lshl_add_u64 v[18:19], v[18:19], 2, v[10:11]
	global_load_dword v18, v[18:19], off
	s_branch .LBB155_5
.LBB155_12:
	s_mul_i32 s0, s31, s4
	s_mul_hi_u32 s1, s30, s4
	s_add_i32 s1, s1, s0
	s_mul_i32 s0, s30, s4
	s_lshl_b64 s[0:1], s[0:1], 2
	v_add_u32_e32 v10, s25, v7
	s_add_u32 s6, s26, s0
	v_add_u32_e32 v4, s5, v5
	v_ashrrev_i32_e32 v5, 31, v10
	s_addc_u32 s7, s27, s1
	v_mul_lo_u32 v5, s28, v5
	v_mul_lo_u32 v8, s29, v10
	v_mad_u64_u32 v[6:7], s[0:1], s28, v10, 0
	v_add3_u32 v7, v7, v5, v8
	v_cmp_neq_f32_e64 s[0:1], s33, 0
	v_lshl_add_u64 v[8:9], v[6:7], 2, s[6:7]
	v_cmp_le_i32_e32 vcc, v10, v4
	s_waitcnt lgkmcnt(0)
	v_cmp_gt_i32_e64 s[2:3], s24, v4
	v_cndmask_b32_e64 v6, 0, 1, s[0:1]
	s_and_b64 s[8:9], vcc, s[2:3]
	v_ashrrev_i32_e32 v5, 31, v4
	v_cmp_ne_u32_e64 s[0:1], 1, v6
	s_and_saveexec_b64 s[4:5], s[8:9]
	s_cbranch_execz .LBB155_16
; %bb.13:
	v_mul_f32_e32 v2, s34, v2
	s_and_b64 vcc, exec, s[0:1]
	v_lshl_add_u64 v[6:7], v[4:5], 2, v[8:9]
	s_cbranch_vccnz .LBB155_15
; %bb.14:
	global_load_dword v11, v[6:7], off
	s_waitcnt vmcnt(0)
	v_fmac_f32_e32 v2, s33, v11
.LBB155_15:
	global_store_dword v[6:7], v2, off
.LBB155_16:
	s_or_b64 exec, exec, s[4:5]
	v_add_u32_e32 v6, 16, v4
	v_cmp_le_i32_e32 vcc, v10, v6
	v_cmp_gt_i32_e64 s[4:5], s24, v6
	s_and_b64 s[10:11], vcc, s[4:5]
	v_ashrrev_i32_e32 v7, 31, v6
	s_and_saveexec_b64 s[8:9], s[10:11]
	s_cbranch_execz .LBB155_20
; %bb.17:
	v_mul_f32_e32 v11, s34, v3
	s_and_b64 vcc, exec, s[0:1]
	v_lshl_add_u64 v[2:3], v[6:7], 2, v[8:9]
	s_cbranch_vccnz .LBB155_19
; %bb.18:
	global_load_dword v8, v[2:3], off
	s_waitcnt vmcnt(0)
	v_fmac_f32_e32 v11, s33, v8
.LBB155_19:
	global_store_dword v[2:3], v11, off
.LBB155_20:
	s_or_b64 exec, exec, s[8:9]
	v_add_u32_e32 v8, 16, v10
	v_ashrrev_i32_e32 v2, 31, v8
	v_mul_lo_u32 v9, s28, v2
	v_mul_lo_u32 v10, s29, v8
	v_mad_u64_u32 v[2:3], s[8:9], s28, v8, 0
	v_add3_u32 v3, v3, v9, v10
	v_cmp_le_i32_e32 vcc, v8, v4
	v_lshl_add_u64 v[2:3], v[2:3], 2, s[6:7]
	s_and_b64 s[6:7], vcc, s[2:3]
	s_and_saveexec_b64 s[2:3], s[6:7]
	s_cbranch_execz .LBB155_24
; %bb.21:
	v_mul_f32_e32 v0, s34, v0
	s_and_b64 vcc, exec, s[0:1]
	v_lshl_add_u64 v[4:5], v[4:5], 2, v[2:3]
	s_cbranch_vccnz .LBB155_23
; %bb.22:
	global_load_dword v9, v[4:5], off
	s_waitcnt vmcnt(0)
	v_fmac_f32_e32 v0, s33, v9
.LBB155_23:
	global_store_dword v[4:5], v0, off
.LBB155_24:
	s_or_b64 exec, exec, s[2:3]
	v_cmp_le_i32_e32 vcc, v8, v6
	s_and_b64 s[2:3], vcc, s[4:5]
	s_and_saveexec_b64 s[4:5], s[2:3]
	s_cbranch_execz .LBB155_28
; %bb.25:
	v_mul_f32_e32 v4, s34, v1
	s_and_b64 vcc, exec, s[0:1]
	v_lshl_add_u64 v[0:1], v[6:7], 2, v[2:3]
	s_cbranch_vccnz .LBB155_27
; %bb.26:
	global_load_dword v2, v[0:1], off
	s_waitcnt vmcnt(0)
	v_fmac_f32_e32 v4, s33, v2
.LBB155_27:
	global_store_dword v[0:1], v4, off
.LBB155_28:
	s_endpgm
	.section	.rodata,"a",@progbits
	.p2align	6, 0x0
	.amdhsa_kernel _ZL29rocblas_internal_gemmt_kernelIlLi16ELi32ELi8ELc78ELc67ELc76ELb0ELb0EfPKfS1_PfEviT_T9_T10_S3_lS5_S3_lS4_T11_S3_li
		.amdhsa_group_segment_fixed_size 2048
		.amdhsa_private_segment_fixed_size 0
		.amdhsa_kernarg_size 108
		.amdhsa_user_sgpr_count 2
		.amdhsa_user_sgpr_dispatch_ptr 0
		.amdhsa_user_sgpr_queue_ptr 0
		.amdhsa_user_sgpr_kernarg_segment_ptr 1
		.amdhsa_user_sgpr_dispatch_id 0
		.amdhsa_user_sgpr_kernarg_preload_length 0
		.amdhsa_user_sgpr_kernarg_preload_offset 0
		.amdhsa_user_sgpr_private_segment_size 0
		.amdhsa_uses_dynamic_stack 0
		.amdhsa_enable_private_segment 0
		.amdhsa_system_sgpr_workgroup_id_x 1
		.amdhsa_system_sgpr_workgroup_id_y 1
		.amdhsa_system_sgpr_workgroup_id_z 1
		.amdhsa_system_sgpr_workgroup_info 0
		.amdhsa_system_vgpr_workitem_id 1
		.amdhsa_next_free_vgpr 50
		.amdhsa_next_free_sgpr 35
		.amdhsa_accum_offset 52
		.amdhsa_reserve_vcc 1
		.amdhsa_float_round_mode_32 0
		.amdhsa_float_round_mode_16_64 0
		.amdhsa_float_denorm_mode_32 3
		.amdhsa_float_denorm_mode_16_64 3
		.amdhsa_dx10_clamp 1
		.amdhsa_ieee_mode 1
		.amdhsa_fp16_overflow 0
		.amdhsa_tg_split 0
		.amdhsa_exception_fp_ieee_invalid_op 0
		.amdhsa_exception_fp_denorm_src 0
		.amdhsa_exception_fp_ieee_div_zero 0
		.amdhsa_exception_fp_ieee_overflow 0
		.amdhsa_exception_fp_ieee_underflow 0
		.amdhsa_exception_fp_ieee_inexact 0
		.amdhsa_exception_int_div_zero 0
	.end_amdhsa_kernel
	.section	.text._ZL29rocblas_internal_gemmt_kernelIlLi16ELi32ELi8ELc78ELc67ELc76ELb0ELb0EfPKfS1_PfEviT_T9_T10_S3_lS5_S3_lS4_T11_S3_li,"axG",@progbits,_ZL29rocblas_internal_gemmt_kernelIlLi16ELi32ELi8ELc78ELc67ELc76ELb0ELb0EfPKfS1_PfEviT_T9_T10_S3_lS5_S3_lS4_T11_S3_li,comdat
.Lfunc_end155:
	.size	_ZL29rocblas_internal_gemmt_kernelIlLi16ELi32ELi8ELc78ELc67ELc76ELb0ELb0EfPKfS1_PfEviT_T9_T10_S3_lS5_S3_lS4_T11_S3_li, .Lfunc_end155-_ZL29rocblas_internal_gemmt_kernelIlLi16ELi32ELi8ELc78ELc67ELc76ELb0ELb0EfPKfS1_PfEviT_T9_T10_S3_lS5_S3_lS4_T11_S3_li
                                        ; -- End function
	.set _ZL29rocblas_internal_gemmt_kernelIlLi16ELi32ELi8ELc78ELc67ELc76ELb0ELb0EfPKfS1_PfEviT_T9_T10_S3_lS5_S3_lS4_T11_S3_li.num_vgpr, 50
	.set _ZL29rocblas_internal_gemmt_kernelIlLi16ELi32ELi8ELc78ELc67ELc76ELb0ELb0EfPKfS1_PfEviT_T9_T10_S3_lS5_S3_lS4_T11_S3_li.num_agpr, 0
	.set _ZL29rocblas_internal_gemmt_kernelIlLi16ELi32ELi8ELc78ELc67ELc76ELb0ELb0EfPKfS1_PfEviT_T9_T10_S3_lS5_S3_lS4_T11_S3_li.numbered_sgpr, 35
	.set _ZL29rocblas_internal_gemmt_kernelIlLi16ELi32ELi8ELc78ELc67ELc76ELb0ELb0EfPKfS1_PfEviT_T9_T10_S3_lS5_S3_lS4_T11_S3_li.num_named_barrier, 0
	.set _ZL29rocblas_internal_gemmt_kernelIlLi16ELi32ELi8ELc78ELc67ELc76ELb0ELb0EfPKfS1_PfEviT_T9_T10_S3_lS5_S3_lS4_T11_S3_li.private_seg_size, 0
	.set _ZL29rocblas_internal_gemmt_kernelIlLi16ELi32ELi8ELc78ELc67ELc76ELb0ELb0EfPKfS1_PfEviT_T9_T10_S3_lS5_S3_lS4_T11_S3_li.uses_vcc, 1
	.set _ZL29rocblas_internal_gemmt_kernelIlLi16ELi32ELi8ELc78ELc67ELc76ELb0ELb0EfPKfS1_PfEviT_T9_T10_S3_lS5_S3_lS4_T11_S3_li.uses_flat_scratch, 0
	.set _ZL29rocblas_internal_gemmt_kernelIlLi16ELi32ELi8ELc78ELc67ELc76ELb0ELb0EfPKfS1_PfEviT_T9_T10_S3_lS5_S3_lS4_T11_S3_li.has_dyn_sized_stack, 0
	.set _ZL29rocblas_internal_gemmt_kernelIlLi16ELi32ELi8ELc78ELc67ELc76ELb0ELb0EfPKfS1_PfEviT_T9_T10_S3_lS5_S3_lS4_T11_S3_li.has_recursion, 0
	.set _ZL29rocblas_internal_gemmt_kernelIlLi16ELi32ELi8ELc78ELc67ELc76ELb0ELb0EfPKfS1_PfEviT_T9_T10_S3_lS5_S3_lS4_T11_S3_li.has_indirect_call, 0
	.section	.AMDGPU.csdata,"",@progbits
; Kernel info:
; codeLenInByte = 1288
; TotalNumSgprs: 41
; NumVgprs: 50
; NumAgprs: 0
; TotalNumVgprs: 50
; ScratchSize: 0
; MemoryBound: 0
; FloatMode: 240
; IeeeMode: 1
; LDSByteSize: 2048 bytes/workgroup (compile time only)
; SGPRBlocks: 5
; VGPRBlocks: 6
; NumSGPRsForWavesPerEU: 41
; NumVGPRsForWavesPerEU: 50
; AccumOffset: 52
; Occupancy: 8
; WaveLimiterHint : 0
; COMPUTE_PGM_RSRC2:SCRATCH_EN: 0
; COMPUTE_PGM_RSRC2:USER_SGPR: 2
; COMPUTE_PGM_RSRC2:TRAP_HANDLER: 0
; COMPUTE_PGM_RSRC2:TGID_X_EN: 1
; COMPUTE_PGM_RSRC2:TGID_Y_EN: 1
; COMPUTE_PGM_RSRC2:TGID_Z_EN: 1
; COMPUTE_PGM_RSRC2:TIDIG_COMP_CNT: 1
; COMPUTE_PGM_RSRC3_GFX90A:ACCUM_OFFSET: 12
; COMPUTE_PGM_RSRC3_GFX90A:TG_SPLIT: 0
	.section	.text._ZL29rocblas_internal_gemmt_kernelIlLi16ELi32ELi8ELc84ELc78ELc76ELb0ELb0EfPKfS1_PfEviT_T9_T10_S3_lS5_S3_lS4_T11_S3_li,"axG",@progbits,_ZL29rocblas_internal_gemmt_kernelIlLi16ELi32ELi8ELc84ELc78ELc76ELb0ELb0EfPKfS1_PfEviT_T9_T10_S3_lS5_S3_lS4_T11_S3_li,comdat
	.globl	_ZL29rocblas_internal_gemmt_kernelIlLi16ELi32ELi8ELc84ELc78ELc76ELb0ELb0EfPKfS1_PfEviT_T9_T10_S3_lS5_S3_lS4_T11_S3_li ; -- Begin function _ZL29rocblas_internal_gemmt_kernelIlLi16ELi32ELi8ELc84ELc78ELc76ELb0ELb0EfPKfS1_PfEviT_T9_T10_S3_lS5_S3_lS4_T11_S3_li
	.p2align	8
	.type	_ZL29rocblas_internal_gemmt_kernelIlLi16ELi32ELi8ELc84ELc78ELc76ELb0ELb0EfPKfS1_PfEviT_T9_T10_S3_lS5_S3_lS4_T11_S3_li,@function
_ZL29rocblas_internal_gemmt_kernelIlLi16ELi32ELi8ELc84ELc78ELc76ELb0ELb0EfPKfS1_PfEviT_T9_T10_S3_lS5_S3_lS4_T11_S3_li: ; @_ZL29rocblas_internal_gemmt_kernelIlLi16ELi32ELi8ELc84ELc78ELc76ELb0ELb0EfPKfS1_PfEviT_T9_T10_S3_lS5_S3_lS4_T11_S3_li
; %bb.0:
	s_load_dwordx8 s[24:31], s[0:1], 0x48
	s_load_dwordx16 s[8:23], s[0:1], 0x8
	s_waitcnt lgkmcnt(0)
	s_load_dword s33, s[24:25], 0x0
	s_load_dword s34, s[10:11], 0x0
	s_waitcnt lgkmcnt(0)
	v_cmp_neq_f32_e64 s[6:7], s33, 1.0
	s_and_b64 vcc, exec, s[6:7]
	s_cbranch_vccnz .LBB156_2
; %bb.1:
	s_cmp_lg_u64 s[8:9], 0
	s_cselect_b64 s[6:7], -1, 0
	v_cmp_neq_f32_e64 s[10:11], s34, 0
	s_and_b64 s[6:7], s[6:7], s[10:11]
.LBB156_2:
	s_andn2_b64 vcc, exec, s[6:7]
	s_cbranch_vccnz .LBB156_28
; %bb.3:
	s_load_dword s24, s[0:1], 0x0
	s_lshl_b32 s5, s2, 5
	s_lshl_b32 s25, s3, 5
	v_cmp_eq_f32_e64 s[0:1], s34, 0
	v_cmp_lt_i64_e64 s[2:3], s[8:9], 1
	v_mov_b32_e32 v3, 0
	s_or_b64 s[0:1], s[0:1], s[2:3]
	v_and_b32_e32 v5, 0x3ff, v0
	v_bfe_u32 v7, v0, 10, 10
	s_and_b64 vcc, exec, s[0:1]
	v_mov_b32_e32 v2, v3
	v_mov_b32_e32 v1, v3
	;; [unrolled: 1-line block ×3, first 2 shown]
	s_cbranch_vccnz .LBB156_12
; %bb.4:
	s_mul_i32 s0, s23, s4
	s_mul_hi_u32 s1, s22, s4
	s_add_i32 s1, s1, s0
	s_mul_i32 s0, s22, s4
	s_lshl_b64 s[0:1], s[0:1], 2
	s_add_u32 s6, s18, s0
	s_addc_u32 s7, s19, s1
	s_mul_i32 s0, s17, s4
	s_mul_hi_u32 s1, s16, s4
	v_lshl_add_u32 v0, v7, 4, v5
	s_add_i32 s1, s1, s0
	s_mul_i32 s0, s16, s4
	v_lshrrev_b32_e32 v6, 5, v0
	v_lshrrev_b32_e32 v2, 3, v0
	v_and_b32_e32 v0, 31, v0
	s_lshl_b64 s[0:1], s[0:1], 2
	v_or_b32_e32 v1, s5, v0
	s_add_u32 s2, s12, s0
	v_lshlrev_b32_e32 v0, 2, v0
	s_addc_u32 s3, s13, s1
	s_waitcnt lgkmcnt(0)
	v_cmp_gt_i32_e64 s[0:1], s24, v1
	v_lshl_or_b32 v14, v6, 7, v0
	s_ashr_i32 s12, s5, 31
	v_mul_lo_u32 v8, s15, v1
	v_mad_u64_u32 v[0:1], s[10:11], s14, v1, 0
	s_mul_i32 s10, s14, s12
	v_and_b32_e32 v4, 7, v5
	v_add3_u32 v1, v1, s10, v8
	v_lshl_add_u64 v[8:9], v[0:1], 2, s[2:3]
	v_lshlrev_b32_e32 v0, 2, v4
	v_add_u32_e32 v3, s25, v2
	v_lshl_or_b32 v0, v2, 5, v0
	v_add_u32_e32 v15, 0x400, v0
	v_ashrrev_i32_e32 v0, 31, v3
	v_mul_lo_u32 v2, s20, v0
	v_mul_lo_u32 v10, s21, v3
	v_mad_u64_u32 v[0:1], s[10:11], s20, v3, 0
	v_add3_u32 v1, v1, v2, v10
	v_lshl_add_u64 v[10:11], v[0:1], 2, s[6:7]
	v_mov_b32_e32 v0, 0x400
	v_mov_b32_e32 v13, 0
	v_cmp_gt_i32_e64 s[2:3], s24, v3
	v_lshlrev_b32_e32 v16, 2, v5
	v_lshl_add_u32 v17, v7, 5, v0
	s_mov_b64 s[6:7], 0
	v_mov_b32_e32 v0, v13
	v_mov_b32_e32 v1, v13
	v_mov_b32_e32 v2, v13
	v_mov_b32_e32 v3, v13
	s_branch .LBB156_6
.LBB156_5:                              ;   in Loop: Header=BB156_6 Depth=1
	s_or_b64 exec, exec, s[10:11]
	s_waitcnt vmcnt(0)
	ds_write_b32 v15, v18
	s_waitcnt lgkmcnt(0)
	s_barrier
	ds_read_b128 v[18:21], v17
	ds_read_b128 v[22:25], v17 offset:16
	ds_read2_b32 v[34:35], v16 offset1:16
	ds_read2_b32 v[36:37], v16 offset0:32 offset1:48
	ds_read2_b32 v[38:39], v16 offset0:64 offset1:80
	;; [unrolled: 1-line block ×4, first 2 shown]
	ds_read_b128 v[26:29], v17 offset:512
	ds_read_b128 v[30:33], v17 offset:528
	ds_read2_b32 v[44:45], v16 offset0:160 offset1:176
	ds_read2_b32 v[46:47], v16 offset0:192 offset1:208
	;; [unrolled: 1-line block ×3, first 2 shown]
	s_waitcnt lgkmcnt(9)
	v_pk_fma_f32 v[2:3], v[34:35], v[18:19], v[2:3] op_sel_hi:[1,0,1]
	v_mov_b32_e32 v12, v21
	s_waitcnt lgkmcnt(8)
	v_pk_fma_f32 v[2:3], v[36:37], v[18:19], v[2:3] op_sel:[0,1,0]
	s_waitcnt lgkmcnt(4)
	v_pk_fma_f32 v[0:1], v[34:35], v[26:27], v[0:1] op_sel_hi:[1,0,1]
	v_pk_fma_f32 v[2:3], v[38:39], v[20:21], v[2:3] op_sel_hi:[1,0,1]
	v_pk_fma_f32 v[0:1], v[36:37], v[26:27], v[0:1] op_sel:[0,1,0]
	v_pk_fma_f32 v[2:3], v[40:41], v[12:13], v[2:3] op_sel_hi:[1,0,1]
	v_mov_b32_e32 v12, v25
	v_pk_fma_f32 v[2:3], v[42:43], v[22:23], v[2:3] op_sel_hi:[1,0,1]
	v_pk_fma_f32 v[0:1], v[38:39], v[28:29], v[0:1] op_sel_hi:[1,0,1]
	s_waitcnt lgkmcnt(2)
	v_pk_fma_f32 v[2:3], v[44:45], v[22:23], v[2:3] op_sel:[0,1,0]
	s_add_u32 s6, s6, 8
	s_waitcnt lgkmcnt(1)
	v_pk_fma_f32 v[2:3], v[46:47], v[24:25], v[2:3] op_sel_hi:[1,0,1]
	s_addc_u32 s7, s7, 0
	s_waitcnt lgkmcnt(0)
	v_pk_fma_f32 v[2:3], v[48:49], v[12:13], v[2:3] op_sel_hi:[1,0,1]
	v_mov_b32_e32 v12, v29
	v_pk_fma_f32 v[0:1], v[40:41], v[12:13], v[0:1] op_sel_hi:[1,0,1]
	v_mov_b64_e32 v[18:19], s[6:7]
	v_pk_fma_f32 v[0:1], v[42:43], v[30:31], v[0:1] op_sel_hi:[1,0,1]
	v_mov_b32_e32 v12, v33
	v_pk_fma_f32 v[0:1], v[44:45], v[30:31], v[0:1] op_sel:[0,1,0]
	v_cmp_gt_i64_e32 vcc, s[8:9], v[18:19]
	v_pk_fma_f32 v[0:1], v[46:47], v[32:33], v[0:1] op_sel_hi:[1,0,1]
	s_nop 0
	v_pk_fma_f32 v[0:1], v[48:49], v[12:13], v[0:1] op_sel_hi:[1,0,1]
	s_barrier
	s_cbranch_vccz .LBB156_12
.LBB156_6:                              ; =>This Inner Loop Header: Depth=1
	v_mov_b32_e32 v18, 0
	s_and_saveexec_b64 s[10:11], s[0:1]
	s_cbranch_execz .LBB156_10
; %bb.7:                                ;   in Loop: Header=BB156_6 Depth=1
	v_add_u32_e32 v12, s6, v6
	v_cmp_gt_u64_e32 vcc, s[8:9], v[12:13]
	v_mov_b32_e32 v18, 0
	s_and_saveexec_b64 s[12:13], vcc
	s_cbranch_execz .LBB156_9
; %bb.8:                                ;   in Loop: Header=BB156_6 Depth=1
	v_lshl_add_u64 v[18:19], v[12:13], 2, v[8:9]
	global_load_dword v18, v[18:19], off
.LBB156_9:                              ;   in Loop: Header=BB156_6 Depth=1
	s_or_b64 exec, exec, s[12:13]
.LBB156_10:                             ;   in Loop: Header=BB156_6 Depth=1
	s_or_b64 exec, exec, s[10:11]
	v_add_u32_e32 v12, s6, v4
	v_cmp_gt_u64_e32 vcc, s[8:9], v[12:13]
	s_waitcnt vmcnt(0)
	ds_write_b32 v14, v18
	s_and_b64 s[12:13], vcc, s[2:3]
	v_mov_b32_e32 v18, 0
	s_and_saveexec_b64 s[10:11], s[12:13]
	s_cbranch_execz .LBB156_5
; %bb.11:                               ;   in Loop: Header=BB156_6 Depth=1
	v_lshl_add_u64 v[18:19], v[12:13], 2, v[10:11]
	global_load_dword v18, v[18:19], off
	s_branch .LBB156_5
.LBB156_12:
	s_mul_i32 s0, s31, s4
	s_mul_hi_u32 s1, s30, s4
	s_add_i32 s1, s1, s0
	s_mul_i32 s0, s30, s4
	s_lshl_b64 s[0:1], s[0:1], 2
	v_add_u32_e32 v10, s25, v7
	s_add_u32 s6, s26, s0
	v_add_u32_e32 v4, s5, v5
	v_ashrrev_i32_e32 v5, 31, v10
	s_addc_u32 s7, s27, s1
	v_mul_lo_u32 v5, s28, v5
	v_mul_lo_u32 v8, s29, v10
	v_mad_u64_u32 v[6:7], s[0:1], s28, v10, 0
	v_add3_u32 v7, v7, v5, v8
	v_cmp_neq_f32_e64 s[0:1], s33, 0
	v_lshl_add_u64 v[8:9], v[6:7], 2, s[6:7]
	v_cmp_le_i32_e32 vcc, v10, v4
	s_waitcnt lgkmcnt(0)
	v_cmp_gt_i32_e64 s[2:3], s24, v4
	v_cndmask_b32_e64 v6, 0, 1, s[0:1]
	s_and_b64 s[8:9], vcc, s[2:3]
	v_ashrrev_i32_e32 v5, 31, v4
	v_cmp_ne_u32_e64 s[0:1], 1, v6
	s_and_saveexec_b64 s[4:5], s[8:9]
	s_cbranch_execz .LBB156_16
; %bb.13:
	v_mul_f32_e32 v2, s34, v2
	s_and_b64 vcc, exec, s[0:1]
	v_lshl_add_u64 v[6:7], v[4:5], 2, v[8:9]
	s_cbranch_vccnz .LBB156_15
; %bb.14:
	global_load_dword v11, v[6:7], off
	s_waitcnt vmcnt(0)
	v_fmac_f32_e32 v2, s33, v11
.LBB156_15:
	global_store_dword v[6:7], v2, off
.LBB156_16:
	s_or_b64 exec, exec, s[4:5]
	v_add_u32_e32 v6, 16, v4
	v_cmp_le_i32_e32 vcc, v10, v6
	v_cmp_gt_i32_e64 s[4:5], s24, v6
	s_and_b64 s[10:11], vcc, s[4:5]
	v_ashrrev_i32_e32 v7, 31, v6
	s_and_saveexec_b64 s[8:9], s[10:11]
	s_cbranch_execz .LBB156_20
; %bb.17:
	v_mul_f32_e32 v11, s34, v3
	s_and_b64 vcc, exec, s[0:1]
	v_lshl_add_u64 v[2:3], v[6:7], 2, v[8:9]
	s_cbranch_vccnz .LBB156_19
; %bb.18:
	global_load_dword v8, v[2:3], off
	s_waitcnt vmcnt(0)
	v_fmac_f32_e32 v11, s33, v8
.LBB156_19:
	global_store_dword v[2:3], v11, off
.LBB156_20:
	s_or_b64 exec, exec, s[8:9]
	v_add_u32_e32 v8, 16, v10
	v_ashrrev_i32_e32 v2, 31, v8
	v_mul_lo_u32 v9, s28, v2
	v_mul_lo_u32 v10, s29, v8
	v_mad_u64_u32 v[2:3], s[8:9], s28, v8, 0
	v_add3_u32 v3, v3, v9, v10
	v_cmp_le_i32_e32 vcc, v8, v4
	v_lshl_add_u64 v[2:3], v[2:3], 2, s[6:7]
	s_and_b64 s[6:7], vcc, s[2:3]
	s_and_saveexec_b64 s[2:3], s[6:7]
	s_cbranch_execz .LBB156_24
; %bb.21:
	v_mul_f32_e32 v0, s34, v0
	s_and_b64 vcc, exec, s[0:1]
	v_lshl_add_u64 v[4:5], v[4:5], 2, v[2:3]
	s_cbranch_vccnz .LBB156_23
; %bb.22:
	global_load_dword v9, v[4:5], off
	s_waitcnt vmcnt(0)
	v_fmac_f32_e32 v0, s33, v9
.LBB156_23:
	global_store_dword v[4:5], v0, off
.LBB156_24:
	s_or_b64 exec, exec, s[2:3]
	v_cmp_le_i32_e32 vcc, v8, v6
	s_and_b64 s[2:3], vcc, s[4:5]
	s_and_saveexec_b64 s[4:5], s[2:3]
	s_cbranch_execz .LBB156_28
; %bb.25:
	v_mul_f32_e32 v4, s34, v1
	s_and_b64 vcc, exec, s[0:1]
	v_lshl_add_u64 v[0:1], v[6:7], 2, v[2:3]
	s_cbranch_vccnz .LBB156_27
; %bb.26:
	global_load_dword v2, v[0:1], off
	s_waitcnt vmcnt(0)
	v_fmac_f32_e32 v4, s33, v2
.LBB156_27:
	global_store_dword v[0:1], v4, off
.LBB156_28:
	s_endpgm
	.section	.rodata,"a",@progbits
	.p2align	6, 0x0
	.amdhsa_kernel _ZL29rocblas_internal_gemmt_kernelIlLi16ELi32ELi8ELc84ELc78ELc76ELb0ELb0EfPKfS1_PfEviT_T9_T10_S3_lS5_S3_lS4_T11_S3_li
		.amdhsa_group_segment_fixed_size 2048
		.amdhsa_private_segment_fixed_size 0
		.amdhsa_kernarg_size 108
		.amdhsa_user_sgpr_count 2
		.amdhsa_user_sgpr_dispatch_ptr 0
		.amdhsa_user_sgpr_queue_ptr 0
		.amdhsa_user_sgpr_kernarg_segment_ptr 1
		.amdhsa_user_sgpr_dispatch_id 0
		.amdhsa_user_sgpr_kernarg_preload_length 0
		.amdhsa_user_sgpr_kernarg_preload_offset 0
		.amdhsa_user_sgpr_private_segment_size 0
		.amdhsa_uses_dynamic_stack 0
		.amdhsa_enable_private_segment 0
		.amdhsa_system_sgpr_workgroup_id_x 1
		.amdhsa_system_sgpr_workgroup_id_y 1
		.amdhsa_system_sgpr_workgroup_id_z 1
		.amdhsa_system_sgpr_workgroup_info 0
		.amdhsa_system_vgpr_workitem_id 1
		.amdhsa_next_free_vgpr 50
		.amdhsa_next_free_sgpr 35
		.amdhsa_accum_offset 52
		.amdhsa_reserve_vcc 1
		.amdhsa_float_round_mode_32 0
		.amdhsa_float_round_mode_16_64 0
		.amdhsa_float_denorm_mode_32 3
		.amdhsa_float_denorm_mode_16_64 3
		.amdhsa_dx10_clamp 1
		.amdhsa_ieee_mode 1
		.amdhsa_fp16_overflow 0
		.amdhsa_tg_split 0
		.amdhsa_exception_fp_ieee_invalid_op 0
		.amdhsa_exception_fp_denorm_src 0
		.amdhsa_exception_fp_ieee_div_zero 0
		.amdhsa_exception_fp_ieee_overflow 0
		.amdhsa_exception_fp_ieee_underflow 0
		.amdhsa_exception_fp_ieee_inexact 0
		.amdhsa_exception_int_div_zero 0
	.end_amdhsa_kernel
	.section	.text._ZL29rocblas_internal_gemmt_kernelIlLi16ELi32ELi8ELc84ELc78ELc76ELb0ELb0EfPKfS1_PfEviT_T9_T10_S3_lS5_S3_lS4_T11_S3_li,"axG",@progbits,_ZL29rocblas_internal_gemmt_kernelIlLi16ELi32ELi8ELc84ELc78ELc76ELb0ELb0EfPKfS1_PfEviT_T9_T10_S3_lS5_S3_lS4_T11_S3_li,comdat
.Lfunc_end156:
	.size	_ZL29rocblas_internal_gemmt_kernelIlLi16ELi32ELi8ELc84ELc78ELc76ELb0ELb0EfPKfS1_PfEviT_T9_T10_S3_lS5_S3_lS4_T11_S3_li, .Lfunc_end156-_ZL29rocblas_internal_gemmt_kernelIlLi16ELi32ELi8ELc84ELc78ELc76ELb0ELb0EfPKfS1_PfEviT_T9_T10_S3_lS5_S3_lS4_T11_S3_li
                                        ; -- End function
	.set _ZL29rocblas_internal_gemmt_kernelIlLi16ELi32ELi8ELc84ELc78ELc76ELb0ELb0EfPKfS1_PfEviT_T9_T10_S3_lS5_S3_lS4_T11_S3_li.num_vgpr, 50
	.set _ZL29rocblas_internal_gemmt_kernelIlLi16ELi32ELi8ELc84ELc78ELc76ELb0ELb0EfPKfS1_PfEviT_T9_T10_S3_lS5_S3_lS4_T11_S3_li.num_agpr, 0
	.set _ZL29rocblas_internal_gemmt_kernelIlLi16ELi32ELi8ELc84ELc78ELc76ELb0ELb0EfPKfS1_PfEviT_T9_T10_S3_lS5_S3_lS4_T11_S3_li.numbered_sgpr, 35
	.set _ZL29rocblas_internal_gemmt_kernelIlLi16ELi32ELi8ELc84ELc78ELc76ELb0ELb0EfPKfS1_PfEviT_T9_T10_S3_lS5_S3_lS4_T11_S3_li.num_named_barrier, 0
	.set _ZL29rocblas_internal_gemmt_kernelIlLi16ELi32ELi8ELc84ELc78ELc76ELb0ELb0EfPKfS1_PfEviT_T9_T10_S3_lS5_S3_lS4_T11_S3_li.private_seg_size, 0
	.set _ZL29rocblas_internal_gemmt_kernelIlLi16ELi32ELi8ELc84ELc78ELc76ELb0ELb0EfPKfS1_PfEviT_T9_T10_S3_lS5_S3_lS4_T11_S3_li.uses_vcc, 1
	.set _ZL29rocblas_internal_gemmt_kernelIlLi16ELi32ELi8ELc84ELc78ELc76ELb0ELb0EfPKfS1_PfEviT_T9_T10_S3_lS5_S3_lS4_T11_S3_li.uses_flat_scratch, 0
	.set _ZL29rocblas_internal_gemmt_kernelIlLi16ELi32ELi8ELc84ELc78ELc76ELb0ELb0EfPKfS1_PfEviT_T9_T10_S3_lS5_S3_lS4_T11_S3_li.has_dyn_sized_stack, 0
	.set _ZL29rocblas_internal_gemmt_kernelIlLi16ELi32ELi8ELc84ELc78ELc76ELb0ELb0EfPKfS1_PfEviT_T9_T10_S3_lS5_S3_lS4_T11_S3_li.has_recursion, 0
	.set _ZL29rocblas_internal_gemmt_kernelIlLi16ELi32ELi8ELc84ELc78ELc76ELb0ELb0EfPKfS1_PfEviT_T9_T10_S3_lS5_S3_lS4_T11_S3_li.has_indirect_call, 0
	.section	.AMDGPU.csdata,"",@progbits
; Kernel info:
; codeLenInByte = 1300
; TotalNumSgprs: 41
; NumVgprs: 50
; NumAgprs: 0
; TotalNumVgprs: 50
; ScratchSize: 0
; MemoryBound: 0
; FloatMode: 240
; IeeeMode: 1
; LDSByteSize: 2048 bytes/workgroup (compile time only)
; SGPRBlocks: 5
; VGPRBlocks: 6
; NumSGPRsForWavesPerEU: 41
; NumVGPRsForWavesPerEU: 50
; AccumOffset: 52
; Occupancy: 8
; WaveLimiterHint : 0
; COMPUTE_PGM_RSRC2:SCRATCH_EN: 0
; COMPUTE_PGM_RSRC2:USER_SGPR: 2
; COMPUTE_PGM_RSRC2:TRAP_HANDLER: 0
; COMPUTE_PGM_RSRC2:TGID_X_EN: 1
; COMPUTE_PGM_RSRC2:TGID_Y_EN: 1
; COMPUTE_PGM_RSRC2:TGID_Z_EN: 1
; COMPUTE_PGM_RSRC2:TIDIG_COMP_CNT: 1
; COMPUTE_PGM_RSRC3_GFX90A:ACCUM_OFFSET: 12
; COMPUTE_PGM_RSRC3_GFX90A:TG_SPLIT: 0
	.section	.text._ZL29rocblas_internal_gemmt_kernelIlLi16ELi32ELi8ELc84ELc84ELc76ELb0ELb0EfPKfS1_PfEviT_T9_T10_S3_lS5_S3_lS4_T11_S3_li,"axG",@progbits,_ZL29rocblas_internal_gemmt_kernelIlLi16ELi32ELi8ELc84ELc84ELc76ELb0ELb0EfPKfS1_PfEviT_T9_T10_S3_lS5_S3_lS4_T11_S3_li,comdat
	.globl	_ZL29rocblas_internal_gemmt_kernelIlLi16ELi32ELi8ELc84ELc84ELc76ELb0ELb0EfPKfS1_PfEviT_T9_T10_S3_lS5_S3_lS4_T11_S3_li ; -- Begin function _ZL29rocblas_internal_gemmt_kernelIlLi16ELi32ELi8ELc84ELc84ELc76ELb0ELb0EfPKfS1_PfEviT_T9_T10_S3_lS5_S3_lS4_T11_S3_li
	.p2align	8
	.type	_ZL29rocblas_internal_gemmt_kernelIlLi16ELi32ELi8ELc84ELc84ELc76ELb0ELb0EfPKfS1_PfEviT_T9_T10_S3_lS5_S3_lS4_T11_S3_li,@function
_ZL29rocblas_internal_gemmt_kernelIlLi16ELi32ELi8ELc84ELc84ELc76ELb0ELb0EfPKfS1_PfEviT_T9_T10_S3_lS5_S3_lS4_T11_S3_li: ; @_ZL29rocblas_internal_gemmt_kernelIlLi16ELi32ELi8ELc84ELc84ELc76ELb0ELb0EfPKfS1_PfEviT_T9_T10_S3_lS5_S3_lS4_T11_S3_li
; %bb.0:
	s_load_dwordx8 s[24:31], s[0:1], 0x48
	s_load_dwordx16 s[8:23], s[0:1], 0x8
	s_waitcnt lgkmcnt(0)
	s_load_dword s33, s[24:25], 0x0
	s_load_dword s34, s[10:11], 0x0
	s_waitcnt lgkmcnt(0)
	v_cmp_neq_f32_e64 s[6:7], s33, 1.0
	s_and_b64 vcc, exec, s[6:7]
	s_cbranch_vccnz .LBB157_2
; %bb.1:
	s_cmp_lg_u64 s[8:9], 0
	s_cselect_b64 s[6:7], -1, 0
	v_cmp_neq_f32_e64 s[10:11], s34, 0
	s_and_b64 s[6:7], s[6:7], s[10:11]
.LBB157_2:
	s_andn2_b64 vcc, exec, s[6:7]
	s_cbranch_vccnz .LBB157_28
; %bb.3:
	s_load_dword s24, s[0:1], 0x0
	s_lshl_b32 s5, s2, 5
	s_lshl_b32 s25, s3, 5
	v_cmp_eq_f32_e64 s[0:1], s34, 0
	v_cmp_lt_i64_e64 s[2:3], s[8:9], 1
	v_mov_b32_e32 v3, 0
	s_or_b64 s[0:1], s[0:1], s[2:3]
	v_and_b32_e32 v5, 0x3ff, v0
	v_bfe_u32 v7, v0, 10, 10
	s_and_b64 vcc, exec, s[0:1]
	v_mov_b32_e32 v2, v3
	v_mov_b32_e32 v1, v3
	;; [unrolled: 1-line block ×3, first 2 shown]
	s_cbranch_vccnz .LBB157_12
; %bb.4:
	s_mul_i32 s0, s23, s4
	s_mul_hi_u32 s1, s22, s4
	s_add_i32 s1, s1, s0
	s_mul_i32 s0, s22, s4
	s_lshl_b64 s[0:1], s[0:1], 2
	s_add_u32 s6, s18, s0
	s_addc_u32 s7, s19, s1
	s_mul_i32 s0, s17, s4
	s_mul_hi_u32 s1, s16, s4
	v_lshl_add_u32 v1, v7, 4, v5
	s_add_i32 s1, s1, s0
	s_mul_i32 s0, s16, s4
	v_lshrrev_b32_e32 v6, 5, v1
	v_lshrrev_b32_e32 v10, 3, v1
	v_and_b32_e32 v1, 31, v1
	s_lshl_b64 s[0:1], s[0:1], 2
	v_or_b32_e32 v2, s5, v1
	s_add_u32 s2, s12, s0
	v_lshlrev_b32_e32 v1, 2, v1
	s_addc_u32 s3, s13, s1
	s_waitcnt lgkmcnt(0)
	v_cmp_gt_i32_e64 s[0:1], s24, v2
	v_lshl_or_b32 v14, v6, 7, v1
	s_ashr_i32 s12, s5, 31
	v_mul_lo_u32 v1, s15, v2
	v_mad_u64_u32 v[2:3], s[10:11], s14, v2, 0
	v_and_b32_e32 v4, 7, v5
	s_mul_i32 s10, s14, s12
	v_add3_u32 v3, v3, s10, v1
	v_lshlrev_b32_e32 v1, 2, v4
	v_add_u32_e32 v0, s25, v10
	v_lshl_or_b32 v1, v10, 5, v1
	v_add_u32_e32 v15, 0x400, v1
	v_ashrrev_i32_e32 v1, 31, v0
	v_lshl_add_u64 v[8:9], v[2:3], 2, s[2:3]
	v_cmp_gt_i32_e64 s[2:3], s24, v0
	v_lshl_add_u64 v[10:11], v[0:1], 2, s[6:7]
	v_mov_b32_e32 v0, 0x400
	v_mov_b32_e32 v13, 0
	v_lshlrev_b32_e32 v16, 2, v5
	v_lshl_add_u32 v17, v7, 5, v0
	s_mov_b64 s[6:7], 0
	v_mov_b32_e32 v0, v13
	v_mov_b32_e32 v1, v13
	;; [unrolled: 1-line block ×4, first 2 shown]
	s_branch .LBB157_6
.LBB157_5:                              ;   in Loop: Header=BB157_6 Depth=1
	s_or_b64 exec, exec, s[10:11]
	s_waitcnt vmcnt(0)
	ds_write_b32 v15, v18
	s_waitcnt lgkmcnt(0)
	s_barrier
	ds_read_b128 v[18:21], v17
	ds_read_b128 v[22:25], v17 offset:16
	ds_read2_b32 v[34:35], v16 offset1:16
	ds_read2_b32 v[36:37], v16 offset0:32 offset1:48
	ds_read2_b32 v[38:39], v16 offset0:64 offset1:80
	;; [unrolled: 1-line block ×4, first 2 shown]
	ds_read_b128 v[26:29], v17 offset:512
	ds_read_b128 v[30:33], v17 offset:528
	ds_read2_b32 v[44:45], v16 offset0:160 offset1:176
	ds_read2_b32 v[46:47], v16 offset0:192 offset1:208
	;; [unrolled: 1-line block ×3, first 2 shown]
	s_waitcnt lgkmcnt(9)
	v_pk_fma_f32 v[2:3], v[34:35], v[18:19], v[2:3] op_sel_hi:[1,0,1]
	v_mov_b32_e32 v12, v21
	s_waitcnt lgkmcnt(8)
	v_pk_fma_f32 v[2:3], v[36:37], v[18:19], v[2:3] op_sel:[0,1,0]
	s_waitcnt lgkmcnt(4)
	v_pk_fma_f32 v[0:1], v[34:35], v[26:27], v[0:1] op_sel_hi:[1,0,1]
	v_pk_fma_f32 v[2:3], v[38:39], v[20:21], v[2:3] op_sel_hi:[1,0,1]
	v_pk_fma_f32 v[0:1], v[36:37], v[26:27], v[0:1] op_sel:[0,1,0]
	v_pk_fma_f32 v[2:3], v[40:41], v[12:13], v[2:3] op_sel_hi:[1,0,1]
	v_mov_b32_e32 v12, v25
	v_pk_fma_f32 v[2:3], v[42:43], v[22:23], v[2:3] op_sel_hi:[1,0,1]
	v_pk_fma_f32 v[0:1], v[38:39], v[28:29], v[0:1] op_sel_hi:[1,0,1]
	s_waitcnt lgkmcnt(2)
	v_pk_fma_f32 v[2:3], v[44:45], v[22:23], v[2:3] op_sel:[0,1,0]
	s_add_u32 s6, s6, 8
	s_waitcnt lgkmcnt(1)
	v_pk_fma_f32 v[2:3], v[46:47], v[24:25], v[2:3] op_sel_hi:[1,0,1]
	s_addc_u32 s7, s7, 0
	s_waitcnt lgkmcnt(0)
	v_pk_fma_f32 v[2:3], v[48:49], v[12:13], v[2:3] op_sel_hi:[1,0,1]
	v_mov_b32_e32 v12, v29
	v_pk_fma_f32 v[0:1], v[40:41], v[12:13], v[0:1] op_sel_hi:[1,0,1]
	v_mov_b64_e32 v[18:19], s[6:7]
	v_pk_fma_f32 v[0:1], v[42:43], v[30:31], v[0:1] op_sel_hi:[1,0,1]
	v_mov_b32_e32 v12, v33
	v_pk_fma_f32 v[0:1], v[44:45], v[30:31], v[0:1] op_sel:[0,1,0]
	v_cmp_gt_i64_e32 vcc, s[8:9], v[18:19]
	v_pk_fma_f32 v[0:1], v[46:47], v[32:33], v[0:1] op_sel_hi:[1,0,1]
	s_nop 0
	v_pk_fma_f32 v[0:1], v[48:49], v[12:13], v[0:1] op_sel_hi:[1,0,1]
	s_barrier
	s_cbranch_vccz .LBB157_12
.LBB157_6:                              ; =>This Inner Loop Header: Depth=1
	v_mov_b32_e32 v18, 0
	s_and_saveexec_b64 s[10:11], s[0:1]
	s_cbranch_execz .LBB157_10
; %bb.7:                                ;   in Loop: Header=BB157_6 Depth=1
	v_add_u32_e32 v12, s6, v6
	v_cmp_gt_u64_e32 vcc, s[8:9], v[12:13]
	v_mov_b32_e32 v18, 0
	s_and_saveexec_b64 s[12:13], vcc
	s_cbranch_execz .LBB157_9
; %bb.8:                                ;   in Loop: Header=BB157_6 Depth=1
	v_lshl_add_u64 v[18:19], v[12:13], 2, v[8:9]
	global_load_dword v18, v[18:19], off
.LBB157_9:                              ;   in Loop: Header=BB157_6 Depth=1
	s_or_b64 exec, exec, s[12:13]
.LBB157_10:                             ;   in Loop: Header=BB157_6 Depth=1
	s_or_b64 exec, exec, s[10:11]
	v_add_u32_e32 v12, s6, v4
	v_cmp_gt_u64_e32 vcc, s[8:9], v[12:13]
	s_waitcnt vmcnt(0)
	ds_write_b32 v14, v18
	s_and_b64 s[12:13], vcc, s[2:3]
	v_mov_b32_e32 v18, 0
	s_and_saveexec_b64 s[10:11], s[12:13]
	s_cbranch_execz .LBB157_5
; %bb.11:                               ;   in Loop: Header=BB157_6 Depth=1
	v_mad_u64_u32 v[18:19], s[12:13], s20, v12, 0
	v_mov_b32_e32 v20, v19
	v_mad_u64_u32 v[20:21], s[12:13], s21, v12, v[20:21]
	v_mov_b32_e32 v19, v20
	v_lshl_add_u64 v[18:19], v[18:19], 2, v[10:11]
	global_load_dword v18, v[18:19], off
	s_branch .LBB157_5
.LBB157_12:
	s_mul_i32 s0, s31, s4
	s_mul_hi_u32 s1, s30, s4
	s_add_i32 s1, s1, s0
	s_mul_i32 s0, s30, s4
	s_lshl_b64 s[0:1], s[0:1], 2
	v_add_u32_e32 v10, s25, v7
	s_add_u32 s6, s26, s0
	v_add_u32_e32 v4, s5, v5
	v_ashrrev_i32_e32 v5, 31, v10
	s_addc_u32 s7, s27, s1
	v_mul_lo_u32 v5, s28, v5
	v_mul_lo_u32 v8, s29, v10
	v_mad_u64_u32 v[6:7], s[0:1], s28, v10, 0
	v_add3_u32 v7, v7, v5, v8
	v_cmp_neq_f32_e64 s[0:1], s33, 0
	v_lshl_add_u64 v[8:9], v[6:7], 2, s[6:7]
	v_cmp_le_i32_e32 vcc, v10, v4
	s_waitcnt lgkmcnt(0)
	v_cmp_gt_i32_e64 s[2:3], s24, v4
	v_cndmask_b32_e64 v6, 0, 1, s[0:1]
	s_and_b64 s[8:9], vcc, s[2:3]
	v_ashrrev_i32_e32 v5, 31, v4
	v_cmp_ne_u32_e64 s[0:1], 1, v6
	s_and_saveexec_b64 s[4:5], s[8:9]
	s_cbranch_execz .LBB157_16
; %bb.13:
	v_mul_f32_e32 v2, s34, v2
	s_and_b64 vcc, exec, s[0:1]
	v_lshl_add_u64 v[6:7], v[4:5], 2, v[8:9]
	s_cbranch_vccnz .LBB157_15
; %bb.14:
	global_load_dword v11, v[6:7], off
	s_waitcnt vmcnt(0)
	v_fmac_f32_e32 v2, s33, v11
.LBB157_15:
	global_store_dword v[6:7], v2, off
.LBB157_16:
	s_or_b64 exec, exec, s[4:5]
	v_add_u32_e32 v6, 16, v4
	v_cmp_le_i32_e32 vcc, v10, v6
	v_cmp_gt_i32_e64 s[4:5], s24, v6
	s_and_b64 s[10:11], vcc, s[4:5]
	v_ashrrev_i32_e32 v7, 31, v6
	s_and_saveexec_b64 s[8:9], s[10:11]
	s_cbranch_execz .LBB157_20
; %bb.17:
	v_mul_f32_e32 v11, s34, v3
	s_and_b64 vcc, exec, s[0:1]
	v_lshl_add_u64 v[2:3], v[6:7], 2, v[8:9]
	s_cbranch_vccnz .LBB157_19
; %bb.18:
	global_load_dword v8, v[2:3], off
	s_waitcnt vmcnt(0)
	v_fmac_f32_e32 v11, s33, v8
.LBB157_19:
	global_store_dword v[2:3], v11, off
.LBB157_20:
	s_or_b64 exec, exec, s[8:9]
	v_add_u32_e32 v8, 16, v10
	v_ashrrev_i32_e32 v2, 31, v8
	v_mul_lo_u32 v9, s28, v2
	v_mul_lo_u32 v10, s29, v8
	v_mad_u64_u32 v[2:3], s[8:9], s28, v8, 0
	v_add3_u32 v3, v3, v9, v10
	v_cmp_le_i32_e32 vcc, v8, v4
	v_lshl_add_u64 v[2:3], v[2:3], 2, s[6:7]
	s_and_b64 s[6:7], vcc, s[2:3]
	s_and_saveexec_b64 s[2:3], s[6:7]
	s_cbranch_execz .LBB157_24
; %bb.21:
	v_mul_f32_e32 v0, s34, v0
	s_and_b64 vcc, exec, s[0:1]
	v_lshl_add_u64 v[4:5], v[4:5], 2, v[2:3]
	s_cbranch_vccnz .LBB157_23
; %bb.22:
	global_load_dword v9, v[4:5], off
	s_waitcnt vmcnt(0)
	v_fmac_f32_e32 v0, s33, v9
.LBB157_23:
	global_store_dword v[4:5], v0, off
.LBB157_24:
	s_or_b64 exec, exec, s[2:3]
	v_cmp_le_i32_e32 vcc, v8, v6
	s_and_b64 s[2:3], vcc, s[4:5]
	s_and_saveexec_b64 s[4:5], s[2:3]
	s_cbranch_execz .LBB157_28
; %bb.25:
	v_mul_f32_e32 v4, s34, v1
	s_and_b64 vcc, exec, s[0:1]
	v_lshl_add_u64 v[0:1], v[6:7], 2, v[2:3]
	s_cbranch_vccnz .LBB157_27
; %bb.26:
	global_load_dword v2, v[0:1], off
	s_waitcnt vmcnt(0)
	v_fmac_f32_e32 v4, s33, v2
.LBB157_27:
	global_store_dword v[0:1], v4, off
.LBB157_28:
	s_endpgm
	.section	.rodata,"a",@progbits
	.p2align	6, 0x0
	.amdhsa_kernel _ZL29rocblas_internal_gemmt_kernelIlLi16ELi32ELi8ELc84ELc84ELc76ELb0ELb0EfPKfS1_PfEviT_T9_T10_S3_lS5_S3_lS4_T11_S3_li
		.amdhsa_group_segment_fixed_size 2048
		.amdhsa_private_segment_fixed_size 0
		.amdhsa_kernarg_size 108
		.amdhsa_user_sgpr_count 2
		.amdhsa_user_sgpr_dispatch_ptr 0
		.amdhsa_user_sgpr_queue_ptr 0
		.amdhsa_user_sgpr_kernarg_segment_ptr 1
		.amdhsa_user_sgpr_dispatch_id 0
		.amdhsa_user_sgpr_kernarg_preload_length 0
		.amdhsa_user_sgpr_kernarg_preload_offset 0
		.amdhsa_user_sgpr_private_segment_size 0
		.amdhsa_uses_dynamic_stack 0
		.amdhsa_enable_private_segment 0
		.amdhsa_system_sgpr_workgroup_id_x 1
		.amdhsa_system_sgpr_workgroup_id_y 1
		.amdhsa_system_sgpr_workgroup_id_z 1
		.amdhsa_system_sgpr_workgroup_info 0
		.amdhsa_system_vgpr_workitem_id 1
		.amdhsa_next_free_vgpr 50
		.amdhsa_next_free_sgpr 35
		.amdhsa_accum_offset 52
		.amdhsa_reserve_vcc 1
		.amdhsa_float_round_mode_32 0
		.amdhsa_float_round_mode_16_64 0
		.amdhsa_float_denorm_mode_32 3
		.amdhsa_float_denorm_mode_16_64 3
		.amdhsa_dx10_clamp 1
		.amdhsa_ieee_mode 1
		.amdhsa_fp16_overflow 0
		.amdhsa_tg_split 0
		.amdhsa_exception_fp_ieee_invalid_op 0
		.amdhsa_exception_fp_denorm_src 0
		.amdhsa_exception_fp_ieee_div_zero 0
		.amdhsa_exception_fp_ieee_overflow 0
		.amdhsa_exception_fp_ieee_underflow 0
		.amdhsa_exception_fp_ieee_inexact 0
		.amdhsa_exception_int_div_zero 0
	.end_amdhsa_kernel
	.section	.text._ZL29rocblas_internal_gemmt_kernelIlLi16ELi32ELi8ELc84ELc84ELc76ELb0ELb0EfPKfS1_PfEviT_T9_T10_S3_lS5_S3_lS4_T11_S3_li,"axG",@progbits,_ZL29rocblas_internal_gemmt_kernelIlLi16ELi32ELi8ELc84ELc84ELc76ELb0ELb0EfPKfS1_PfEviT_T9_T10_S3_lS5_S3_lS4_T11_S3_li,comdat
.Lfunc_end157:
	.size	_ZL29rocblas_internal_gemmt_kernelIlLi16ELi32ELi8ELc84ELc84ELc76ELb0ELb0EfPKfS1_PfEviT_T9_T10_S3_lS5_S3_lS4_T11_S3_li, .Lfunc_end157-_ZL29rocblas_internal_gemmt_kernelIlLi16ELi32ELi8ELc84ELc84ELc76ELb0ELb0EfPKfS1_PfEviT_T9_T10_S3_lS5_S3_lS4_T11_S3_li
                                        ; -- End function
	.set _ZL29rocblas_internal_gemmt_kernelIlLi16ELi32ELi8ELc84ELc84ELc76ELb0ELb0EfPKfS1_PfEviT_T9_T10_S3_lS5_S3_lS4_T11_S3_li.num_vgpr, 50
	.set _ZL29rocblas_internal_gemmt_kernelIlLi16ELi32ELi8ELc84ELc84ELc76ELb0ELb0EfPKfS1_PfEviT_T9_T10_S3_lS5_S3_lS4_T11_S3_li.num_agpr, 0
	.set _ZL29rocblas_internal_gemmt_kernelIlLi16ELi32ELi8ELc84ELc84ELc76ELb0ELb0EfPKfS1_PfEviT_T9_T10_S3_lS5_S3_lS4_T11_S3_li.numbered_sgpr, 35
	.set _ZL29rocblas_internal_gemmt_kernelIlLi16ELi32ELi8ELc84ELc84ELc76ELb0ELb0EfPKfS1_PfEviT_T9_T10_S3_lS5_S3_lS4_T11_S3_li.num_named_barrier, 0
	.set _ZL29rocblas_internal_gemmt_kernelIlLi16ELi32ELi8ELc84ELc84ELc76ELb0ELb0EfPKfS1_PfEviT_T9_T10_S3_lS5_S3_lS4_T11_S3_li.private_seg_size, 0
	.set _ZL29rocblas_internal_gemmt_kernelIlLi16ELi32ELi8ELc84ELc84ELc76ELb0ELb0EfPKfS1_PfEviT_T9_T10_S3_lS5_S3_lS4_T11_S3_li.uses_vcc, 1
	.set _ZL29rocblas_internal_gemmt_kernelIlLi16ELi32ELi8ELc84ELc84ELc76ELb0ELb0EfPKfS1_PfEviT_T9_T10_S3_lS5_S3_lS4_T11_S3_li.uses_flat_scratch, 0
	.set _ZL29rocblas_internal_gemmt_kernelIlLi16ELi32ELi8ELc84ELc84ELc76ELb0ELb0EfPKfS1_PfEviT_T9_T10_S3_lS5_S3_lS4_T11_S3_li.has_dyn_sized_stack, 0
	.set _ZL29rocblas_internal_gemmt_kernelIlLi16ELi32ELi8ELc84ELc84ELc76ELb0ELb0EfPKfS1_PfEviT_T9_T10_S3_lS5_S3_lS4_T11_S3_li.has_recursion, 0
	.set _ZL29rocblas_internal_gemmt_kernelIlLi16ELi32ELi8ELc84ELc84ELc76ELb0ELb0EfPKfS1_PfEviT_T9_T10_S3_lS5_S3_lS4_T11_S3_li.has_indirect_call, 0
	.section	.AMDGPU.csdata,"",@progbits
; Kernel info:
; codeLenInByte = 1292
; TotalNumSgprs: 41
; NumVgprs: 50
; NumAgprs: 0
; TotalNumVgprs: 50
; ScratchSize: 0
; MemoryBound: 0
; FloatMode: 240
; IeeeMode: 1
; LDSByteSize: 2048 bytes/workgroup (compile time only)
; SGPRBlocks: 5
; VGPRBlocks: 6
; NumSGPRsForWavesPerEU: 41
; NumVGPRsForWavesPerEU: 50
; AccumOffset: 52
; Occupancy: 8
; WaveLimiterHint : 0
; COMPUTE_PGM_RSRC2:SCRATCH_EN: 0
; COMPUTE_PGM_RSRC2:USER_SGPR: 2
; COMPUTE_PGM_RSRC2:TRAP_HANDLER: 0
; COMPUTE_PGM_RSRC2:TGID_X_EN: 1
; COMPUTE_PGM_RSRC2:TGID_Y_EN: 1
; COMPUTE_PGM_RSRC2:TGID_Z_EN: 1
; COMPUTE_PGM_RSRC2:TIDIG_COMP_CNT: 1
; COMPUTE_PGM_RSRC3_GFX90A:ACCUM_OFFSET: 12
; COMPUTE_PGM_RSRC3_GFX90A:TG_SPLIT: 0
	.section	.text._ZL29rocblas_internal_gemmt_kernelIlLi16ELi32ELi8ELc84ELc67ELc76ELb0ELb0EfPKfS1_PfEviT_T9_T10_S3_lS5_S3_lS4_T11_S3_li,"axG",@progbits,_ZL29rocblas_internal_gemmt_kernelIlLi16ELi32ELi8ELc84ELc67ELc76ELb0ELb0EfPKfS1_PfEviT_T9_T10_S3_lS5_S3_lS4_T11_S3_li,comdat
	.globl	_ZL29rocblas_internal_gemmt_kernelIlLi16ELi32ELi8ELc84ELc67ELc76ELb0ELb0EfPKfS1_PfEviT_T9_T10_S3_lS5_S3_lS4_T11_S3_li ; -- Begin function _ZL29rocblas_internal_gemmt_kernelIlLi16ELi32ELi8ELc84ELc67ELc76ELb0ELb0EfPKfS1_PfEviT_T9_T10_S3_lS5_S3_lS4_T11_S3_li
	.p2align	8
	.type	_ZL29rocblas_internal_gemmt_kernelIlLi16ELi32ELi8ELc84ELc67ELc76ELb0ELb0EfPKfS1_PfEviT_T9_T10_S3_lS5_S3_lS4_T11_S3_li,@function
_ZL29rocblas_internal_gemmt_kernelIlLi16ELi32ELi8ELc84ELc67ELc76ELb0ELb0EfPKfS1_PfEviT_T9_T10_S3_lS5_S3_lS4_T11_S3_li: ; @_ZL29rocblas_internal_gemmt_kernelIlLi16ELi32ELi8ELc84ELc67ELc76ELb0ELb0EfPKfS1_PfEviT_T9_T10_S3_lS5_S3_lS4_T11_S3_li
; %bb.0:
	s_load_dwordx8 s[24:31], s[0:1], 0x48
	s_load_dwordx16 s[8:23], s[0:1], 0x8
	s_waitcnt lgkmcnt(0)
	s_load_dword s33, s[24:25], 0x0
	s_load_dword s34, s[10:11], 0x0
	s_waitcnt lgkmcnt(0)
	v_cmp_neq_f32_e64 s[6:7], s33, 1.0
	s_and_b64 vcc, exec, s[6:7]
	s_cbranch_vccnz .LBB158_2
; %bb.1:
	s_cmp_lg_u64 s[8:9], 0
	s_cselect_b64 s[6:7], -1, 0
	v_cmp_neq_f32_e64 s[10:11], s34, 0
	s_and_b64 s[6:7], s[6:7], s[10:11]
.LBB158_2:
	s_andn2_b64 vcc, exec, s[6:7]
	s_cbranch_vccnz .LBB158_28
; %bb.3:
	s_load_dword s24, s[0:1], 0x0
	s_lshl_b32 s5, s2, 5
	s_lshl_b32 s25, s3, 5
	v_cmp_eq_f32_e64 s[0:1], s34, 0
	v_cmp_lt_i64_e64 s[2:3], s[8:9], 1
	v_mov_b32_e32 v3, 0
	s_or_b64 s[0:1], s[0:1], s[2:3]
	v_and_b32_e32 v5, 0x3ff, v0
	v_bfe_u32 v7, v0, 10, 10
	s_and_b64 vcc, exec, s[0:1]
	v_mov_b32_e32 v2, v3
	v_mov_b32_e32 v1, v3
	;; [unrolled: 1-line block ×3, first 2 shown]
	s_cbranch_vccnz .LBB158_12
; %bb.4:
	s_mul_i32 s0, s23, s4
	s_mul_hi_u32 s1, s22, s4
	s_add_i32 s1, s1, s0
	s_mul_i32 s0, s22, s4
	s_lshl_b64 s[0:1], s[0:1], 2
	s_add_u32 s6, s18, s0
	s_addc_u32 s7, s19, s1
	s_mul_i32 s0, s17, s4
	s_mul_hi_u32 s1, s16, s4
	v_lshl_add_u32 v1, v7, 4, v5
	s_add_i32 s1, s1, s0
	s_mul_i32 s0, s16, s4
	v_lshrrev_b32_e32 v6, 5, v1
	v_lshrrev_b32_e32 v10, 3, v1
	v_and_b32_e32 v1, 31, v1
	s_lshl_b64 s[0:1], s[0:1], 2
	v_or_b32_e32 v2, s5, v1
	s_add_u32 s2, s12, s0
	v_lshlrev_b32_e32 v1, 2, v1
	s_addc_u32 s3, s13, s1
	s_waitcnt lgkmcnt(0)
	v_cmp_gt_i32_e64 s[0:1], s24, v2
	v_lshl_or_b32 v14, v6, 7, v1
	s_ashr_i32 s12, s5, 31
	v_mul_lo_u32 v1, s15, v2
	v_mad_u64_u32 v[2:3], s[10:11], s14, v2, 0
	v_and_b32_e32 v4, 7, v5
	s_mul_i32 s10, s14, s12
	v_add3_u32 v3, v3, s10, v1
	v_lshlrev_b32_e32 v1, 2, v4
	v_add_u32_e32 v0, s25, v10
	v_lshl_or_b32 v1, v10, 5, v1
	v_add_u32_e32 v15, 0x400, v1
	v_ashrrev_i32_e32 v1, 31, v0
	v_lshl_add_u64 v[8:9], v[2:3], 2, s[2:3]
	v_cmp_gt_i32_e64 s[2:3], s24, v0
	v_lshl_add_u64 v[10:11], v[0:1], 2, s[6:7]
	v_mov_b32_e32 v0, 0x400
	v_mov_b32_e32 v13, 0
	v_lshlrev_b32_e32 v16, 2, v5
	v_lshl_add_u32 v17, v7, 5, v0
	s_mov_b64 s[6:7], 0
	v_mov_b32_e32 v0, v13
	v_mov_b32_e32 v1, v13
	;; [unrolled: 1-line block ×4, first 2 shown]
	s_branch .LBB158_6
.LBB158_5:                              ;   in Loop: Header=BB158_6 Depth=1
	s_or_b64 exec, exec, s[10:11]
	s_waitcnt vmcnt(0)
	ds_write_b32 v15, v18
	s_waitcnt lgkmcnt(0)
	s_barrier
	ds_read_b128 v[18:21], v17
	ds_read_b128 v[22:25], v17 offset:16
	ds_read2_b32 v[34:35], v16 offset1:16
	ds_read2_b32 v[36:37], v16 offset0:32 offset1:48
	ds_read2_b32 v[38:39], v16 offset0:64 offset1:80
	ds_read2_b32 v[40:41], v16 offset0:96 offset1:112
	ds_read2_b32 v[42:43], v16 offset0:128 offset1:144
	ds_read_b128 v[26:29], v17 offset:512
	ds_read_b128 v[30:33], v17 offset:528
	ds_read2_b32 v[44:45], v16 offset0:160 offset1:176
	ds_read2_b32 v[46:47], v16 offset0:192 offset1:208
	;; [unrolled: 1-line block ×3, first 2 shown]
	s_waitcnt lgkmcnt(9)
	v_pk_fma_f32 v[2:3], v[34:35], v[18:19], v[2:3] op_sel_hi:[1,0,1]
	v_mov_b32_e32 v12, v21
	s_waitcnt lgkmcnt(8)
	v_pk_fma_f32 v[2:3], v[36:37], v[18:19], v[2:3] op_sel:[0,1,0]
	s_waitcnt lgkmcnt(4)
	v_pk_fma_f32 v[0:1], v[34:35], v[26:27], v[0:1] op_sel_hi:[1,0,1]
	v_pk_fma_f32 v[2:3], v[38:39], v[20:21], v[2:3] op_sel_hi:[1,0,1]
	v_pk_fma_f32 v[0:1], v[36:37], v[26:27], v[0:1] op_sel:[0,1,0]
	v_pk_fma_f32 v[2:3], v[40:41], v[12:13], v[2:3] op_sel_hi:[1,0,1]
	v_mov_b32_e32 v12, v25
	v_pk_fma_f32 v[2:3], v[42:43], v[22:23], v[2:3] op_sel_hi:[1,0,1]
	v_pk_fma_f32 v[0:1], v[38:39], v[28:29], v[0:1] op_sel_hi:[1,0,1]
	s_waitcnt lgkmcnt(2)
	v_pk_fma_f32 v[2:3], v[44:45], v[22:23], v[2:3] op_sel:[0,1,0]
	s_add_u32 s6, s6, 8
	s_waitcnt lgkmcnt(1)
	v_pk_fma_f32 v[2:3], v[46:47], v[24:25], v[2:3] op_sel_hi:[1,0,1]
	s_addc_u32 s7, s7, 0
	s_waitcnt lgkmcnt(0)
	v_pk_fma_f32 v[2:3], v[48:49], v[12:13], v[2:3] op_sel_hi:[1,0,1]
	v_mov_b32_e32 v12, v29
	v_pk_fma_f32 v[0:1], v[40:41], v[12:13], v[0:1] op_sel_hi:[1,0,1]
	v_mov_b64_e32 v[18:19], s[6:7]
	v_pk_fma_f32 v[0:1], v[42:43], v[30:31], v[0:1] op_sel_hi:[1,0,1]
	v_mov_b32_e32 v12, v33
	v_pk_fma_f32 v[0:1], v[44:45], v[30:31], v[0:1] op_sel:[0,1,0]
	v_cmp_gt_i64_e32 vcc, s[8:9], v[18:19]
	v_pk_fma_f32 v[0:1], v[46:47], v[32:33], v[0:1] op_sel_hi:[1,0,1]
	s_nop 0
	v_pk_fma_f32 v[0:1], v[48:49], v[12:13], v[0:1] op_sel_hi:[1,0,1]
	s_barrier
	s_cbranch_vccz .LBB158_12
.LBB158_6:                              ; =>This Inner Loop Header: Depth=1
	v_mov_b32_e32 v18, 0
	s_and_saveexec_b64 s[10:11], s[0:1]
	s_cbranch_execz .LBB158_10
; %bb.7:                                ;   in Loop: Header=BB158_6 Depth=1
	v_add_u32_e32 v12, s6, v6
	v_cmp_gt_u64_e32 vcc, s[8:9], v[12:13]
	v_mov_b32_e32 v18, 0
	s_and_saveexec_b64 s[12:13], vcc
	s_cbranch_execz .LBB158_9
; %bb.8:                                ;   in Loop: Header=BB158_6 Depth=1
	v_lshl_add_u64 v[18:19], v[12:13], 2, v[8:9]
	global_load_dword v18, v[18:19], off
.LBB158_9:                              ;   in Loop: Header=BB158_6 Depth=1
	s_or_b64 exec, exec, s[12:13]
.LBB158_10:                             ;   in Loop: Header=BB158_6 Depth=1
	s_or_b64 exec, exec, s[10:11]
	v_add_u32_e32 v12, s6, v4
	v_cmp_gt_u64_e32 vcc, s[8:9], v[12:13]
	s_waitcnt vmcnt(0)
	ds_write_b32 v14, v18
	s_and_b64 s[12:13], vcc, s[2:3]
	v_mov_b32_e32 v18, 0
	s_and_saveexec_b64 s[10:11], s[12:13]
	s_cbranch_execz .LBB158_5
; %bb.11:                               ;   in Loop: Header=BB158_6 Depth=1
	v_mad_u64_u32 v[18:19], s[12:13], s20, v12, 0
	v_mov_b32_e32 v20, v19
	v_mad_u64_u32 v[20:21], s[12:13], s21, v12, v[20:21]
	v_mov_b32_e32 v19, v20
	v_lshl_add_u64 v[18:19], v[18:19], 2, v[10:11]
	global_load_dword v18, v[18:19], off
	s_branch .LBB158_5
.LBB158_12:
	s_mul_i32 s0, s31, s4
	s_mul_hi_u32 s1, s30, s4
	s_add_i32 s1, s1, s0
	s_mul_i32 s0, s30, s4
	s_lshl_b64 s[0:1], s[0:1], 2
	v_add_u32_e32 v10, s25, v7
	s_add_u32 s6, s26, s0
	v_add_u32_e32 v4, s5, v5
	v_ashrrev_i32_e32 v5, 31, v10
	s_addc_u32 s7, s27, s1
	v_mul_lo_u32 v5, s28, v5
	v_mul_lo_u32 v8, s29, v10
	v_mad_u64_u32 v[6:7], s[0:1], s28, v10, 0
	v_add3_u32 v7, v7, v5, v8
	v_cmp_neq_f32_e64 s[0:1], s33, 0
	v_lshl_add_u64 v[8:9], v[6:7], 2, s[6:7]
	v_cmp_le_i32_e32 vcc, v10, v4
	s_waitcnt lgkmcnt(0)
	v_cmp_gt_i32_e64 s[2:3], s24, v4
	v_cndmask_b32_e64 v6, 0, 1, s[0:1]
	s_and_b64 s[8:9], vcc, s[2:3]
	v_ashrrev_i32_e32 v5, 31, v4
	v_cmp_ne_u32_e64 s[0:1], 1, v6
	s_and_saveexec_b64 s[4:5], s[8:9]
	s_cbranch_execz .LBB158_16
; %bb.13:
	v_mul_f32_e32 v2, s34, v2
	s_and_b64 vcc, exec, s[0:1]
	v_lshl_add_u64 v[6:7], v[4:5], 2, v[8:9]
	s_cbranch_vccnz .LBB158_15
; %bb.14:
	global_load_dword v11, v[6:7], off
	s_waitcnt vmcnt(0)
	v_fmac_f32_e32 v2, s33, v11
.LBB158_15:
	global_store_dword v[6:7], v2, off
.LBB158_16:
	s_or_b64 exec, exec, s[4:5]
	v_add_u32_e32 v6, 16, v4
	v_cmp_le_i32_e32 vcc, v10, v6
	v_cmp_gt_i32_e64 s[4:5], s24, v6
	s_and_b64 s[10:11], vcc, s[4:5]
	v_ashrrev_i32_e32 v7, 31, v6
	s_and_saveexec_b64 s[8:9], s[10:11]
	s_cbranch_execz .LBB158_20
; %bb.17:
	v_mul_f32_e32 v11, s34, v3
	s_and_b64 vcc, exec, s[0:1]
	v_lshl_add_u64 v[2:3], v[6:7], 2, v[8:9]
	s_cbranch_vccnz .LBB158_19
; %bb.18:
	global_load_dword v8, v[2:3], off
	s_waitcnt vmcnt(0)
	v_fmac_f32_e32 v11, s33, v8
.LBB158_19:
	global_store_dword v[2:3], v11, off
.LBB158_20:
	s_or_b64 exec, exec, s[8:9]
	v_add_u32_e32 v8, 16, v10
	v_ashrrev_i32_e32 v2, 31, v8
	v_mul_lo_u32 v9, s28, v2
	v_mul_lo_u32 v10, s29, v8
	v_mad_u64_u32 v[2:3], s[8:9], s28, v8, 0
	v_add3_u32 v3, v3, v9, v10
	v_cmp_le_i32_e32 vcc, v8, v4
	v_lshl_add_u64 v[2:3], v[2:3], 2, s[6:7]
	s_and_b64 s[6:7], vcc, s[2:3]
	s_and_saveexec_b64 s[2:3], s[6:7]
	s_cbranch_execz .LBB158_24
; %bb.21:
	v_mul_f32_e32 v0, s34, v0
	s_and_b64 vcc, exec, s[0:1]
	v_lshl_add_u64 v[4:5], v[4:5], 2, v[2:3]
	s_cbranch_vccnz .LBB158_23
; %bb.22:
	global_load_dword v9, v[4:5], off
	s_waitcnt vmcnt(0)
	v_fmac_f32_e32 v0, s33, v9
.LBB158_23:
	global_store_dword v[4:5], v0, off
.LBB158_24:
	s_or_b64 exec, exec, s[2:3]
	v_cmp_le_i32_e32 vcc, v8, v6
	s_and_b64 s[2:3], vcc, s[4:5]
	s_and_saveexec_b64 s[4:5], s[2:3]
	s_cbranch_execz .LBB158_28
; %bb.25:
	v_mul_f32_e32 v4, s34, v1
	s_and_b64 vcc, exec, s[0:1]
	v_lshl_add_u64 v[0:1], v[6:7], 2, v[2:3]
	s_cbranch_vccnz .LBB158_27
; %bb.26:
	global_load_dword v2, v[0:1], off
	s_waitcnt vmcnt(0)
	v_fmac_f32_e32 v4, s33, v2
.LBB158_27:
	global_store_dword v[0:1], v4, off
.LBB158_28:
	s_endpgm
	.section	.rodata,"a",@progbits
	.p2align	6, 0x0
	.amdhsa_kernel _ZL29rocblas_internal_gemmt_kernelIlLi16ELi32ELi8ELc84ELc67ELc76ELb0ELb0EfPKfS1_PfEviT_T9_T10_S3_lS5_S3_lS4_T11_S3_li
		.amdhsa_group_segment_fixed_size 2048
		.amdhsa_private_segment_fixed_size 0
		.amdhsa_kernarg_size 108
		.amdhsa_user_sgpr_count 2
		.amdhsa_user_sgpr_dispatch_ptr 0
		.amdhsa_user_sgpr_queue_ptr 0
		.amdhsa_user_sgpr_kernarg_segment_ptr 1
		.amdhsa_user_sgpr_dispatch_id 0
		.amdhsa_user_sgpr_kernarg_preload_length 0
		.amdhsa_user_sgpr_kernarg_preload_offset 0
		.amdhsa_user_sgpr_private_segment_size 0
		.amdhsa_uses_dynamic_stack 0
		.amdhsa_enable_private_segment 0
		.amdhsa_system_sgpr_workgroup_id_x 1
		.amdhsa_system_sgpr_workgroup_id_y 1
		.amdhsa_system_sgpr_workgroup_id_z 1
		.amdhsa_system_sgpr_workgroup_info 0
		.amdhsa_system_vgpr_workitem_id 1
		.amdhsa_next_free_vgpr 50
		.amdhsa_next_free_sgpr 35
		.amdhsa_accum_offset 52
		.amdhsa_reserve_vcc 1
		.amdhsa_float_round_mode_32 0
		.amdhsa_float_round_mode_16_64 0
		.amdhsa_float_denorm_mode_32 3
		.amdhsa_float_denorm_mode_16_64 3
		.amdhsa_dx10_clamp 1
		.amdhsa_ieee_mode 1
		.amdhsa_fp16_overflow 0
		.amdhsa_tg_split 0
		.amdhsa_exception_fp_ieee_invalid_op 0
		.amdhsa_exception_fp_denorm_src 0
		.amdhsa_exception_fp_ieee_div_zero 0
		.amdhsa_exception_fp_ieee_overflow 0
		.amdhsa_exception_fp_ieee_underflow 0
		.amdhsa_exception_fp_ieee_inexact 0
		.amdhsa_exception_int_div_zero 0
	.end_amdhsa_kernel
	.section	.text._ZL29rocblas_internal_gemmt_kernelIlLi16ELi32ELi8ELc84ELc67ELc76ELb0ELb0EfPKfS1_PfEviT_T9_T10_S3_lS5_S3_lS4_T11_S3_li,"axG",@progbits,_ZL29rocblas_internal_gemmt_kernelIlLi16ELi32ELi8ELc84ELc67ELc76ELb0ELb0EfPKfS1_PfEviT_T9_T10_S3_lS5_S3_lS4_T11_S3_li,comdat
.Lfunc_end158:
	.size	_ZL29rocblas_internal_gemmt_kernelIlLi16ELi32ELi8ELc84ELc67ELc76ELb0ELb0EfPKfS1_PfEviT_T9_T10_S3_lS5_S3_lS4_T11_S3_li, .Lfunc_end158-_ZL29rocblas_internal_gemmt_kernelIlLi16ELi32ELi8ELc84ELc67ELc76ELb0ELb0EfPKfS1_PfEviT_T9_T10_S3_lS5_S3_lS4_T11_S3_li
                                        ; -- End function
	.set _ZL29rocblas_internal_gemmt_kernelIlLi16ELi32ELi8ELc84ELc67ELc76ELb0ELb0EfPKfS1_PfEviT_T9_T10_S3_lS5_S3_lS4_T11_S3_li.num_vgpr, 50
	.set _ZL29rocblas_internal_gemmt_kernelIlLi16ELi32ELi8ELc84ELc67ELc76ELb0ELb0EfPKfS1_PfEviT_T9_T10_S3_lS5_S3_lS4_T11_S3_li.num_agpr, 0
	.set _ZL29rocblas_internal_gemmt_kernelIlLi16ELi32ELi8ELc84ELc67ELc76ELb0ELb0EfPKfS1_PfEviT_T9_T10_S3_lS5_S3_lS4_T11_S3_li.numbered_sgpr, 35
	.set _ZL29rocblas_internal_gemmt_kernelIlLi16ELi32ELi8ELc84ELc67ELc76ELb0ELb0EfPKfS1_PfEviT_T9_T10_S3_lS5_S3_lS4_T11_S3_li.num_named_barrier, 0
	.set _ZL29rocblas_internal_gemmt_kernelIlLi16ELi32ELi8ELc84ELc67ELc76ELb0ELb0EfPKfS1_PfEviT_T9_T10_S3_lS5_S3_lS4_T11_S3_li.private_seg_size, 0
	.set _ZL29rocblas_internal_gemmt_kernelIlLi16ELi32ELi8ELc84ELc67ELc76ELb0ELb0EfPKfS1_PfEviT_T9_T10_S3_lS5_S3_lS4_T11_S3_li.uses_vcc, 1
	.set _ZL29rocblas_internal_gemmt_kernelIlLi16ELi32ELi8ELc84ELc67ELc76ELb0ELb0EfPKfS1_PfEviT_T9_T10_S3_lS5_S3_lS4_T11_S3_li.uses_flat_scratch, 0
	.set _ZL29rocblas_internal_gemmt_kernelIlLi16ELi32ELi8ELc84ELc67ELc76ELb0ELb0EfPKfS1_PfEviT_T9_T10_S3_lS5_S3_lS4_T11_S3_li.has_dyn_sized_stack, 0
	.set _ZL29rocblas_internal_gemmt_kernelIlLi16ELi32ELi8ELc84ELc67ELc76ELb0ELb0EfPKfS1_PfEviT_T9_T10_S3_lS5_S3_lS4_T11_S3_li.has_recursion, 0
	.set _ZL29rocblas_internal_gemmt_kernelIlLi16ELi32ELi8ELc84ELc67ELc76ELb0ELb0EfPKfS1_PfEviT_T9_T10_S3_lS5_S3_lS4_T11_S3_li.has_indirect_call, 0
	.section	.AMDGPU.csdata,"",@progbits
; Kernel info:
; codeLenInByte = 1292
; TotalNumSgprs: 41
; NumVgprs: 50
; NumAgprs: 0
; TotalNumVgprs: 50
; ScratchSize: 0
; MemoryBound: 0
; FloatMode: 240
; IeeeMode: 1
; LDSByteSize: 2048 bytes/workgroup (compile time only)
; SGPRBlocks: 5
; VGPRBlocks: 6
; NumSGPRsForWavesPerEU: 41
; NumVGPRsForWavesPerEU: 50
; AccumOffset: 52
; Occupancy: 8
; WaveLimiterHint : 0
; COMPUTE_PGM_RSRC2:SCRATCH_EN: 0
; COMPUTE_PGM_RSRC2:USER_SGPR: 2
; COMPUTE_PGM_RSRC2:TRAP_HANDLER: 0
; COMPUTE_PGM_RSRC2:TGID_X_EN: 1
; COMPUTE_PGM_RSRC2:TGID_Y_EN: 1
; COMPUTE_PGM_RSRC2:TGID_Z_EN: 1
; COMPUTE_PGM_RSRC2:TIDIG_COMP_CNT: 1
; COMPUTE_PGM_RSRC3_GFX90A:ACCUM_OFFSET: 12
; COMPUTE_PGM_RSRC3_GFX90A:TG_SPLIT: 0
	.section	.text._ZL29rocblas_internal_gemmt_kernelIlLi16ELi32ELi8ELc67ELc78ELc76ELb0ELb0EfPKfS1_PfEviT_T9_T10_S3_lS5_S3_lS4_T11_S3_li,"axG",@progbits,_ZL29rocblas_internal_gemmt_kernelIlLi16ELi32ELi8ELc67ELc78ELc76ELb0ELb0EfPKfS1_PfEviT_T9_T10_S3_lS5_S3_lS4_T11_S3_li,comdat
	.globl	_ZL29rocblas_internal_gemmt_kernelIlLi16ELi32ELi8ELc67ELc78ELc76ELb0ELb0EfPKfS1_PfEviT_T9_T10_S3_lS5_S3_lS4_T11_S3_li ; -- Begin function _ZL29rocblas_internal_gemmt_kernelIlLi16ELi32ELi8ELc67ELc78ELc76ELb0ELb0EfPKfS1_PfEviT_T9_T10_S3_lS5_S3_lS4_T11_S3_li
	.p2align	8
	.type	_ZL29rocblas_internal_gemmt_kernelIlLi16ELi32ELi8ELc67ELc78ELc76ELb0ELb0EfPKfS1_PfEviT_T9_T10_S3_lS5_S3_lS4_T11_S3_li,@function
_ZL29rocblas_internal_gemmt_kernelIlLi16ELi32ELi8ELc67ELc78ELc76ELb0ELb0EfPKfS1_PfEviT_T9_T10_S3_lS5_S3_lS4_T11_S3_li: ; @_ZL29rocblas_internal_gemmt_kernelIlLi16ELi32ELi8ELc67ELc78ELc76ELb0ELb0EfPKfS1_PfEviT_T9_T10_S3_lS5_S3_lS4_T11_S3_li
; %bb.0:
	s_load_dwordx8 s[24:31], s[0:1], 0x48
	s_load_dwordx16 s[8:23], s[0:1], 0x8
	s_waitcnt lgkmcnt(0)
	s_load_dword s33, s[24:25], 0x0
	s_load_dword s34, s[10:11], 0x0
	s_waitcnt lgkmcnt(0)
	v_cmp_neq_f32_e64 s[6:7], s33, 1.0
	s_and_b64 vcc, exec, s[6:7]
	s_cbranch_vccnz .LBB159_2
; %bb.1:
	s_cmp_lg_u64 s[8:9], 0
	s_cselect_b64 s[6:7], -1, 0
	v_cmp_neq_f32_e64 s[10:11], s34, 0
	s_and_b64 s[6:7], s[6:7], s[10:11]
.LBB159_2:
	s_andn2_b64 vcc, exec, s[6:7]
	s_cbranch_vccnz .LBB159_28
; %bb.3:
	s_load_dword s24, s[0:1], 0x0
	s_lshl_b32 s5, s2, 5
	s_lshl_b32 s25, s3, 5
	v_cmp_eq_f32_e64 s[0:1], s34, 0
	v_cmp_lt_i64_e64 s[2:3], s[8:9], 1
	v_mov_b32_e32 v3, 0
	s_or_b64 s[0:1], s[0:1], s[2:3]
	v_and_b32_e32 v5, 0x3ff, v0
	v_bfe_u32 v7, v0, 10, 10
	s_and_b64 vcc, exec, s[0:1]
	v_mov_b32_e32 v2, v3
	v_mov_b32_e32 v1, v3
	v_mov_b32_e32 v0, v3
	s_cbranch_vccnz .LBB159_12
; %bb.4:
	s_mul_i32 s0, s23, s4
	s_mul_hi_u32 s1, s22, s4
	s_add_i32 s1, s1, s0
	s_mul_i32 s0, s22, s4
	s_lshl_b64 s[0:1], s[0:1], 2
	s_add_u32 s6, s18, s0
	s_addc_u32 s7, s19, s1
	s_mul_i32 s0, s17, s4
	s_mul_hi_u32 s1, s16, s4
	v_lshl_add_u32 v0, v7, 4, v5
	s_add_i32 s1, s1, s0
	s_mul_i32 s0, s16, s4
	v_lshrrev_b32_e32 v6, 5, v0
	v_lshrrev_b32_e32 v2, 3, v0
	v_and_b32_e32 v0, 31, v0
	s_lshl_b64 s[0:1], s[0:1], 2
	v_or_b32_e32 v1, s5, v0
	s_add_u32 s2, s12, s0
	v_lshlrev_b32_e32 v0, 2, v0
	s_addc_u32 s3, s13, s1
	s_waitcnt lgkmcnt(0)
	v_cmp_gt_i32_e64 s[0:1], s24, v1
	v_lshl_or_b32 v14, v6, 7, v0
	s_ashr_i32 s12, s5, 31
	v_mul_lo_u32 v8, s15, v1
	v_mad_u64_u32 v[0:1], s[10:11], s14, v1, 0
	s_mul_i32 s10, s14, s12
	v_and_b32_e32 v4, 7, v5
	v_add3_u32 v1, v1, s10, v8
	v_lshl_add_u64 v[8:9], v[0:1], 2, s[2:3]
	v_lshlrev_b32_e32 v0, 2, v4
	v_add_u32_e32 v3, s25, v2
	v_lshl_or_b32 v0, v2, 5, v0
	v_add_u32_e32 v15, 0x400, v0
	v_ashrrev_i32_e32 v0, 31, v3
	v_mul_lo_u32 v2, s20, v0
	v_mul_lo_u32 v10, s21, v3
	v_mad_u64_u32 v[0:1], s[10:11], s20, v3, 0
	v_add3_u32 v1, v1, v2, v10
	v_lshl_add_u64 v[10:11], v[0:1], 2, s[6:7]
	v_mov_b32_e32 v0, 0x400
	v_mov_b32_e32 v13, 0
	v_cmp_gt_i32_e64 s[2:3], s24, v3
	v_lshlrev_b32_e32 v16, 2, v5
	v_lshl_add_u32 v17, v7, 5, v0
	s_mov_b64 s[6:7], 0
	v_mov_b32_e32 v0, v13
	v_mov_b32_e32 v1, v13
	;; [unrolled: 1-line block ×4, first 2 shown]
	s_branch .LBB159_6
.LBB159_5:                              ;   in Loop: Header=BB159_6 Depth=1
	s_or_b64 exec, exec, s[10:11]
	s_waitcnt vmcnt(0)
	ds_write_b32 v15, v18
	s_waitcnt lgkmcnt(0)
	s_barrier
	ds_read_b128 v[18:21], v17
	ds_read_b128 v[22:25], v17 offset:16
	ds_read2_b32 v[34:35], v16 offset1:16
	ds_read2_b32 v[36:37], v16 offset0:32 offset1:48
	ds_read2_b32 v[38:39], v16 offset0:64 offset1:80
	ds_read2_b32 v[40:41], v16 offset0:96 offset1:112
	ds_read2_b32 v[42:43], v16 offset0:128 offset1:144
	ds_read_b128 v[26:29], v17 offset:512
	ds_read_b128 v[30:33], v17 offset:528
	ds_read2_b32 v[44:45], v16 offset0:160 offset1:176
	ds_read2_b32 v[46:47], v16 offset0:192 offset1:208
	ds_read2_b32 v[48:49], v16 offset0:224 offset1:240
	s_waitcnt lgkmcnt(9)
	v_pk_fma_f32 v[2:3], v[34:35], v[18:19], v[2:3] op_sel_hi:[1,0,1]
	v_mov_b32_e32 v12, v21
	s_waitcnt lgkmcnt(8)
	v_pk_fma_f32 v[2:3], v[36:37], v[18:19], v[2:3] op_sel:[0,1,0]
	s_waitcnt lgkmcnt(4)
	v_pk_fma_f32 v[0:1], v[34:35], v[26:27], v[0:1] op_sel_hi:[1,0,1]
	v_pk_fma_f32 v[2:3], v[38:39], v[20:21], v[2:3] op_sel_hi:[1,0,1]
	v_pk_fma_f32 v[0:1], v[36:37], v[26:27], v[0:1] op_sel:[0,1,0]
	v_pk_fma_f32 v[2:3], v[40:41], v[12:13], v[2:3] op_sel_hi:[1,0,1]
	v_mov_b32_e32 v12, v25
	v_pk_fma_f32 v[2:3], v[42:43], v[22:23], v[2:3] op_sel_hi:[1,0,1]
	v_pk_fma_f32 v[0:1], v[38:39], v[28:29], v[0:1] op_sel_hi:[1,0,1]
	s_waitcnt lgkmcnt(2)
	v_pk_fma_f32 v[2:3], v[44:45], v[22:23], v[2:3] op_sel:[0,1,0]
	s_add_u32 s6, s6, 8
	s_waitcnt lgkmcnt(1)
	v_pk_fma_f32 v[2:3], v[46:47], v[24:25], v[2:3] op_sel_hi:[1,0,1]
	s_addc_u32 s7, s7, 0
	s_waitcnt lgkmcnt(0)
	v_pk_fma_f32 v[2:3], v[48:49], v[12:13], v[2:3] op_sel_hi:[1,0,1]
	v_mov_b32_e32 v12, v29
	v_pk_fma_f32 v[0:1], v[40:41], v[12:13], v[0:1] op_sel_hi:[1,0,1]
	v_mov_b64_e32 v[18:19], s[6:7]
	v_pk_fma_f32 v[0:1], v[42:43], v[30:31], v[0:1] op_sel_hi:[1,0,1]
	v_mov_b32_e32 v12, v33
	v_pk_fma_f32 v[0:1], v[44:45], v[30:31], v[0:1] op_sel:[0,1,0]
	v_cmp_gt_i64_e32 vcc, s[8:9], v[18:19]
	v_pk_fma_f32 v[0:1], v[46:47], v[32:33], v[0:1] op_sel_hi:[1,0,1]
	s_nop 0
	v_pk_fma_f32 v[0:1], v[48:49], v[12:13], v[0:1] op_sel_hi:[1,0,1]
	s_barrier
	s_cbranch_vccz .LBB159_12
.LBB159_6:                              ; =>This Inner Loop Header: Depth=1
	v_mov_b32_e32 v18, 0
	s_and_saveexec_b64 s[10:11], s[0:1]
	s_cbranch_execz .LBB159_10
; %bb.7:                                ;   in Loop: Header=BB159_6 Depth=1
	v_add_u32_e32 v12, s6, v6
	v_cmp_gt_u64_e32 vcc, s[8:9], v[12:13]
	v_mov_b32_e32 v18, 0
	s_and_saveexec_b64 s[12:13], vcc
	s_cbranch_execz .LBB159_9
; %bb.8:                                ;   in Loop: Header=BB159_6 Depth=1
	v_lshl_add_u64 v[18:19], v[12:13], 2, v[8:9]
	global_load_dword v18, v[18:19], off
.LBB159_9:                              ;   in Loop: Header=BB159_6 Depth=1
	s_or_b64 exec, exec, s[12:13]
.LBB159_10:                             ;   in Loop: Header=BB159_6 Depth=1
	s_or_b64 exec, exec, s[10:11]
	v_add_u32_e32 v12, s6, v4
	v_cmp_gt_u64_e32 vcc, s[8:9], v[12:13]
	s_waitcnt vmcnt(0)
	ds_write_b32 v14, v18
	s_and_b64 s[12:13], vcc, s[2:3]
	v_mov_b32_e32 v18, 0
	s_and_saveexec_b64 s[10:11], s[12:13]
	s_cbranch_execz .LBB159_5
; %bb.11:                               ;   in Loop: Header=BB159_6 Depth=1
	v_lshl_add_u64 v[18:19], v[12:13], 2, v[10:11]
	global_load_dword v18, v[18:19], off
	s_branch .LBB159_5
.LBB159_12:
	s_mul_i32 s0, s31, s4
	s_mul_hi_u32 s1, s30, s4
	s_add_i32 s1, s1, s0
	s_mul_i32 s0, s30, s4
	s_lshl_b64 s[0:1], s[0:1], 2
	v_add_u32_e32 v10, s25, v7
	s_add_u32 s6, s26, s0
	v_add_u32_e32 v4, s5, v5
	v_ashrrev_i32_e32 v5, 31, v10
	s_addc_u32 s7, s27, s1
	v_mul_lo_u32 v5, s28, v5
	v_mul_lo_u32 v8, s29, v10
	v_mad_u64_u32 v[6:7], s[0:1], s28, v10, 0
	v_add3_u32 v7, v7, v5, v8
	v_cmp_neq_f32_e64 s[0:1], s33, 0
	v_lshl_add_u64 v[8:9], v[6:7], 2, s[6:7]
	v_cmp_le_i32_e32 vcc, v10, v4
	s_waitcnt lgkmcnt(0)
	v_cmp_gt_i32_e64 s[2:3], s24, v4
	v_cndmask_b32_e64 v6, 0, 1, s[0:1]
	s_and_b64 s[8:9], vcc, s[2:3]
	v_ashrrev_i32_e32 v5, 31, v4
	v_cmp_ne_u32_e64 s[0:1], 1, v6
	s_and_saveexec_b64 s[4:5], s[8:9]
	s_cbranch_execz .LBB159_16
; %bb.13:
	v_mul_f32_e32 v2, s34, v2
	s_and_b64 vcc, exec, s[0:1]
	v_lshl_add_u64 v[6:7], v[4:5], 2, v[8:9]
	s_cbranch_vccnz .LBB159_15
; %bb.14:
	global_load_dword v11, v[6:7], off
	s_waitcnt vmcnt(0)
	v_fmac_f32_e32 v2, s33, v11
.LBB159_15:
	global_store_dword v[6:7], v2, off
.LBB159_16:
	s_or_b64 exec, exec, s[4:5]
	v_add_u32_e32 v6, 16, v4
	v_cmp_le_i32_e32 vcc, v10, v6
	v_cmp_gt_i32_e64 s[4:5], s24, v6
	s_and_b64 s[10:11], vcc, s[4:5]
	v_ashrrev_i32_e32 v7, 31, v6
	s_and_saveexec_b64 s[8:9], s[10:11]
	s_cbranch_execz .LBB159_20
; %bb.17:
	v_mul_f32_e32 v11, s34, v3
	s_and_b64 vcc, exec, s[0:1]
	v_lshl_add_u64 v[2:3], v[6:7], 2, v[8:9]
	s_cbranch_vccnz .LBB159_19
; %bb.18:
	global_load_dword v8, v[2:3], off
	s_waitcnt vmcnt(0)
	v_fmac_f32_e32 v11, s33, v8
.LBB159_19:
	global_store_dword v[2:3], v11, off
.LBB159_20:
	s_or_b64 exec, exec, s[8:9]
	v_add_u32_e32 v8, 16, v10
	v_ashrrev_i32_e32 v2, 31, v8
	v_mul_lo_u32 v9, s28, v2
	v_mul_lo_u32 v10, s29, v8
	v_mad_u64_u32 v[2:3], s[8:9], s28, v8, 0
	v_add3_u32 v3, v3, v9, v10
	v_cmp_le_i32_e32 vcc, v8, v4
	v_lshl_add_u64 v[2:3], v[2:3], 2, s[6:7]
	s_and_b64 s[6:7], vcc, s[2:3]
	s_and_saveexec_b64 s[2:3], s[6:7]
	s_cbranch_execz .LBB159_24
; %bb.21:
	v_mul_f32_e32 v0, s34, v0
	s_and_b64 vcc, exec, s[0:1]
	v_lshl_add_u64 v[4:5], v[4:5], 2, v[2:3]
	s_cbranch_vccnz .LBB159_23
; %bb.22:
	global_load_dword v9, v[4:5], off
	s_waitcnt vmcnt(0)
	v_fmac_f32_e32 v0, s33, v9
.LBB159_23:
	global_store_dword v[4:5], v0, off
.LBB159_24:
	s_or_b64 exec, exec, s[2:3]
	v_cmp_le_i32_e32 vcc, v8, v6
	s_and_b64 s[2:3], vcc, s[4:5]
	s_and_saveexec_b64 s[4:5], s[2:3]
	s_cbranch_execz .LBB159_28
; %bb.25:
	v_mul_f32_e32 v4, s34, v1
	s_and_b64 vcc, exec, s[0:1]
	v_lshl_add_u64 v[0:1], v[6:7], 2, v[2:3]
	s_cbranch_vccnz .LBB159_27
; %bb.26:
	global_load_dword v2, v[0:1], off
	s_waitcnt vmcnt(0)
	v_fmac_f32_e32 v4, s33, v2
.LBB159_27:
	global_store_dword v[0:1], v4, off
.LBB159_28:
	s_endpgm
	.section	.rodata,"a",@progbits
	.p2align	6, 0x0
	.amdhsa_kernel _ZL29rocblas_internal_gemmt_kernelIlLi16ELi32ELi8ELc67ELc78ELc76ELb0ELb0EfPKfS1_PfEviT_T9_T10_S3_lS5_S3_lS4_T11_S3_li
		.amdhsa_group_segment_fixed_size 2048
		.amdhsa_private_segment_fixed_size 0
		.amdhsa_kernarg_size 108
		.amdhsa_user_sgpr_count 2
		.amdhsa_user_sgpr_dispatch_ptr 0
		.amdhsa_user_sgpr_queue_ptr 0
		.amdhsa_user_sgpr_kernarg_segment_ptr 1
		.amdhsa_user_sgpr_dispatch_id 0
		.amdhsa_user_sgpr_kernarg_preload_length 0
		.amdhsa_user_sgpr_kernarg_preload_offset 0
		.amdhsa_user_sgpr_private_segment_size 0
		.amdhsa_uses_dynamic_stack 0
		.amdhsa_enable_private_segment 0
		.amdhsa_system_sgpr_workgroup_id_x 1
		.amdhsa_system_sgpr_workgroup_id_y 1
		.amdhsa_system_sgpr_workgroup_id_z 1
		.amdhsa_system_sgpr_workgroup_info 0
		.amdhsa_system_vgpr_workitem_id 1
		.amdhsa_next_free_vgpr 50
		.amdhsa_next_free_sgpr 35
		.amdhsa_accum_offset 52
		.amdhsa_reserve_vcc 1
		.amdhsa_float_round_mode_32 0
		.amdhsa_float_round_mode_16_64 0
		.amdhsa_float_denorm_mode_32 3
		.amdhsa_float_denorm_mode_16_64 3
		.amdhsa_dx10_clamp 1
		.amdhsa_ieee_mode 1
		.amdhsa_fp16_overflow 0
		.amdhsa_tg_split 0
		.amdhsa_exception_fp_ieee_invalid_op 0
		.amdhsa_exception_fp_denorm_src 0
		.amdhsa_exception_fp_ieee_div_zero 0
		.amdhsa_exception_fp_ieee_overflow 0
		.amdhsa_exception_fp_ieee_underflow 0
		.amdhsa_exception_fp_ieee_inexact 0
		.amdhsa_exception_int_div_zero 0
	.end_amdhsa_kernel
	.section	.text._ZL29rocblas_internal_gemmt_kernelIlLi16ELi32ELi8ELc67ELc78ELc76ELb0ELb0EfPKfS1_PfEviT_T9_T10_S3_lS5_S3_lS4_T11_S3_li,"axG",@progbits,_ZL29rocblas_internal_gemmt_kernelIlLi16ELi32ELi8ELc67ELc78ELc76ELb0ELb0EfPKfS1_PfEviT_T9_T10_S3_lS5_S3_lS4_T11_S3_li,comdat
.Lfunc_end159:
	.size	_ZL29rocblas_internal_gemmt_kernelIlLi16ELi32ELi8ELc67ELc78ELc76ELb0ELb0EfPKfS1_PfEviT_T9_T10_S3_lS5_S3_lS4_T11_S3_li, .Lfunc_end159-_ZL29rocblas_internal_gemmt_kernelIlLi16ELi32ELi8ELc67ELc78ELc76ELb0ELb0EfPKfS1_PfEviT_T9_T10_S3_lS5_S3_lS4_T11_S3_li
                                        ; -- End function
	.set _ZL29rocblas_internal_gemmt_kernelIlLi16ELi32ELi8ELc67ELc78ELc76ELb0ELb0EfPKfS1_PfEviT_T9_T10_S3_lS5_S3_lS4_T11_S3_li.num_vgpr, 50
	.set _ZL29rocblas_internal_gemmt_kernelIlLi16ELi32ELi8ELc67ELc78ELc76ELb0ELb0EfPKfS1_PfEviT_T9_T10_S3_lS5_S3_lS4_T11_S3_li.num_agpr, 0
	.set _ZL29rocblas_internal_gemmt_kernelIlLi16ELi32ELi8ELc67ELc78ELc76ELb0ELb0EfPKfS1_PfEviT_T9_T10_S3_lS5_S3_lS4_T11_S3_li.numbered_sgpr, 35
	.set _ZL29rocblas_internal_gemmt_kernelIlLi16ELi32ELi8ELc67ELc78ELc76ELb0ELb0EfPKfS1_PfEviT_T9_T10_S3_lS5_S3_lS4_T11_S3_li.num_named_barrier, 0
	.set _ZL29rocblas_internal_gemmt_kernelIlLi16ELi32ELi8ELc67ELc78ELc76ELb0ELb0EfPKfS1_PfEviT_T9_T10_S3_lS5_S3_lS4_T11_S3_li.private_seg_size, 0
	.set _ZL29rocblas_internal_gemmt_kernelIlLi16ELi32ELi8ELc67ELc78ELc76ELb0ELb0EfPKfS1_PfEviT_T9_T10_S3_lS5_S3_lS4_T11_S3_li.uses_vcc, 1
	.set _ZL29rocblas_internal_gemmt_kernelIlLi16ELi32ELi8ELc67ELc78ELc76ELb0ELb0EfPKfS1_PfEviT_T9_T10_S3_lS5_S3_lS4_T11_S3_li.uses_flat_scratch, 0
	.set _ZL29rocblas_internal_gemmt_kernelIlLi16ELi32ELi8ELc67ELc78ELc76ELb0ELb0EfPKfS1_PfEviT_T9_T10_S3_lS5_S3_lS4_T11_S3_li.has_dyn_sized_stack, 0
	.set _ZL29rocblas_internal_gemmt_kernelIlLi16ELi32ELi8ELc67ELc78ELc76ELb0ELb0EfPKfS1_PfEviT_T9_T10_S3_lS5_S3_lS4_T11_S3_li.has_recursion, 0
	.set _ZL29rocblas_internal_gemmt_kernelIlLi16ELi32ELi8ELc67ELc78ELc76ELb0ELb0EfPKfS1_PfEviT_T9_T10_S3_lS5_S3_lS4_T11_S3_li.has_indirect_call, 0
	.section	.AMDGPU.csdata,"",@progbits
; Kernel info:
; codeLenInByte = 1300
; TotalNumSgprs: 41
; NumVgprs: 50
; NumAgprs: 0
; TotalNumVgprs: 50
; ScratchSize: 0
; MemoryBound: 0
; FloatMode: 240
; IeeeMode: 1
; LDSByteSize: 2048 bytes/workgroup (compile time only)
; SGPRBlocks: 5
; VGPRBlocks: 6
; NumSGPRsForWavesPerEU: 41
; NumVGPRsForWavesPerEU: 50
; AccumOffset: 52
; Occupancy: 8
; WaveLimiterHint : 0
; COMPUTE_PGM_RSRC2:SCRATCH_EN: 0
; COMPUTE_PGM_RSRC2:USER_SGPR: 2
; COMPUTE_PGM_RSRC2:TRAP_HANDLER: 0
; COMPUTE_PGM_RSRC2:TGID_X_EN: 1
; COMPUTE_PGM_RSRC2:TGID_Y_EN: 1
; COMPUTE_PGM_RSRC2:TGID_Z_EN: 1
; COMPUTE_PGM_RSRC2:TIDIG_COMP_CNT: 1
; COMPUTE_PGM_RSRC3_GFX90A:ACCUM_OFFSET: 12
; COMPUTE_PGM_RSRC3_GFX90A:TG_SPLIT: 0
	.section	.text._ZL29rocblas_internal_gemmt_kernelIlLi16ELi32ELi8ELc67ELc84ELc76ELb0ELb0EfPKfS1_PfEviT_T9_T10_S3_lS5_S3_lS4_T11_S3_li,"axG",@progbits,_ZL29rocblas_internal_gemmt_kernelIlLi16ELi32ELi8ELc67ELc84ELc76ELb0ELb0EfPKfS1_PfEviT_T9_T10_S3_lS5_S3_lS4_T11_S3_li,comdat
	.globl	_ZL29rocblas_internal_gemmt_kernelIlLi16ELi32ELi8ELc67ELc84ELc76ELb0ELb0EfPKfS1_PfEviT_T9_T10_S3_lS5_S3_lS4_T11_S3_li ; -- Begin function _ZL29rocblas_internal_gemmt_kernelIlLi16ELi32ELi8ELc67ELc84ELc76ELb0ELb0EfPKfS1_PfEviT_T9_T10_S3_lS5_S3_lS4_T11_S3_li
	.p2align	8
	.type	_ZL29rocblas_internal_gemmt_kernelIlLi16ELi32ELi8ELc67ELc84ELc76ELb0ELb0EfPKfS1_PfEviT_T9_T10_S3_lS5_S3_lS4_T11_S3_li,@function
_ZL29rocblas_internal_gemmt_kernelIlLi16ELi32ELi8ELc67ELc84ELc76ELb0ELb0EfPKfS1_PfEviT_T9_T10_S3_lS5_S3_lS4_T11_S3_li: ; @_ZL29rocblas_internal_gemmt_kernelIlLi16ELi32ELi8ELc67ELc84ELc76ELb0ELb0EfPKfS1_PfEviT_T9_T10_S3_lS5_S3_lS4_T11_S3_li
; %bb.0:
	s_load_dwordx8 s[24:31], s[0:1], 0x48
	s_load_dwordx16 s[8:23], s[0:1], 0x8
	s_waitcnt lgkmcnt(0)
	s_load_dword s33, s[24:25], 0x0
	s_load_dword s34, s[10:11], 0x0
	s_waitcnt lgkmcnt(0)
	v_cmp_neq_f32_e64 s[6:7], s33, 1.0
	s_and_b64 vcc, exec, s[6:7]
	s_cbranch_vccnz .LBB160_2
; %bb.1:
	s_cmp_lg_u64 s[8:9], 0
	s_cselect_b64 s[6:7], -1, 0
	v_cmp_neq_f32_e64 s[10:11], s34, 0
	s_and_b64 s[6:7], s[6:7], s[10:11]
.LBB160_2:
	s_andn2_b64 vcc, exec, s[6:7]
	s_cbranch_vccnz .LBB160_28
; %bb.3:
	s_load_dword s24, s[0:1], 0x0
	s_lshl_b32 s5, s2, 5
	s_lshl_b32 s25, s3, 5
	v_cmp_eq_f32_e64 s[0:1], s34, 0
	v_cmp_lt_i64_e64 s[2:3], s[8:9], 1
	v_mov_b32_e32 v3, 0
	s_or_b64 s[0:1], s[0:1], s[2:3]
	v_and_b32_e32 v5, 0x3ff, v0
	v_bfe_u32 v7, v0, 10, 10
	s_and_b64 vcc, exec, s[0:1]
	v_mov_b32_e32 v2, v3
	v_mov_b32_e32 v1, v3
	;; [unrolled: 1-line block ×3, first 2 shown]
	s_cbranch_vccnz .LBB160_12
; %bb.4:
	s_mul_i32 s0, s23, s4
	s_mul_hi_u32 s1, s22, s4
	s_add_i32 s1, s1, s0
	s_mul_i32 s0, s22, s4
	s_lshl_b64 s[0:1], s[0:1], 2
	s_add_u32 s6, s18, s0
	s_addc_u32 s7, s19, s1
	s_mul_i32 s0, s17, s4
	s_mul_hi_u32 s1, s16, s4
	v_lshl_add_u32 v1, v7, 4, v5
	s_add_i32 s1, s1, s0
	s_mul_i32 s0, s16, s4
	v_lshrrev_b32_e32 v6, 5, v1
	v_lshrrev_b32_e32 v10, 3, v1
	v_and_b32_e32 v1, 31, v1
	s_lshl_b64 s[0:1], s[0:1], 2
	v_or_b32_e32 v2, s5, v1
	s_add_u32 s2, s12, s0
	v_lshlrev_b32_e32 v1, 2, v1
	s_addc_u32 s3, s13, s1
	s_waitcnt lgkmcnt(0)
	v_cmp_gt_i32_e64 s[0:1], s24, v2
	v_lshl_or_b32 v14, v6, 7, v1
	s_ashr_i32 s12, s5, 31
	v_mul_lo_u32 v1, s15, v2
	v_mad_u64_u32 v[2:3], s[10:11], s14, v2, 0
	v_and_b32_e32 v4, 7, v5
	s_mul_i32 s10, s14, s12
	v_add3_u32 v3, v3, s10, v1
	v_lshlrev_b32_e32 v1, 2, v4
	v_add_u32_e32 v0, s25, v10
	v_lshl_or_b32 v1, v10, 5, v1
	v_add_u32_e32 v15, 0x400, v1
	v_ashrrev_i32_e32 v1, 31, v0
	v_lshl_add_u64 v[8:9], v[2:3], 2, s[2:3]
	v_cmp_gt_i32_e64 s[2:3], s24, v0
	v_lshl_add_u64 v[10:11], v[0:1], 2, s[6:7]
	v_mov_b32_e32 v0, 0x400
	v_mov_b32_e32 v13, 0
	v_lshlrev_b32_e32 v16, 2, v5
	v_lshl_add_u32 v17, v7, 5, v0
	s_mov_b64 s[6:7], 0
	v_mov_b32_e32 v0, v13
	v_mov_b32_e32 v1, v13
	;; [unrolled: 1-line block ×4, first 2 shown]
	s_branch .LBB160_6
.LBB160_5:                              ;   in Loop: Header=BB160_6 Depth=1
	s_or_b64 exec, exec, s[10:11]
	s_waitcnt vmcnt(0)
	ds_write_b32 v15, v18
	s_waitcnt lgkmcnt(0)
	s_barrier
	ds_read_b128 v[18:21], v17
	ds_read_b128 v[22:25], v17 offset:16
	ds_read2_b32 v[34:35], v16 offset1:16
	ds_read2_b32 v[36:37], v16 offset0:32 offset1:48
	ds_read2_b32 v[38:39], v16 offset0:64 offset1:80
	;; [unrolled: 1-line block ×4, first 2 shown]
	ds_read_b128 v[26:29], v17 offset:512
	ds_read_b128 v[30:33], v17 offset:528
	ds_read2_b32 v[44:45], v16 offset0:160 offset1:176
	ds_read2_b32 v[46:47], v16 offset0:192 offset1:208
	;; [unrolled: 1-line block ×3, first 2 shown]
	s_waitcnt lgkmcnt(9)
	v_pk_fma_f32 v[2:3], v[34:35], v[18:19], v[2:3] op_sel_hi:[1,0,1]
	v_mov_b32_e32 v12, v21
	s_waitcnt lgkmcnt(8)
	v_pk_fma_f32 v[2:3], v[36:37], v[18:19], v[2:3] op_sel:[0,1,0]
	s_waitcnt lgkmcnt(4)
	v_pk_fma_f32 v[0:1], v[34:35], v[26:27], v[0:1] op_sel_hi:[1,0,1]
	v_pk_fma_f32 v[2:3], v[38:39], v[20:21], v[2:3] op_sel_hi:[1,0,1]
	v_pk_fma_f32 v[0:1], v[36:37], v[26:27], v[0:1] op_sel:[0,1,0]
	v_pk_fma_f32 v[2:3], v[40:41], v[12:13], v[2:3] op_sel_hi:[1,0,1]
	v_mov_b32_e32 v12, v25
	v_pk_fma_f32 v[2:3], v[42:43], v[22:23], v[2:3] op_sel_hi:[1,0,1]
	v_pk_fma_f32 v[0:1], v[38:39], v[28:29], v[0:1] op_sel_hi:[1,0,1]
	s_waitcnt lgkmcnt(2)
	v_pk_fma_f32 v[2:3], v[44:45], v[22:23], v[2:3] op_sel:[0,1,0]
	s_add_u32 s6, s6, 8
	s_waitcnt lgkmcnt(1)
	v_pk_fma_f32 v[2:3], v[46:47], v[24:25], v[2:3] op_sel_hi:[1,0,1]
	s_addc_u32 s7, s7, 0
	s_waitcnt lgkmcnt(0)
	v_pk_fma_f32 v[2:3], v[48:49], v[12:13], v[2:3] op_sel_hi:[1,0,1]
	v_mov_b32_e32 v12, v29
	v_pk_fma_f32 v[0:1], v[40:41], v[12:13], v[0:1] op_sel_hi:[1,0,1]
	v_mov_b64_e32 v[18:19], s[6:7]
	v_pk_fma_f32 v[0:1], v[42:43], v[30:31], v[0:1] op_sel_hi:[1,0,1]
	v_mov_b32_e32 v12, v33
	v_pk_fma_f32 v[0:1], v[44:45], v[30:31], v[0:1] op_sel:[0,1,0]
	v_cmp_gt_i64_e32 vcc, s[8:9], v[18:19]
	v_pk_fma_f32 v[0:1], v[46:47], v[32:33], v[0:1] op_sel_hi:[1,0,1]
	s_nop 0
	v_pk_fma_f32 v[0:1], v[48:49], v[12:13], v[0:1] op_sel_hi:[1,0,1]
	s_barrier
	s_cbranch_vccz .LBB160_12
.LBB160_6:                              ; =>This Inner Loop Header: Depth=1
	v_mov_b32_e32 v18, 0
	s_and_saveexec_b64 s[10:11], s[0:1]
	s_cbranch_execz .LBB160_10
; %bb.7:                                ;   in Loop: Header=BB160_6 Depth=1
	v_add_u32_e32 v12, s6, v6
	v_cmp_gt_u64_e32 vcc, s[8:9], v[12:13]
	v_mov_b32_e32 v18, 0
	s_and_saveexec_b64 s[12:13], vcc
	s_cbranch_execz .LBB160_9
; %bb.8:                                ;   in Loop: Header=BB160_6 Depth=1
	v_lshl_add_u64 v[18:19], v[12:13], 2, v[8:9]
	global_load_dword v18, v[18:19], off
.LBB160_9:                              ;   in Loop: Header=BB160_6 Depth=1
	s_or_b64 exec, exec, s[12:13]
.LBB160_10:                             ;   in Loop: Header=BB160_6 Depth=1
	s_or_b64 exec, exec, s[10:11]
	v_add_u32_e32 v12, s6, v4
	v_cmp_gt_u64_e32 vcc, s[8:9], v[12:13]
	s_waitcnt vmcnt(0)
	ds_write_b32 v14, v18
	s_and_b64 s[12:13], vcc, s[2:3]
	v_mov_b32_e32 v18, 0
	s_and_saveexec_b64 s[10:11], s[12:13]
	s_cbranch_execz .LBB160_5
; %bb.11:                               ;   in Loop: Header=BB160_6 Depth=1
	v_mad_u64_u32 v[18:19], s[12:13], s20, v12, 0
	v_mov_b32_e32 v20, v19
	v_mad_u64_u32 v[20:21], s[12:13], s21, v12, v[20:21]
	v_mov_b32_e32 v19, v20
	v_lshl_add_u64 v[18:19], v[18:19], 2, v[10:11]
	global_load_dword v18, v[18:19], off
	s_branch .LBB160_5
.LBB160_12:
	s_mul_i32 s0, s31, s4
	s_mul_hi_u32 s1, s30, s4
	s_add_i32 s1, s1, s0
	s_mul_i32 s0, s30, s4
	s_lshl_b64 s[0:1], s[0:1], 2
	v_add_u32_e32 v10, s25, v7
	s_add_u32 s6, s26, s0
	v_add_u32_e32 v4, s5, v5
	v_ashrrev_i32_e32 v5, 31, v10
	s_addc_u32 s7, s27, s1
	v_mul_lo_u32 v5, s28, v5
	v_mul_lo_u32 v8, s29, v10
	v_mad_u64_u32 v[6:7], s[0:1], s28, v10, 0
	v_add3_u32 v7, v7, v5, v8
	v_cmp_neq_f32_e64 s[0:1], s33, 0
	v_lshl_add_u64 v[8:9], v[6:7], 2, s[6:7]
	v_cmp_le_i32_e32 vcc, v10, v4
	s_waitcnt lgkmcnt(0)
	v_cmp_gt_i32_e64 s[2:3], s24, v4
	v_cndmask_b32_e64 v6, 0, 1, s[0:1]
	s_and_b64 s[8:9], vcc, s[2:3]
	v_ashrrev_i32_e32 v5, 31, v4
	v_cmp_ne_u32_e64 s[0:1], 1, v6
	s_and_saveexec_b64 s[4:5], s[8:9]
	s_cbranch_execz .LBB160_16
; %bb.13:
	v_mul_f32_e32 v2, s34, v2
	s_and_b64 vcc, exec, s[0:1]
	v_lshl_add_u64 v[6:7], v[4:5], 2, v[8:9]
	s_cbranch_vccnz .LBB160_15
; %bb.14:
	global_load_dword v11, v[6:7], off
	s_waitcnt vmcnt(0)
	v_fmac_f32_e32 v2, s33, v11
.LBB160_15:
	global_store_dword v[6:7], v2, off
.LBB160_16:
	s_or_b64 exec, exec, s[4:5]
	v_add_u32_e32 v6, 16, v4
	v_cmp_le_i32_e32 vcc, v10, v6
	v_cmp_gt_i32_e64 s[4:5], s24, v6
	s_and_b64 s[10:11], vcc, s[4:5]
	v_ashrrev_i32_e32 v7, 31, v6
	s_and_saveexec_b64 s[8:9], s[10:11]
	s_cbranch_execz .LBB160_20
; %bb.17:
	v_mul_f32_e32 v11, s34, v3
	s_and_b64 vcc, exec, s[0:1]
	v_lshl_add_u64 v[2:3], v[6:7], 2, v[8:9]
	s_cbranch_vccnz .LBB160_19
; %bb.18:
	global_load_dword v8, v[2:3], off
	s_waitcnt vmcnt(0)
	v_fmac_f32_e32 v11, s33, v8
.LBB160_19:
	global_store_dword v[2:3], v11, off
.LBB160_20:
	s_or_b64 exec, exec, s[8:9]
	v_add_u32_e32 v8, 16, v10
	v_ashrrev_i32_e32 v2, 31, v8
	v_mul_lo_u32 v9, s28, v2
	v_mul_lo_u32 v10, s29, v8
	v_mad_u64_u32 v[2:3], s[8:9], s28, v8, 0
	v_add3_u32 v3, v3, v9, v10
	v_cmp_le_i32_e32 vcc, v8, v4
	v_lshl_add_u64 v[2:3], v[2:3], 2, s[6:7]
	s_and_b64 s[6:7], vcc, s[2:3]
	s_and_saveexec_b64 s[2:3], s[6:7]
	s_cbranch_execz .LBB160_24
; %bb.21:
	v_mul_f32_e32 v0, s34, v0
	s_and_b64 vcc, exec, s[0:1]
	v_lshl_add_u64 v[4:5], v[4:5], 2, v[2:3]
	s_cbranch_vccnz .LBB160_23
; %bb.22:
	global_load_dword v9, v[4:5], off
	s_waitcnt vmcnt(0)
	v_fmac_f32_e32 v0, s33, v9
.LBB160_23:
	global_store_dword v[4:5], v0, off
.LBB160_24:
	s_or_b64 exec, exec, s[2:3]
	v_cmp_le_i32_e32 vcc, v8, v6
	s_and_b64 s[2:3], vcc, s[4:5]
	s_and_saveexec_b64 s[4:5], s[2:3]
	s_cbranch_execz .LBB160_28
; %bb.25:
	v_mul_f32_e32 v4, s34, v1
	s_and_b64 vcc, exec, s[0:1]
	v_lshl_add_u64 v[0:1], v[6:7], 2, v[2:3]
	s_cbranch_vccnz .LBB160_27
; %bb.26:
	global_load_dword v2, v[0:1], off
	s_waitcnt vmcnt(0)
	v_fmac_f32_e32 v4, s33, v2
.LBB160_27:
	global_store_dword v[0:1], v4, off
.LBB160_28:
	s_endpgm
	.section	.rodata,"a",@progbits
	.p2align	6, 0x0
	.amdhsa_kernel _ZL29rocblas_internal_gemmt_kernelIlLi16ELi32ELi8ELc67ELc84ELc76ELb0ELb0EfPKfS1_PfEviT_T9_T10_S3_lS5_S3_lS4_T11_S3_li
		.amdhsa_group_segment_fixed_size 2048
		.amdhsa_private_segment_fixed_size 0
		.amdhsa_kernarg_size 108
		.amdhsa_user_sgpr_count 2
		.amdhsa_user_sgpr_dispatch_ptr 0
		.amdhsa_user_sgpr_queue_ptr 0
		.amdhsa_user_sgpr_kernarg_segment_ptr 1
		.amdhsa_user_sgpr_dispatch_id 0
		.amdhsa_user_sgpr_kernarg_preload_length 0
		.amdhsa_user_sgpr_kernarg_preload_offset 0
		.amdhsa_user_sgpr_private_segment_size 0
		.amdhsa_uses_dynamic_stack 0
		.amdhsa_enable_private_segment 0
		.amdhsa_system_sgpr_workgroup_id_x 1
		.amdhsa_system_sgpr_workgroup_id_y 1
		.amdhsa_system_sgpr_workgroup_id_z 1
		.amdhsa_system_sgpr_workgroup_info 0
		.amdhsa_system_vgpr_workitem_id 1
		.amdhsa_next_free_vgpr 50
		.amdhsa_next_free_sgpr 35
		.amdhsa_accum_offset 52
		.amdhsa_reserve_vcc 1
		.amdhsa_float_round_mode_32 0
		.amdhsa_float_round_mode_16_64 0
		.amdhsa_float_denorm_mode_32 3
		.amdhsa_float_denorm_mode_16_64 3
		.amdhsa_dx10_clamp 1
		.amdhsa_ieee_mode 1
		.amdhsa_fp16_overflow 0
		.amdhsa_tg_split 0
		.amdhsa_exception_fp_ieee_invalid_op 0
		.amdhsa_exception_fp_denorm_src 0
		.amdhsa_exception_fp_ieee_div_zero 0
		.amdhsa_exception_fp_ieee_overflow 0
		.amdhsa_exception_fp_ieee_underflow 0
		.amdhsa_exception_fp_ieee_inexact 0
		.amdhsa_exception_int_div_zero 0
	.end_amdhsa_kernel
	.section	.text._ZL29rocblas_internal_gemmt_kernelIlLi16ELi32ELi8ELc67ELc84ELc76ELb0ELb0EfPKfS1_PfEviT_T9_T10_S3_lS5_S3_lS4_T11_S3_li,"axG",@progbits,_ZL29rocblas_internal_gemmt_kernelIlLi16ELi32ELi8ELc67ELc84ELc76ELb0ELb0EfPKfS1_PfEviT_T9_T10_S3_lS5_S3_lS4_T11_S3_li,comdat
.Lfunc_end160:
	.size	_ZL29rocblas_internal_gemmt_kernelIlLi16ELi32ELi8ELc67ELc84ELc76ELb0ELb0EfPKfS1_PfEviT_T9_T10_S3_lS5_S3_lS4_T11_S3_li, .Lfunc_end160-_ZL29rocblas_internal_gemmt_kernelIlLi16ELi32ELi8ELc67ELc84ELc76ELb0ELb0EfPKfS1_PfEviT_T9_T10_S3_lS5_S3_lS4_T11_S3_li
                                        ; -- End function
	.set _ZL29rocblas_internal_gemmt_kernelIlLi16ELi32ELi8ELc67ELc84ELc76ELb0ELb0EfPKfS1_PfEviT_T9_T10_S3_lS5_S3_lS4_T11_S3_li.num_vgpr, 50
	.set _ZL29rocblas_internal_gemmt_kernelIlLi16ELi32ELi8ELc67ELc84ELc76ELb0ELb0EfPKfS1_PfEviT_T9_T10_S3_lS5_S3_lS4_T11_S3_li.num_agpr, 0
	.set _ZL29rocblas_internal_gemmt_kernelIlLi16ELi32ELi8ELc67ELc84ELc76ELb0ELb0EfPKfS1_PfEviT_T9_T10_S3_lS5_S3_lS4_T11_S3_li.numbered_sgpr, 35
	.set _ZL29rocblas_internal_gemmt_kernelIlLi16ELi32ELi8ELc67ELc84ELc76ELb0ELb0EfPKfS1_PfEviT_T9_T10_S3_lS5_S3_lS4_T11_S3_li.num_named_barrier, 0
	.set _ZL29rocblas_internal_gemmt_kernelIlLi16ELi32ELi8ELc67ELc84ELc76ELb0ELb0EfPKfS1_PfEviT_T9_T10_S3_lS5_S3_lS4_T11_S3_li.private_seg_size, 0
	.set _ZL29rocblas_internal_gemmt_kernelIlLi16ELi32ELi8ELc67ELc84ELc76ELb0ELb0EfPKfS1_PfEviT_T9_T10_S3_lS5_S3_lS4_T11_S3_li.uses_vcc, 1
	.set _ZL29rocblas_internal_gemmt_kernelIlLi16ELi32ELi8ELc67ELc84ELc76ELb0ELb0EfPKfS1_PfEviT_T9_T10_S3_lS5_S3_lS4_T11_S3_li.uses_flat_scratch, 0
	.set _ZL29rocblas_internal_gemmt_kernelIlLi16ELi32ELi8ELc67ELc84ELc76ELb0ELb0EfPKfS1_PfEviT_T9_T10_S3_lS5_S3_lS4_T11_S3_li.has_dyn_sized_stack, 0
	.set _ZL29rocblas_internal_gemmt_kernelIlLi16ELi32ELi8ELc67ELc84ELc76ELb0ELb0EfPKfS1_PfEviT_T9_T10_S3_lS5_S3_lS4_T11_S3_li.has_recursion, 0
	.set _ZL29rocblas_internal_gemmt_kernelIlLi16ELi32ELi8ELc67ELc84ELc76ELb0ELb0EfPKfS1_PfEviT_T9_T10_S3_lS5_S3_lS4_T11_S3_li.has_indirect_call, 0
	.section	.AMDGPU.csdata,"",@progbits
; Kernel info:
; codeLenInByte = 1292
; TotalNumSgprs: 41
; NumVgprs: 50
; NumAgprs: 0
; TotalNumVgprs: 50
; ScratchSize: 0
; MemoryBound: 0
; FloatMode: 240
; IeeeMode: 1
; LDSByteSize: 2048 bytes/workgroup (compile time only)
; SGPRBlocks: 5
; VGPRBlocks: 6
; NumSGPRsForWavesPerEU: 41
; NumVGPRsForWavesPerEU: 50
; AccumOffset: 52
; Occupancy: 8
; WaveLimiterHint : 0
; COMPUTE_PGM_RSRC2:SCRATCH_EN: 0
; COMPUTE_PGM_RSRC2:USER_SGPR: 2
; COMPUTE_PGM_RSRC2:TRAP_HANDLER: 0
; COMPUTE_PGM_RSRC2:TGID_X_EN: 1
; COMPUTE_PGM_RSRC2:TGID_Y_EN: 1
; COMPUTE_PGM_RSRC2:TGID_Z_EN: 1
; COMPUTE_PGM_RSRC2:TIDIG_COMP_CNT: 1
; COMPUTE_PGM_RSRC3_GFX90A:ACCUM_OFFSET: 12
; COMPUTE_PGM_RSRC3_GFX90A:TG_SPLIT: 0
	.section	.text._ZL29rocblas_internal_gemmt_kernelIlLi16ELi32ELi8ELc67ELc67ELc76ELb0ELb0EfPKfS1_PfEviT_T9_T10_S3_lS5_S3_lS4_T11_S3_li,"axG",@progbits,_ZL29rocblas_internal_gemmt_kernelIlLi16ELi32ELi8ELc67ELc67ELc76ELb0ELb0EfPKfS1_PfEviT_T9_T10_S3_lS5_S3_lS4_T11_S3_li,comdat
	.globl	_ZL29rocblas_internal_gemmt_kernelIlLi16ELi32ELi8ELc67ELc67ELc76ELb0ELb0EfPKfS1_PfEviT_T9_T10_S3_lS5_S3_lS4_T11_S3_li ; -- Begin function _ZL29rocblas_internal_gemmt_kernelIlLi16ELi32ELi8ELc67ELc67ELc76ELb0ELb0EfPKfS1_PfEviT_T9_T10_S3_lS5_S3_lS4_T11_S3_li
	.p2align	8
	.type	_ZL29rocblas_internal_gemmt_kernelIlLi16ELi32ELi8ELc67ELc67ELc76ELb0ELb0EfPKfS1_PfEviT_T9_T10_S3_lS5_S3_lS4_T11_S3_li,@function
_ZL29rocblas_internal_gemmt_kernelIlLi16ELi32ELi8ELc67ELc67ELc76ELb0ELb0EfPKfS1_PfEviT_T9_T10_S3_lS5_S3_lS4_T11_S3_li: ; @_ZL29rocblas_internal_gemmt_kernelIlLi16ELi32ELi8ELc67ELc67ELc76ELb0ELb0EfPKfS1_PfEviT_T9_T10_S3_lS5_S3_lS4_T11_S3_li
; %bb.0:
	s_load_dwordx8 s[24:31], s[0:1], 0x48
	s_load_dwordx16 s[8:23], s[0:1], 0x8
	s_waitcnt lgkmcnt(0)
	s_load_dword s33, s[24:25], 0x0
	s_load_dword s34, s[10:11], 0x0
	s_waitcnt lgkmcnt(0)
	v_cmp_neq_f32_e64 s[6:7], s33, 1.0
	s_and_b64 vcc, exec, s[6:7]
	s_cbranch_vccnz .LBB161_2
; %bb.1:
	s_cmp_lg_u64 s[8:9], 0
	s_cselect_b64 s[6:7], -1, 0
	v_cmp_neq_f32_e64 s[10:11], s34, 0
	s_and_b64 s[6:7], s[6:7], s[10:11]
.LBB161_2:
	s_andn2_b64 vcc, exec, s[6:7]
	s_cbranch_vccnz .LBB161_28
; %bb.3:
	s_load_dword s24, s[0:1], 0x0
	s_lshl_b32 s5, s2, 5
	s_lshl_b32 s25, s3, 5
	v_cmp_eq_f32_e64 s[0:1], s34, 0
	v_cmp_lt_i64_e64 s[2:3], s[8:9], 1
	v_mov_b32_e32 v3, 0
	s_or_b64 s[0:1], s[0:1], s[2:3]
	v_and_b32_e32 v5, 0x3ff, v0
	v_bfe_u32 v7, v0, 10, 10
	s_and_b64 vcc, exec, s[0:1]
	v_mov_b32_e32 v2, v3
	v_mov_b32_e32 v1, v3
	;; [unrolled: 1-line block ×3, first 2 shown]
	s_cbranch_vccnz .LBB161_12
; %bb.4:
	s_mul_i32 s0, s23, s4
	s_mul_hi_u32 s1, s22, s4
	s_add_i32 s1, s1, s0
	s_mul_i32 s0, s22, s4
	s_lshl_b64 s[0:1], s[0:1], 2
	s_add_u32 s6, s18, s0
	s_addc_u32 s7, s19, s1
	s_mul_i32 s0, s17, s4
	s_mul_hi_u32 s1, s16, s4
	v_lshl_add_u32 v1, v7, 4, v5
	s_add_i32 s1, s1, s0
	s_mul_i32 s0, s16, s4
	v_lshrrev_b32_e32 v6, 5, v1
	v_lshrrev_b32_e32 v10, 3, v1
	v_and_b32_e32 v1, 31, v1
	s_lshl_b64 s[0:1], s[0:1], 2
	v_or_b32_e32 v2, s5, v1
	s_add_u32 s2, s12, s0
	v_lshlrev_b32_e32 v1, 2, v1
	s_addc_u32 s3, s13, s1
	s_waitcnt lgkmcnt(0)
	v_cmp_gt_i32_e64 s[0:1], s24, v2
	v_lshl_or_b32 v14, v6, 7, v1
	s_ashr_i32 s12, s5, 31
	v_mul_lo_u32 v1, s15, v2
	v_mad_u64_u32 v[2:3], s[10:11], s14, v2, 0
	v_and_b32_e32 v4, 7, v5
	s_mul_i32 s10, s14, s12
	v_add3_u32 v3, v3, s10, v1
	v_lshlrev_b32_e32 v1, 2, v4
	v_add_u32_e32 v0, s25, v10
	v_lshl_or_b32 v1, v10, 5, v1
	v_add_u32_e32 v15, 0x400, v1
	v_ashrrev_i32_e32 v1, 31, v0
	v_lshl_add_u64 v[8:9], v[2:3], 2, s[2:3]
	v_cmp_gt_i32_e64 s[2:3], s24, v0
	v_lshl_add_u64 v[10:11], v[0:1], 2, s[6:7]
	v_mov_b32_e32 v0, 0x400
	v_mov_b32_e32 v13, 0
	v_lshlrev_b32_e32 v16, 2, v5
	v_lshl_add_u32 v17, v7, 5, v0
	s_mov_b64 s[6:7], 0
	v_mov_b32_e32 v0, v13
	v_mov_b32_e32 v1, v13
	;; [unrolled: 1-line block ×4, first 2 shown]
	s_branch .LBB161_6
.LBB161_5:                              ;   in Loop: Header=BB161_6 Depth=1
	s_or_b64 exec, exec, s[10:11]
	s_waitcnt vmcnt(0)
	ds_write_b32 v15, v18
	s_waitcnt lgkmcnt(0)
	s_barrier
	ds_read_b128 v[18:21], v17
	ds_read_b128 v[22:25], v17 offset:16
	ds_read2_b32 v[34:35], v16 offset1:16
	ds_read2_b32 v[36:37], v16 offset0:32 offset1:48
	ds_read2_b32 v[38:39], v16 offset0:64 offset1:80
	;; [unrolled: 1-line block ×4, first 2 shown]
	ds_read_b128 v[26:29], v17 offset:512
	ds_read_b128 v[30:33], v17 offset:528
	ds_read2_b32 v[44:45], v16 offset0:160 offset1:176
	ds_read2_b32 v[46:47], v16 offset0:192 offset1:208
	;; [unrolled: 1-line block ×3, first 2 shown]
	s_waitcnt lgkmcnt(9)
	v_pk_fma_f32 v[2:3], v[34:35], v[18:19], v[2:3] op_sel_hi:[1,0,1]
	v_mov_b32_e32 v12, v21
	s_waitcnt lgkmcnt(8)
	v_pk_fma_f32 v[2:3], v[36:37], v[18:19], v[2:3] op_sel:[0,1,0]
	s_waitcnt lgkmcnt(4)
	v_pk_fma_f32 v[0:1], v[34:35], v[26:27], v[0:1] op_sel_hi:[1,0,1]
	v_pk_fma_f32 v[2:3], v[38:39], v[20:21], v[2:3] op_sel_hi:[1,0,1]
	v_pk_fma_f32 v[0:1], v[36:37], v[26:27], v[0:1] op_sel:[0,1,0]
	v_pk_fma_f32 v[2:3], v[40:41], v[12:13], v[2:3] op_sel_hi:[1,0,1]
	v_mov_b32_e32 v12, v25
	v_pk_fma_f32 v[2:3], v[42:43], v[22:23], v[2:3] op_sel_hi:[1,0,1]
	v_pk_fma_f32 v[0:1], v[38:39], v[28:29], v[0:1] op_sel_hi:[1,0,1]
	s_waitcnt lgkmcnt(2)
	v_pk_fma_f32 v[2:3], v[44:45], v[22:23], v[2:3] op_sel:[0,1,0]
	s_add_u32 s6, s6, 8
	s_waitcnt lgkmcnt(1)
	v_pk_fma_f32 v[2:3], v[46:47], v[24:25], v[2:3] op_sel_hi:[1,0,1]
	s_addc_u32 s7, s7, 0
	s_waitcnt lgkmcnt(0)
	v_pk_fma_f32 v[2:3], v[48:49], v[12:13], v[2:3] op_sel_hi:[1,0,1]
	v_mov_b32_e32 v12, v29
	v_pk_fma_f32 v[0:1], v[40:41], v[12:13], v[0:1] op_sel_hi:[1,0,1]
	v_mov_b64_e32 v[18:19], s[6:7]
	v_pk_fma_f32 v[0:1], v[42:43], v[30:31], v[0:1] op_sel_hi:[1,0,1]
	v_mov_b32_e32 v12, v33
	v_pk_fma_f32 v[0:1], v[44:45], v[30:31], v[0:1] op_sel:[0,1,0]
	v_cmp_gt_i64_e32 vcc, s[8:9], v[18:19]
	v_pk_fma_f32 v[0:1], v[46:47], v[32:33], v[0:1] op_sel_hi:[1,0,1]
	s_nop 0
	v_pk_fma_f32 v[0:1], v[48:49], v[12:13], v[0:1] op_sel_hi:[1,0,1]
	s_barrier
	s_cbranch_vccz .LBB161_12
.LBB161_6:                              ; =>This Inner Loop Header: Depth=1
	v_mov_b32_e32 v18, 0
	s_and_saveexec_b64 s[10:11], s[0:1]
	s_cbranch_execz .LBB161_10
; %bb.7:                                ;   in Loop: Header=BB161_6 Depth=1
	v_add_u32_e32 v12, s6, v6
	v_cmp_gt_u64_e32 vcc, s[8:9], v[12:13]
	v_mov_b32_e32 v18, 0
	s_and_saveexec_b64 s[12:13], vcc
	s_cbranch_execz .LBB161_9
; %bb.8:                                ;   in Loop: Header=BB161_6 Depth=1
	v_lshl_add_u64 v[18:19], v[12:13], 2, v[8:9]
	global_load_dword v18, v[18:19], off
.LBB161_9:                              ;   in Loop: Header=BB161_6 Depth=1
	s_or_b64 exec, exec, s[12:13]
.LBB161_10:                             ;   in Loop: Header=BB161_6 Depth=1
	s_or_b64 exec, exec, s[10:11]
	v_add_u32_e32 v12, s6, v4
	v_cmp_gt_u64_e32 vcc, s[8:9], v[12:13]
	s_waitcnt vmcnt(0)
	ds_write_b32 v14, v18
	s_and_b64 s[12:13], vcc, s[2:3]
	v_mov_b32_e32 v18, 0
	s_and_saveexec_b64 s[10:11], s[12:13]
	s_cbranch_execz .LBB161_5
; %bb.11:                               ;   in Loop: Header=BB161_6 Depth=1
	v_mad_u64_u32 v[18:19], s[12:13], s20, v12, 0
	v_mov_b32_e32 v20, v19
	v_mad_u64_u32 v[20:21], s[12:13], s21, v12, v[20:21]
	v_mov_b32_e32 v19, v20
	v_lshl_add_u64 v[18:19], v[18:19], 2, v[10:11]
	global_load_dword v18, v[18:19], off
	s_branch .LBB161_5
.LBB161_12:
	s_mul_i32 s0, s31, s4
	s_mul_hi_u32 s1, s30, s4
	s_add_i32 s1, s1, s0
	s_mul_i32 s0, s30, s4
	s_lshl_b64 s[0:1], s[0:1], 2
	v_add_u32_e32 v10, s25, v7
	s_add_u32 s6, s26, s0
	v_add_u32_e32 v4, s5, v5
	v_ashrrev_i32_e32 v5, 31, v10
	s_addc_u32 s7, s27, s1
	v_mul_lo_u32 v5, s28, v5
	v_mul_lo_u32 v8, s29, v10
	v_mad_u64_u32 v[6:7], s[0:1], s28, v10, 0
	v_add3_u32 v7, v7, v5, v8
	v_cmp_neq_f32_e64 s[0:1], s33, 0
	v_lshl_add_u64 v[8:9], v[6:7], 2, s[6:7]
	v_cmp_le_i32_e32 vcc, v10, v4
	s_waitcnt lgkmcnt(0)
	v_cmp_gt_i32_e64 s[2:3], s24, v4
	v_cndmask_b32_e64 v6, 0, 1, s[0:1]
	s_and_b64 s[8:9], vcc, s[2:3]
	v_ashrrev_i32_e32 v5, 31, v4
	v_cmp_ne_u32_e64 s[0:1], 1, v6
	s_and_saveexec_b64 s[4:5], s[8:9]
	s_cbranch_execz .LBB161_16
; %bb.13:
	v_mul_f32_e32 v2, s34, v2
	s_and_b64 vcc, exec, s[0:1]
	v_lshl_add_u64 v[6:7], v[4:5], 2, v[8:9]
	s_cbranch_vccnz .LBB161_15
; %bb.14:
	global_load_dword v11, v[6:7], off
	s_waitcnt vmcnt(0)
	v_fmac_f32_e32 v2, s33, v11
.LBB161_15:
	global_store_dword v[6:7], v2, off
.LBB161_16:
	s_or_b64 exec, exec, s[4:5]
	v_add_u32_e32 v6, 16, v4
	v_cmp_le_i32_e32 vcc, v10, v6
	v_cmp_gt_i32_e64 s[4:5], s24, v6
	s_and_b64 s[10:11], vcc, s[4:5]
	v_ashrrev_i32_e32 v7, 31, v6
	s_and_saveexec_b64 s[8:9], s[10:11]
	s_cbranch_execz .LBB161_20
; %bb.17:
	v_mul_f32_e32 v11, s34, v3
	s_and_b64 vcc, exec, s[0:1]
	v_lshl_add_u64 v[2:3], v[6:7], 2, v[8:9]
	s_cbranch_vccnz .LBB161_19
; %bb.18:
	global_load_dword v8, v[2:3], off
	s_waitcnt vmcnt(0)
	v_fmac_f32_e32 v11, s33, v8
.LBB161_19:
	global_store_dword v[2:3], v11, off
.LBB161_20:
	s_or_b64 exec, exec, s[8:9]
	v_add_u32_e32 v8, 16, v10
	v_ashrrev_i32_e32 v2, 31, v8
	v_mul_lo_u32 v9, s28, v2
	v_mul_lo_u32 v10, s29, v8
	v_mad_u64_u32 v[2:3], s[8:9], s28, v8, 0
	v_add3_u32 v3, v3, v9, v10
	v_cmp_le_i32_e32 vcc, v8, v4
	v_lshl_add_u64 v[2:3], v[2:3], 2, s[6:7]
	s_and_b64 s[6:7], vcc, s[2:3]
	s_and_saveexec_b64 s[2:3], s[6:7]
	s_cbranch_execz .LBB161_24
; %bb.21:
	v_mul_f32_e32 v0, s34, v0
	s_and_b64 vcc, exec, s[0:1]
	v_lshl_add_u64 v[4:5], v[4:5], 2, v[2:3]
	s_cbranch_vccnz .LBB161_23
; %bb.22:
	global_load_dword v9, v[4:5], off
	s_waitcnt vmcnt(0)
	v_fmac_f32_e32 v0, s33, v9
.LBB161_23:
	global_store_dword v[4:5], v0, off
.LBB161_24:
	s_or_b64 exec, exec, s[2:3]
	v_cmp_le_i32_e32 vcc, v8, v6
	s_and_b64 s[2:3], vcc, s[4:5]
	s_and_saveexec_b64 s[4:5], s[2:3]
	s_cbranch_execz .LBB161_28
; %bb.25:
	v_mul_f32_e32 v4, s34, v1
	s_and_b64 vcc, exec, s[0:1]
	v_lshl_add_u64 v[0:1], v[6:7], 2, v[2:3]
	s_cbranch_vccnz .LBB161_27
; %bb.26:
	global_load_dword v2, v[0:1], off
	s_waitcnt vmcnt(0)
	v_fmac_f32_e32 v4, s33, v2
.LBB161_27:
	global_store_dword v[0:1], v4, off
.LBB161_28:
	s_endpgm
	.section	.rodata,"a",@progbits
	.p2align	6, 0x0
	.amdhsa_kernel _ZL29rocblas_internal_gemmt_kernelIlLi16ELi32ELi8ELc67ELc67ELc76ELb0ELb0EfPKfS1_PfEviT_T9_T10_S3_lS5_S3_lS4_T11_S3_li
		.amdhsa_group_segment_fixed_size 2048
		.amdhsa_private_segment_fixed_size 0
		.amdhsa_kernarg_size 108
		.amdhsa_user_sgpr_count 2
		.amdhsa_user_sgpr_dispatch_ptr 0
		.amdhsa_user_sgpr_queue_ptr 0
		.amdhsa_user_sgpr_kernarg_segment_ptr 1
		.amdhsa_user_sgpr_dispatch_id 0
		.amdhsa_user_sgpr_kernarg_preload_length 0
		.amdhsa_user_sgpr_kernarg_preload_offset 0
		.amdhsa_user_sgpr_private_segment_size 0
		.amdhsa_uses_dynamic_stack 0
		.amdhsa_enable_private_segment 0
		.amdhsa_system_sgpr_workgroup_id_x 1
		.amdhsa_system_sgpr_workgroup_id_y 1
		.amdhsa_system_sgpr_workgroup_id_z 1
		.amdhsa_system_sgpr_workgroup_info 0
		.amdhsa_system_vgpr_workitem_id 1
		.amdhsa_next_free_vgpr 50
		.amdhsa_next_free_sgpr 35
		.amdhsa_accum_offset 52
		.amdhsa_reserve_vcc 1
		.amdhsa_float_round_mode_32 0
		.amdhsa_float_round_mode_16_64 0
		.amdhsa_float_denorm_mode_32 3
		.amdhsa_float_denorm_mode_16_64 3
		.amdhsa_dx10_clamp 1
		.amdhsa_ieee_mode 1
		.amdhsa_fp16_overflow 0
		.amdhsa_tg_split 0
		.amdhsa_exception_fp_ieee_invalid_op 0
		.amdhsa_exception_fp_denorm_src 0
		.amdhsa_exception_fp_ieee_div_zero 0
		.amdhsa_exception_fp_ieee_overflow 0
		.amdhsa_exception_fp_ieee_underflow 0
		.amdhsa_exception_fp_ieee_inexact 0
		.amdhsa_exception_int_div_zero 0
	.end_amdhsa_kernel
	.section	.text._ZL29rocblas_internal_gemmt_kernelIlLi16ELi32ELi8ELc67ELc67ELc76ELb0ELb0EfPKfS1_PfEviT_T9_T10_S3_lS5_S3_lS4_T11_S3_li,"axG",@progbits,_ZL29rocblas_internal_gemmt_kernelIlLi16ELi32ELi8ELc67ELc67ELc76ELb0ELb0EfPKfS1_PfEviT_T9_T10_S3_lS5_S3_lS4_T11_S3_li,comdat
.Lfunc_end161:
	.size	_ZL29rocblas_internal_gemmt_kernelIlLi16ELi32ELi8ELc67ELc67ELc76ELb0ELb0EfPKfS1_PfEviT_T9_T10_S3_lS5_S3_lS4_T11_S3_li, .Lfunc_end161-_ZL29rocblas_internal_gemmt_kernelIlLi16ELi32ELi8ELc67ELc67ELc76ELb0ELb0EfPKfS1_PfEviT_T9_T10_S3_lS5_S3_lS4_T11_S3_li
                                        ; -- End function
	.set _ZL29rocblas_internal_gemmt_kernelIlLi16ELi32ELi8ELc67ELc67ELc76ELb0ELb0EfPKfS1_PfEviT_T9_T10_S3_lS5_S3_lS4_T11_S3_li.num_vgpr, 50
	.set _ZL29rocblas_internal_gemmt_kernelIlLi16ELi32ELi8ELc67ELc67ELc76ELb0ELb0EfPKfS1_PfEviT_T9_T10_S3_lS5_S3_lS4_T11_S3_li.num_agpr, 0
	.set _ZL29rocblas_internal_gemmt_kernelIlLi16ELi32ELi8ELc67ELc67ELc76ELb0ELb0EfPKfS1_PfEviT_T9_T10_S3_lS5_S3_lS4_T11_S3_li.numbered_sgpr, 35
	.set _ZL29rocblas_internal_gemmt_kernelIlLi16ELi32ELi8ELc67ELc67ELc76ELb0ELb0EfPKfS1_PfEviT_T9_T10_S3_lS5_S3_lS4_T11_S3_li.num_named_barrier, 0
	.set _ZL29rocblas_internal_gemmt_kernelIlLi16ELi32ELi8ELc67ELc67ELc76ELb0ELb0EfPKfS1_PfEviT_T9_T10_S3_lS5_S3_lS4_T11_S3_li.private_seg_size, 0
	.set _ZL29rocblas_internal_gemmt_kernelIlLi16ELi32ELi8ELc67ELc67ELc76ELb0ELb0EfPKfS1_PfEviT_T9_T10_S3_lS5_S3_lS4_T11_S3_li.uses_vcc, 1
	.set _ZL29rocblas_internal_gemmt_kernelIlLi16ELi32ELi8ELc67ELc67ELc76ELb0ELb0EfPKfS1_PfEviT_T9_T10_S3_lS5_S3_lS4_T11_S3_li.uses_flat_scratch, 0
	.set _ZL29rocblas_internal_gemmt_kernelIlLi16ELi32ELi8ELc67ELc67ELc76ELb0ELb0EfPKfS1_PfEviT_T9_T10_S3_lS5_S3_lS4_T11_S3_li.has_dyn_sized_stack, 0
	.set _ZL29rocblas_internal_gemmt_kernelIlLi16ELi32ELi8ELc67ELc67ELc76ELb0ELb0EfPKfS1_PfEviT_T9_T10_S3_lS5_S3_lS4_T11_S3_li.has_recursion, 0
	.set _ZL29rocblas_internal_gemmt_kernelIlLi16ELi32ELi8ELc67ELc67ELc76ELb0ELb0EfPKfS1_PfEviT_T9_T10_S3_lS5_S3_lS4_T11_S3_li.has_indirect_call, 0
	.section	.AMDGPU.csdata,"",@progbits
; Kernel info:
; codeLenInByte = 1292
; TotalNumSgprs: 41
; NumVgprs: 50
; NumAgprs: 0
; TotalNumVgprs: 50
; ScratchSize: 0
; MemoryBound: 0
; FloatMode: 240
; IeeeMode: 1
; LDSByteSize: 2048 bytes/workgroup (compile time only)
; SGPRBlocks: 5
; VGPRBlocks: 6
; NumSGPRsForWavesPerEU: 41
; NumVGPRsForWavesPerEU: 50
; AccumOffset: 52
; Occupancy: 8
; WaveLimiterHint : 0
; COMPUTE_PGM_RSRC2:SCRATCH_EN: 0
; COMPUTE_PGM_RSRC2:USER_SGPR: 2
; COMPUTE_PGM_RSRC2:TRAP_HANDLER: 0
; COMPUTE_PGM_RSRC2:TGID_X_EN: 1
; COMPUTE_PGM_RSRC2:TGID_Y_EN: 1
; COMPUTE_PGM_RSRC2:TGID_Z_EN: 1
; COMPUTE_PGM_RSRC2:TIDIG_COMP_CNT: 1
; COMPUTE_PGM_RSRC3_GFX90A:ACCUM_OFFSET: 12
; COMPUTE_PGM_RSRC3_GFX90A:TG_SPLIT: 0
	.section	.text._ZL29rocblas_internal_gemmt_kernelIlLi16ELi32ELi8ELc78ELc78ELc85ELb0ELb0EffPKfPfEviT_T9_T10_S3_lS5_S3_lS4_T11_S3_li,"axG",@progbits,_ZL29rocblas_internal_gemmt_kernelIlLi16ELi32ELi8ELc78ELc78ELc85ELb0ELb0EffPKfPfEviT_T9_T10_S3_lS5_S3_lS4_T11_S3_li,comdat
	.globl	_ZL29rocblas_internal_gemmt_kernelIlLi16ELi32ELi8ELc78ELc78ELc85ELb0ELb0EffPKfPfEviT_T9_T10_S3_lS5_S3_lS4_T11_S3_li ; -- Begin function _ZL29rocblas_internal_gemmt_kernelIlLi16ELi32ELi8ELc78ELc78ELc85ELb0ELb0EffPKfPfEviT_T9_T10_S3_lS5_S3_lS4_T11_S3_li
	.p2align	8
	.type	_ZL29rocblas_internal_gemmt_kernelIlLi16ELi32ELi8ELc78ELc78ELc85ELb0ELb0EffPKfPfEviT_T9_T10_S3_lS5_S3_lS4_T11_S3_li,@function
_ZL29rocblas_internal_gemmt_kernelIlLi16ELi32ELi8ELc78ELc78ELc85ELb0ELb0EffPKfPfEviT_T9_T10_S3_lS5_S3_lS4_T11_S3_li: ; @_ZL29rocblas_internal_gemmt_kernelIlLi16ELi32ELi8ELc78ELc78ELc85ELb0ELb0EffPKfPfEviT_T9_T10_S3_lS5_S3_lS4_T11_S3_li
; %bb.0:
	s_load_dword s18, s[0:1], 0x48
	s_load_dwordx2 s[16:17], s[0:1], 0x8
	s_load_dword s19, s[0:1], 0x10
	s_waitcnt lgkmcnt(0)
	v_cmp_neq_f32_e64 s[6:7], s18, 1.0
	s_and_b64 vcc, exec, s[6:7]
	s_cbranch_vccnz .LBB162_2
; %bb.1:
	s_cmp_lg_u64 s[16:17], 0
	s_cselect_b64 s[6:7], -1, 0
	v_cmp_neq_f32_e64 s[8:9], s19, 0
	s_and_b64 s[6:7], s[6:7], s[8:9]
.LBB162_2:
	s_andn2_b64 vcc, exec, s[6:7]
	s_cbranch_vccnz .LBB162_28
; %bb.3:
	s_load_dword s20, s[0:1], 0x0
	s_lshl_b32 s5, s2, 5
	s_lshl_b32 s21, s3, 5
	v_cmp_eq_f32_e64 s[2:3], s19, 0
	v_cmp_lt_i64_e64 s[6:7], s[16:17], 1
	v_mov_b32_e32 v3, 0
	s_or_b64 s[2:3], s[2:3], s[6:7]
	v_and_b32_e32 v7, 0x3ff, v0
	v_bfe_u32 v5, v0, 10, 10
	s_and_b64 vcc, exec, s[2:3]
	v_mov_b32_e32 v2, v3
	v_mov_b32_e32 v1, v3
	;; [unrolled: 1-line block ×3, first 2 shown]
	s_cbranch_vccnz .LBB162_12
; %bb.4:
	s_load_dwordx8 s[8:15], s[0:1], 0x18
	s_load_dwordx4 s[24:27], s[0:1], 0x38
	v_lshl_add_u32 v0, v5, 4, v7
	v_and_b32_e32 v1, 31, v0
	v_lshrrev_b32_e32 v6, 5, v0
	v_lshrrev_b32_e32 v2, 3, v0
	s_waitcnt lgkmcnt(0)
	s_mul_i32 s2, s27, s4
	s_mul_hi_u32 s3, s26, s4
	s_add_i32 s3, s3, s2
	s_mul_i32 s2, s26, s4
	s_lshl_b64 s[2:3], s[2:3], 2
	s_add_u32 s14, s14, s2
	s_addc_u32 s15, s15, s3
	s_mul_i32 s2, s13, s4
	s_mul_hi_u32 s3, s12, s4
	s_add_i32 s3, s3, s2
	s_mul_i32 s2, s12, s4
	s_lshl_b64 s[2:3], s[2:3], 2
	v_or_b32_e32 v0, s5, v1
	s_add_u32 s6, s8, s2
	v_lshlrev_b32_e32 v1, 2, v1
	v_and_b32_e32 v4, 7, v7
	s_addc_u32 s7, s9, s3
	v_lshl_or_b32 v14, v6, 7, v1
	v_ashrrev_i32_e32 v1, 31, v0
	v_cmp_gt_i32_e64 s[2:3], s20, v0
	v_lshl_add_u64 v[8:9], v[0:1], 2, s[6:7]
	v_lshlrev_b32_e32 v0, 2, v4
	v_add_u32_e32 v3, s21, v2
	v_lshl_or_b32 v0, v2, 5, v0
	v_add_u32_e32 v15, 0x400, v0
	v_ashrrev_i32_e32 v0, 31, v3
	v_mul_lo_u32 v2, s24, v0
	v_mul_lo_u32 v10, s25, v3
	v_mad_u64_u32 v[0:1], s[8:9], s24, v3, 0
	v_add3_u32 v1, v1, v2, v10
	v_lshl_add_u64 v[10:11], v[0:1], 2, s[14:15]
	v_mov_b32_e32 v0, 0x400
	v_mov_b32_e32 v13, 0
	v_cmp_gt_i32_e64 s[6:7], s20, v3
	v_lshlrev_b32_e32 v16, 2, v7
	v_lshl_add_u32 v17, v5, 5, v0
	s_mov_b64 s[8:9], 0
	v_mov_b32_e32 v0, v13
	v_mov_b32_e32 v1, v13
	;; [unrolled: 1-line block ×4, first 2 shown]
	s_branch .LBB162_6
.LBB162_5:                              ;   in Loop: Header=BB162_6 Depth=1
	s_or_b64 exec, exec, s[12:13]
	s_waitcnt vmcnt(0)
	ds_write_b32 v15, v18
	s_waitcnt lgkmcnt(0)
	s_barrier
	ds_read_b128 v[18:21], v17
	ds_read_b128 v[22:25], v17 offset:16
	ds_read2_b32 v[34:35], v16 offset1:16
	ds_read2_b32 v[36:37], v16 offset0:32 offset1:48
	ds_read2_b32 v[38:39], v16 offset0:64 offset1:80
	;; [unrolled: 1-line block ×4, first 2 shown]
	ds_read_b128 v[26:29], v17 offset:512
	ds_read_b128 v[30:33], v17 offset:528
	ds_read2_b32 v[44:45], v16 offset0:160 offset1:176
	ds_read2_b32 v[46:47], v16 offset0:192 offset1:208
	;; [unrolled: 1-line block ×3, first 2 shown]
	s_waitcnt lgkmcnt(9)
	v_pk_fma_f32 v[2:3], v[34:35], v[18:19], v[2:3] op_sel_hi:[1,0,1]
	v_mov_b32_e32 v12, v21
	s_waitcnt lgkmcnt(8)
	v_pk_fma_f32 v[2:3], v[36:37], v[18:19], v[2:3] op_sel:[0,1,0]
	s_waitcnt lgkmcnt(4)
	v_pk_fma_f32 v[0:1], v[34:35], v[26:27], v[0:1] op_sel_hi:[1,0,1]
	v_pk_fma_f32 v[2:3], v[38:39], v[20:21], v[2:3] op_sel_hi:[1,0,1]
	v_pk_fma_f32 v[0:1], v[36:37], v[26:27], v[0:1] op_sel:[0,1,0]
	v_pk_fma_f32 v[2:3], v[40:41], v[12:13], v[2:3] op_sel_hi:[1,0,1]
	v_mov_b32_e32 v12, v25
	v_pk_fma_f32 v[2:3], v[42:43], v[22:23], v[2:3] op_sel_hi:[1,0,1]
	v_pk_fma_f32 v[0:1], v[38:39], v[28:29], v[0:1] op_sel_hi:[1,0,1]
	s_waitcnt lgkmcnt(2)
	v_pk_fma_f32 v[2:3], v[44:45], v[22:23], v[2:3] op_sel:[0,1,0]
	s_add_u32 s8, s8, 8
	s_waitcnt lgkmcnt(1)
	v_pk_fma_f32 v[2:3], v[46:47], v[24:25], v[2:3] op_sel_hi:[1,0,1]
	s_addc_u32 s9, s9, 0
	s_waitcnt lgkmcnt(0)
	v_pk_fma_f32 v[2:3], v[48:49], v[12:13], v[2:3] op_sel_hi:[1,0,1]
	v_mov_b32_e32 v12, v29
	v_pk_fma_f32 v[0:1], v[40:41], v[12:13], v[0:1] op_sel_hi:[1,0,1]
	v_mov_b64_e32 v[18:19], s[8:9]
	v_pk_fma_f32 v[0:1], v[42:43], v[30:31], v[0:1] op_sel_hi:[1,0,1]
	v_mov_b32_e32 v12, v33
	v_pk_fma_f32 v[0:1], v[44:45], v[30:31], v[0:1] op_sel:[0,1,0]
	v_cmp_gt_i64_e32 vcc, s[16:17], v[18:19]
	v_pk_fma_f32 v[0:1], v[46:47], v[32:33], v[0:1] op_sel_hi:[1,0,1]
	s_nop 0
	v_pk_fma_f32 v[0:1], v[48:49], v[12:13], v[0:1] op_sel_hi:[1,0,1]
	s_barrier
	s_cbranch_vccz .LBB162_12
.LBB162_6:                              ; =>This Inner Loop Header: Depth=1
	v_mov_b32_e32 v18, 0
	s_and_saveexec_b64 s[12:13], s[2:3]
	s_cbranch_execz .LBB162_10
; %bb.7:                                ;   in Loop: Header=BB162_6 Depth=1
	v_add_u32_e32 v12, s8, v6
	v_cmp_gt_u64_e32 vcc, s[16:17], v[12:13]
	v_mov_b32_e32 v18, 0
	s_and_saveexec_b64 s[14:15], vcc
	s_cbranch_execz .LBB162_9
; %bb.8:                                ;   in Loop: Header=BB162_6 Depth=1
	v_mad_u64_u32 v[18:19], s[22:23], s10, v12, 0
	v_mov_b32_e32 v20, v19
	v_mad_u64_u32 v[20:21], s[22:23], s11, v12, v[20:21]
	v_mov_b32_e32 v19, v20
	v_lshl_add_u64 v[18:19], v[18:19], 2, v[8:9]
	global_load_dword v18, v[18:19], off
.LBB162_9:                              ;   in Loop: Header=BB162_6 Depth=1
	s_or_b64 exec, exec, s[14:15]
.LBB162_10:                             ;   in Loop: Header=BB162_6 Depth=1
	s_or_b64 exec, exec, s[12:13]
	v_add_u32_e32 v12, s8, v4
	v_cmp_gt_u64_e32 vcc, s[16:17], v[12:13]
	s_waitcnt vmcnt(0)
	ds_write_b32 v14, v18
	s_and_b64 s[14:15], vcc, s[6:7]
	v_mov_b32_e32 v18, 0
	s_and_saveexec_b64 s[12:13], s[14:15]
	s_cbranch_execz .LBB162_5
; %bb.11:                               ;   in Loop: Header=BB162_6 Depth=1
	v_lshl_add_u64 v[18:19], v[12:13], 2, v[10:11]
	global_load_dword v18, v[18:19], off
	s_branch .LBB162_5
.LBB162_12:
	s_load_dwordx2 s[2:3], s[0:1], 0x60
	s_load_dwordx4 s[8:11], s[0:1], 0x50
	v_add_u32_e32 v10, s21, v5
	v_ashrrev_i32_e32 v5, 31, v10
	v_add_u32_e32 v4, s5, v7
	s_waitcnt lgkmcnt(0)
	s_mul_i32 s1, s3, s4
	s_mul_hi_u32 s3, s2, s4
	s_mul_i32 s0, s2, s4
	s_add_i32 s1, s3, s1
	s_lshl_b64 s[0:1], s[0:1], 2
	s_add_u32 s4, s8, s0
	s_addc_u32 s5, s9, s1
	v_mul_lo_u32 v5, s10, v5
	v_mul_lo_u32 v8, s11, v10
	v_mad_u64_u32 v[6:7], s[0:1], s10, v10, 0
	v_add3_u32 v7, v7, v5, v8
	v_cmp_neq_f32_e64 s[0:1], s18, 0
	v_cmp_gt_i32_e64 s[2:3], s20, v10
	v_lshl_add_u64 v[8:9], v[6:7], 2, s[4:5]
	v_cmp_le_i32_e32 vcc, v4, v10
	v_cndmask_b32_e64 v6, 0, 1, s[0:1]
	s_and_b64 s[8:9], s[2:3], vcc
	v_ashrrev_i32_e32 v5, 31, v4
	v_cmp_ne_u32_e64 s[0:1], 1, v6
	s_and_saveexec_b64 s[6:7], s[8:9]
	s_cbranch_execz .LBB162_16
; %bb.13:
	v_mul_f32_e32 v2, s19, v2
	s_and_b64 vcc, exec, s[0:1]
	v_lshl_add_u64 v[6:7], v[4:5], 2, v[8:9]
	s_cbranch_vccnz .LBB162_15
; %bb.14:
	global_load_dword v11, v[6:7], off
	s_waitcnt vmcnt(0)
	v_fmac_f32_e32 v2, s18, v11
.LBB162_15:
	global_store_dword v[6:7], v2, off
.LBB162_16:
	s_or_b64 exec, exec, s[6:7]
	v_add_u32_e32 v6, 16, v4
	v_cmp_le_i32_e32 vcc, v6, v10
	s_and_b64 s[6:7], s[2:3], vcc
	v_ashrrev_i32_e32 v7, 31, v6
	s_and_saveexec_b64 s[2:3], s[6:7]
	s_cbranch_execz .LBB162_20
; %bb.17:
	v_mul_f32_e32 v11, s19, v3
	s_and_b64 vcc, exec, s[0:1]
	v_lshl_add_u64 v[2:3], v[6:7], 2, v[8:9]
	s_cbranch_vccnz .LBB162_19
; %bb.18:
	global_load_dword v8, v[2:3], off
	s_waitcnt vmcnt(0)
	v_fmac_f32_e32 v11, s18, v8
.LBB162_19:
	global_store_dword v[2:3], v11, off
.LBB162_20:
	s_or_b64 exec, exec, s[2:3]
	v_add_u32_e32 v8, 16, v10
	v_ashrrev_i32_e32 v2, 31, v8
	v_mul_lo_u32 v9, s10, v2
	v_mul_lo_u32 v10, s11, v8
	v_mad_u64_u32 v[2:3], s[6:7], s10, v8, 0
	v_cmp_gt_i32_e64 s[2:3], s20, v8
	v_add3_u32 v3, v3, v9, v10
	v_cmp_le_i32_e32 vcc, v4, v8
	v_lshl_add_u64 v[2:3], v[2:3], 2, s[4:5]
	s_and_b64 s[6:7], s[2:3], vcc
	s_and_saveexec_b64 s[4:5], s[6:7]
	s_cbranch_execz .LBB162_24
; %bb.21:
	v_mul_f32_e32 v0, s19, v0
	s_and_b64 vcc, exec, s[0:1]
	v_lshl_add_u64 v[4:5], v[4:5], 2, v[2:3]
	s_cbranch_vccnz .LBB162_23
; %bb.22:
	global_load_dword v9, v[4:5], off
	s_waitcnt vmcnt(0)
	v_fmac_f32_e32 v0, s18, v9
.LBB162_23:
	global_store_dword v[4:5], v0, off
.LBB162_24:
	s_or_b64 exec, exec, s[4:5]
	v_cmp_le_i32_e32 vcc, v6, v8
	s_and_b64 s[2:3], s[2:3], vcc
	s_and_saveexec_b64 s[4:5], s[2:3]
	s_cbranch_execz .LBB162_28
; %bb.25:
	v_mul_f32_e32 v4, s19, v1
	s_and_b64 vcc, exec, s[0:1]
	v_lshl_add_u64 v[0:1], v[6:7], 2, v[2:3]
	s_cbranch_vccnz .LBB162_27
; %bb.26:
	global_load_dword v2, v[0:1], off
	s_waitcnt vmcnt(0)
	v_fmac_f32_e32 v4, s18, v2
.LBB162_27:
	global_store_dword v[0:1], v4, off
.LBB162_28:
	s_endpgm
	.section	.rodata,"a",@progbits
	.p2align	6, 0x0
	.amdhsa_kernel _ZL29rocblas_internal_gemmt_kernelIlLi16ELi32ELi8ELc78ELc78ELc85ELb0ELb0EffPKfPfEviT_T9_T10_S3_lS5_S3_lS4_T11_S3_li
		.amdhsa_group_segment_fixed_size 2048
		.amdhsa_private_segment_fixed_size 0
		.amdhsa_kernarg_size 108
		.amdhsa_user_sgpr_count 2
		.amdhsa_user_sgpr_dispatch_ptr 0
		.amdhsa_user_sgpr_queue_ptr 0
		.amdhsa_user_sgpr_kernarg_segment_ptr 1
		.amdhsa_user_sgpr_dispatch_id 0
		.amdhsa_user_sgpr_kernarg_preload_length 0
		.amdhsa_user_sgpr_kernarg_preload_offset 0
		.amdhsa_user_sgpr_private_segment_size 0
		.amdhsa_uses_dynamic_stack 0
		.amdhsa_enable_private_segment 0
		.amdhsa_system_sgpr_workgroup_id_x 1
		.amdhsa_system_sgpr_workgroup_id_y 1
		.amdhsa_system_sgpr_workgroup_id_z 1
		.amdhsa_system_sgpr_workgroup_info 0
		.amdhsa_system_vgpr_workitem_id 1
		.amdhsa_next_free_vgpr 50
		.amdhsa_next_free_sgpr 28
		.amdhsa_accum_offset 52
		.amdhsa_reserve_vcc 1
		.amdhsa_float_round_mode_32 0
		.amdhsa_float_round_mode_16_64 0
		.amdhsa_float_denorm_mode_32 3
		.amdhsa_float_denorm_mode_16_64 3
		.amdhsa_dx10_clamp 1
		.amdhsa_ieee_mode 1
		.amdhsa_fp16_overflow 0
		.amdhsa_tg_split 0
		.amdhsa_exception_fp_ieee_invalid_op 0
		.amdhsa_exception_fp_denorm_src 0
		.amdhsa_exception_fp_ieee_div_zero 0
		.amdhsa_exception_fp_ieee_overflow 0
		.amdhsa_exception_fp_ieee_underflow 0
		.amdhsa_exception_fp_ieee_inexact 0
		.amdhsa_exception_int_div_zero 0
	.end_amdhsa_kernel
	.section	.text._ZL29rocblas_internal_gemmt_kernelIlLi16ELi32ELi8ELc78ELc78ELc85ELb0ELb0EffPKfPfEviT_T9_T10_S3_lS5_S3_lS4_T11_S3_li,"axG",@progbits,_ZL29rocblas_internal_gemmt_kernelIlLi16ELi32ELi8ELc78ELc78ELc85ELb0ELb0EffPKfPfEviT_T9_T10_S3_lS5_S3_lS4_T11_S3_li,comdat
.Lfunc_end162:
	.size	_ZL29rocblas_internal_gemmt_kernelIlLi16ELi32ELi8ELc78ELc78ELc85ELb0ELb0EffPKfPfEviT_T9_T10_S3_lS5_S3_lS4_T11_S3_li, .Lfunc_end162-_ZL29rocblas_internal_gemmt_kernelIlLi16ELi32ELi8ELc78ELc78ELc85ELb0ELb0EffPKfPfEviT_T9_T10_S3_lS5_S3_lS4_T11_S3_li
                                        ; -- End function
	.set _ZL29rocblas_internal_gemmt_kernelIlLi16ELi32ELi8ELc78ELc78ELc85ELb0ELb0EffPKfPfEviT_T9_T10_S3_lS5_S3_lS4_T11_S3_li.num_vgpr, 50
	.set _ZL29rocblas_internal_gemmt_kernelIlLi16ELi32ELi8ELc78ELc78ELc85ELb0ELb0EffPKfPfEviT_T9_T10_S3_lS5_S3_lS4_T11_S3_li.num_agpr, 0
	.set _ZL29rocblas_internal_gemmt_kernelIlLi16ELi32ELi8ELc78ELc78ELc85ELb0ELb0EffPKfPfEviT_T9_T10_S3_lS5_S3_lS4_T11_S3_li.numbered_sgpr, 28
	.set _ZL29rocblas_internal_gemmt_kernelIlLi16ELi32ELi8ELc78ELc78ELc85ELb0ELb0EffPKfPfEviT_T9_T10_S3_lS5_S3_lS4_T11_S3_li.num_named_barrier, 0
	.set _ZL29rocblas_internal_gemmt_kernelIlLi16ELi32ELi8ELc78ELc78ELc85ELb0ELb0EffPKfPfEviT_T9_T10_S3_lS5_S3_lS4_T11_S3_li.private_seg_size, 0
	.set _ZL29rocblas_internal_gemmt_kernelIlLi16ELi32ELi8ELc78ELc78ELc85ELb0ELb0EffPKfPfEviT_T9_T10_S3_lS5_S3_lS4_T11_S3_li.uses_vcc, 1
	.set _ZL29rocblas_internal_gemmt_kernelIlLi16ELi32ELi8ELc78ELc78ELc85ELb0ELb0EffPKfPfEviT_T9_T10_S3_lS5_S3_lS4_T11_S3_li.uses_flat_scratch, 0
	.set _ZL29rocblas_internal_gemmt_kernelIlLi16ELi32ELi8ELc78ELc78ELc85ELb0ELb0EffPKfPfEviT_T9_T10_S3_lS5_S3_lS4_T11_S3_li.has_dyn_sized_stack, 0
	.set _ZL29rocblas_internal_gemmt_kernelIlLi16ELi32ELi8ELc78ELc78ELc85ELb0ELb0EffPKfPfEviT_T9_T10_S3_lS5_S3_lS4_T11_S3_li.has_recursion, 0
	.set _ZL29rocblas_internal_gemmt_kernelIlLi16ELi32ELi8ELc78ELc78ELc85ELb0ELb0EffPKfPfEviT_T9_T10_S3_lS5_S3_lS4_T11_S3_li.has_indirect_call, 0
	.section	.AMDGPU.csdata,"",@progbits
; Kernel info:
; codeLenInByte = 1316
; TotalNumSgprs: 34
; NumVgprs: 50
; NumAgprs: 0
; TotalNumVgprs: 50
; ScratchSize: 0
; MemoryBound: 0
; FloatMode: 240
; IeeeMode: 1
; LDSByteSize: 2048 bytes/workgroup (compile time only)
; SGPRBlocks: 4
; VGPRBlocks: 6
; NumSGPRsForWavesPerEU: 34
; NumVGPRsForWavesPerEU: 50
; AccumOffset: 52
; Occupancy: 8
; WaveLimiterHint : 0
; COMPUTE_PGM_RSRC2:SCRATCH_EN: 0
; COMPUTE_PGM_RSRC2:USER_SGPR: 2
; COMPUTE_PGM_RSRC2:TRAP_HANDLER: 0
; COMPUTE_PGM_RSRC2:TGID_X_EN: 1
; COMPUTE_PGM_RSRC2:TGID_Y_EN: 1
; COMPUTE_PGM_RSRC2:TGID_Z_EN: 1
; COMPUTE_PGM_RSRC2:TIDIG_COMP_CNT: 1
; COMPUTE_PGM_RSRC3_GFX90A:ACCUM_OFFSET: 12
; COMPUTE_PGM_RSRC3_GFX90A:TG_SPLIT: 0
	.section	.text._ZL29rocblas_internal_gemmt_kernelIlLi16ELi32ELi8ELc78ELc84ELc85ELb0ELb0EffPKfPfEviT_T9_T10_S3_lS5_S3_lS4_T11_S3_li,"axG",@progbits,_ZL29rocblas_internal_gemmt_kernelIlLi16ELi32ELi8ELc78ELc84ELc85ELb0ELb0EffPKfPfEviT_T9_T10_S3_lS5_S3_lS4_T11_S3_li,comdat
	.globl	_ZL29rocblas_internal_gemmt_kernelIlLi16ELi32ELi8ELc78ELc84ELc85ELb0ELb0EffPKfPfEviT_T9_T10_S3_lS5_S3_lS4_T11_S3_li ; -- Begin function _ZL29rocblas_internal_gemmt_kernelIlLi16ELi32ELi8ELc78ELc84ELc85ELb0ELb0EffPKfPfEviT_T9_T10_S3_lS5_S3_lS4_T11_S3_li
	.p2align	8
	.type	_ZL29rocblas_internal_gemmt_kernelIlLi16ELi32ELi8ELc78ELc84ELc85ELb0ELb0EffPKfPfEviT_T9_T10_S3_lS5_S3_lS4_T11_S3_li,@function
_ZL29rocblas_internal_gemmt_kernelIlLi16ELi32ELi8ELc78ELc84ELc85ELb0ELb0EffPKfPfEviT_T9_T10_S3_lS5_S3_lS4_T11_S3_li: ; @_ZL29rocblas_internal_gemmt_kernelIlLi16ELi32ELi8ELc78ELc84ELc85ELb0ELb0EffPKfPfEviT_T9_T10_S3_lS5_S3_lS4_T11_S3_li
; %bb.0:
	s_load_dword s22, s[0:1], 0x48
	s_load_dwordx2 s[20:21], s[0:1], 0x8
	s_load_dword s23, s[0:1], 0x10
	s_waitcnt lgkmcnt(0)
	v_cmp_neq_f32_e64 s[6:7], s22, 1.0
	s_and_b64 vcc, exec, s[6:7]
	s_cbranch_vccnz .LBB163_2
; %bb.1:
	s_cmp_lg_u64 s[20:21], 0
	s_cselect_b64 s[6:7], -1, 0
	v_cmp_neq_f32_e64 s[8:9], s23, 0
	s_and_b64 s[6:7], s[6:7], s[8:9]
.LBB163_2:
	s_andn2_b64 vcc, exec, s[6:7]
	s_cbranch_vccnz .LBB163_28
; %bb.3:
	s_load_dword s24, s[0:1], 0x0
	s_lshl_b32 s5, s2, 5
	s_lshl_b32 s25, s3, 5
	v_cmp_eq_f32_e64 s[2:3], s23, 0
	v_cmp_lt_i64_e64 s[6:7], s[20:21], 1
	v_mov_b32_e32 v3, 0
	s_or_b64 s[2:3], s[2:3], s[6:7]
	v_and_b32_e32 v7, 0x3ff, v0
	v_bfe_u32 v5, v0, 10, 10
	s_and_b64 vcc, exec, s[2:3]
	v_mov_b32_e32 v2, v3
	v_mov_b32_e32 v1, v3
	;; [unrolled: 1-line block ×3, first 2 shown]
	s_cbranch_vccnz .LBB163_12
; %bb.4:
	s_load_dwordx8 s[8:15], s[0:1], 0x18
	s_load_dwordx4 s[16:19], s[0:1], 0x38
	v_lshl_add_u32 v1, v5, 4, v7
	v_lshrrev_b32_e32 v6, 5, v1
	v_lshrrev_b32_e32 v10, 3, v1
	v_and_b32_e32 v1, 31, v1
	s_waitcnt lgkmcnt(0)
	s_mul_i32 s2, s19, s4
	s_mul_hi_u32 s3, s18, s4
	s_add_i32 s3, s3, s2
	s_mul_i32 s2, s18, s4
	s_lshl_b64 s[2:3], s[2:3], 2
	s_add_u32 s14, s14, s2
	s_addc_u32 s15, s15, s3
	s_mul_i32 s2, s13, s4
	s_mul_hi_u32 s3, s12, s4
	v_and_b32_e32 v4, 7, v7
	v_or_b32_e32 v2, s5, v1
	s_add_i32 s3, s3, s2
	s_mul_i32 s2, s12, s4
	v_lshlrev_b32_e32 v1, 2, v1
	s_lshl_b64 s[2:3], s[2:3], 2
	v_lshl_or_b32 v14, v6, 7, v1
	v_lshlrev_b32_e32 v1, 2, v4
	v_add_u32_e32 v0, s25, v10
	s_add_u32 s6, s8, s2
	v_lshl_or_b32 v1, v10, 5, v1
	s_addc_u32 s7, s9, s3
	v_ashrrev_i32_e32 v3, 31, v2
	v_add_u32_e32 v15, 0x400, v1
	v_ashrrev_i32_e32 v1, 31, v0
	v_lshl_add_u64 v[8:9], v[2:3], 2, s[6:7]
	v_cmp_gt_i32_e64 s[6:7], s24, v0
	v_lshl_add_u64 v[10:11], v[0:1], 2, s[14:15]
	v_mov_b32_e32 v0, 0x400
	v_mov_b32_e32 v13, 0
	v_cmp_gt_i32_e64 s[2:3], s24, v2
	v_lshlrev_b32_e32 v16, 2, v7
	v_lshl_add_u32 v17, v5, 5, v0
	s_mov_b64 s[8:9], 0
	v_mov_b32_e32 v0, v13
	v_mov_b32_e32 v1, v13
	;; [unrolled: 1-line block ×4, first 2 shown]
	s_branch .LBB163_6
.LBB163_5:                              ;   in Loop: Header=BB163_6 Depth=1
	s_or_b64 exec, exec, s[12:13]
	s_waitcnt vmcnt(0)
	ds_write_b32 v15, v18
	s_waitcnt lgkmcnt(0)
	s_barrier
	ds_read_b128 v[18:21], v17
	ds_read_b128 v[22:25], v17 offset:16
	ds_read2_b32 v[34:35], v16 offset1:16
	ds_read2_b32 v[36:37], v16 offset0:32 offset1:48
	ds_read2_b32 v[38:39], v16 offset0:64 offset1:80
	;; [unrolled: 1-line block ×4, first 2 shown]
	ds_read_b128 v[26:29], v17 offset:512
	ds_read_b128 v[30:33], v17 offset:528
	ds_read2_b32 v[44:45], v16 offset0:160 offset1:176
	ds_read2_b32 v[46:47], v16 offset0:192 offset1:208
	;; [unrolled: 1-line block ×3, first 2 shown]
	s_waitcnt lgkmcnt(9)
	v_pk_fma_f32 v[2:3], v[34:35], v[18:19], v[2:3] op_sel_hi:[1,0,1]
	v_mov_b32_e32 v12, v21
	s_waitcnt lgkmcnt(8)
	v_pk_fma_f32 v[2:3], v[36:37], v[18:19], v[2:3] op_sel:[0,1,0]
	s_waitcnt lgkmcnt(4)
	v_pk_fma_f32 v[0:1], v[34:35], v[26:27], v[0:1] op_sel_hi:[1,0,1]
	v_pk_fma_f32 v[2:3], v[38:39], v[20:21], v[2:3] op_sel_hi:[1,0,1]
	v_pk_fma_f32 v[0:1], v[36:37], v[26:27], v[0:1] op_sel:[0,1,0]
	v_pk_fma_f32 v[2:3], v[40:41], v[12:13], v[2:3] op_sel_hi:[1,0,1]
	v_mov_b32_e32 v12, v25
	v_pk_fma_f32 v[2:3], v[42:43], v[22:23], v[2:3] op_sel_hi:[1,0,1]
	v_pk_fma_f32 v[0:1], v[38:39], v[28:29], v[0:1] op_sel_hi:[1,0,1]
	s_waitcnt lgkmcnt(2)
	v_pk_fma_f32 v[2:3], v[44:45], v[22:23], v[2:3] op_sel:[0,1,0]
	s_add_u32 s8, s8, 8
	s_waitcnt lgkmcnt(1)
	v_pk_fma_f32 v[2:3], v[46:47], v[24:25], v[2:3] op_sel_hi:[1,0,1]
	s_addc_u32 s9, s9, 0
	s_waitcnt lgkmcnt(0)
	v_pk_fma_f32 v[2:3], v[48:49], v[12:13], v[2:3] op_sel_hi:[1,0,1]
	v_mov_b32_e32 v12, v29
	v_pk_fma_f32 v[0:1], v[40:41], v[12:13], v[0:1] op_sel_hi:[1,0,1]
	v_mov_b64_e32 v[18:19], s[8:9]
	v_pk_fma_f32 v[0:1], v[42:43], v[30:31], v[0:1] op_sel_hi:[1,0,1]
	v_mov_b32_e32 v12, v33
	v_pk_fma_f32 v[0:1], v[44:45], v[30:31], v[0:1] op_sel:[0,1,0]
	v_cmp_gt_i64_e32 vcc, s[20:21], v[18:19]
	v_pk_fma_f32 v[0:1], v[46:47], v[32:33], v[0:1] op_sel_hi:[1,0,1]
	s_nop 0
	v_pk_fma_f32 v[0:1], v[48:49], v[12:13], v[0:1] op_sel_hi:[1,0,1]
	s_barrier
	s_cbranch_vccz .LBB163_12
.LBB163_6:                              ; =>This Inner Loop Header: Depth=1
	v_mov_b32_e32 v18, 0
	s_and_saveexec_b64 s[12:13], s[2:3]
	s_cbranch_execz .LBB163_10
; %bb.7:                                ;   in Loop: Header=BB163_6 Depth=1
	v_add_u32_e32 v12, s8, v6
	v_cmp_gt_u64_e32 vcc, s[20:21], v[12:13]
	v_mov_b32_e32 v18, 0
	s_and_saveexec_b64 s[14:15], vcc
	s_cbranch_execz .LBB163_9
; %bb.8:                                ;   in Loop: Header=BB163_6 Depth=1
	v_mad_u64_u32 v[18:19], s[18:19], s10, v12, 0
	v_mov_b32_e32 v20, v19
	v_mad_u64_u32 v[20:21], s[18:19], s11, v12, v[20:21]
	v_mov_b32_e32 v19, v20
	v_lshl_add_u64 v[18:19], v[18:19], 2, v[8:9]
	global_load_dword v18, v[18:19], off
.LBB163_9:                              ;   in Loop: Header=BB163_6 Depth=1
	s_or_b64 exec, exec, s[14:15]
.LBB163_10:                             ;   in Loop: Header=BB163_6 Depth=1
	s_or_b64 exec, exec, s[12:13]
	v_add_u32_e32 v12, s8, v4
	v_cmp_gt_u64_e32 vcc, s[20:21], v[12:13]
	s_waitcnt vmcnt(0)
	ds_write_b32 v14, v18
	s_and_b64 s[14:15], vcc, s[6:7]
	v_mov_b32_e32 v18, 0
	s_and_saveexec_b64 s[12:13], s[14:15]
	s_cbranch_execz .LBB163_5
; %bb.11:                               ;   in Loop: Header=BB163_6 Depth=1
	v_mad_u64_u32 v[18:19], s[14:15], s16, v12, 0
	v_mov_b32_e32 v20, v19
	v_mad_u64_u32 v[20:21], s[14:15], s17, v12, v[20:21]
	v_mov_b32_e32 v19, v20
	v_lshl_add_u64 v[18:19], v[18:19], 2, v[10:11]
	global_load_dword v18, v[18:19], off
	s_branch .LBB163_5
.LBB163_12:
	s_load_dwordx2 s[2:3], s[0:1], 0x60
	s_load_dwordx4 s[8:11], s[0:1], 0x50
	v_add_u32_e32 v10, s25, v5
	v_ashrrev_i32_e32 v5, 31, v10
	v_add_u32_e32 v4, s5, v7
	s_waitcnt lgkmcnt(0)
	s_mul_i32 s1, s3, s4
	s_mul_hi_u32 s3, s2, s4
	s_mul_i32 s0, s2, s4
	s_add_i32 s1, s3, s1
	s_lshl_b64 s[0:1], s[0:1], 2
	s_add_u32 s4, s8, s0
	s_addc_u32 s5, s9, s1
	v_mul_lo_u32 v5, s10, v5
	v_mul_lo_u32 v8, s11, v10
	v_mad_u64_u32 v[6:7], s[0:1], s10, v10, 0
	v_add3_u32 v7, v7, v5, v8
	v_cmp_neq_f32_e64 s[0:1], s22, 0
	v_cmp_gt_i32_e64 s[2:3], s24, v10
	v_lshl_add_u64 v[8:9], v[6:7], 2, s[4:5]
	v_cmp_le_i32_e32 vcc, v4, v10
	v_cndmask_b32_e64 v6, 0, 1, s[0:1]
	s_and_b64 s[8:9], s[2:3], vcc
	v_ashrrev_i32_e32 v5, 31, v4
	v_cmp_ne_u32_e64 s[0:1], 1, v6
	s_and_saveexec_b64 s[6:7], s[8:9]
	s_cbranch_execz .LBB163_16
; %bb.13:
	v_mul_f32_e32 v2, s23, v2
	s_and_b64 vcc, exec, s[0:1]
	v_lshl_add_u64 v[6:7], v[4:5], 2, v[8:9]
	s_cbranch_vccnz .LBB163_15
; %bb.14:
	global_load_dword v11, v[6:7], off
	s_waitcnt vmcnt(0)
	v_fmac_f32_e32 v2, s22, v11
.LBB163_15:
	global_store_dword v[6:7], v2, off
.LBB163_16:
	s_or_b64 exec, exec, s[6:7]
	v_add_u32_e32 v6, 16, v4
	v_cmp_le_i32_e32 vcc, v6, v10
	s_and_b64 s[6:7], s[2:3], vcc
	v_ashrrev_i32_e32 v7, 31, v6
	s_and_saveexec_b64 s[2:3], s[6:7]
	s_cbranch_execz .LBB163_20
; %bb.17:
	v_mul_f32_e32 v11, s23, v3
	s_and_b64 vcc, exec, s[0:1]
	v_lshl_add_u64 v[2:3], v[6:7], 2, v[8:9]
	s_cbranch_vccnz .LBB163_19
; %bb.18:
	global_load_dword v8, v[2:3], off
	s_waitcnt vmcnt(0)
	v_fmac_f32_e32 v11, s22, v8
.LBB163_19:
	global_store_dword v[2:3], v11, off
.LBB163_20:
	s_or_b64 exec, exec, s[2:3]
	v_add_u32_e32 v8, 16, v10
	v_ashrrev_i32_e32 v2, 31, v8
	v_mul_lo_u32 v9, s10, v2
	v_mul_lo_u32 v10, s11, v8
	v_mad_u64_u32 v[2:3], s[6:7], s10, v8, 0
	v_cmp_gt_i32_e64 s[2:3], s24, v8
	v_add3_u32 v3, v3, v9, v10
	v_cmp_le_i32_e32 vcc, v4, v8
	v_lshl_add_u64 v[2:3], v[2:3], 2, s[4:5]
	s_and_b64 s[6:7], s[2:3], vcc
	s_and_saveexec_b64 s[4:5], s[6:7]
	s_cbranch_execz .LBB163_24
; %bb.21:
	v_mul_f32_e32 v0, s23, v0
	s_and_b64 vcc, exec, s[0:1]
	v_lshl_add_u64 v[4:5], v[4:5], 2, v[2:3]
	s_cbranch_vccnz .LBB163_23
; %bb.22:
	global_load_dword v9, v[4:5], off
	s_waitcnt vmcnt(0)
	v_fmac_f32_e32 v0, s22, v9
.LBB163_23:
	global_store_dword v[4:5], v0, off
.LBB163_24:
	s_or_b64 exec, exec, s[4:5]
	v_cmp_le_i32_e32 vcc, v6, v8
	s_and_b64 s[2:3], s[2:3], vcc
	s_and_saveexec_b64 s[4:5], s[2:3]
	s_cbranch_execz .LBB163_28
; %bb.25:
	v_mul_f32_e32 v4, s23, v1
	s_and_b64 vcc, exec, s[0:1]
	v_lshl_add_u64 v[0:1], v[6:7], 2, v[2:3]
	s_cbranch_vccnz .LBB163_27
; %bb.26:
	global_load_dword v2, v[0:1], off
	s_waitcnt vmcnt(0)
	v_fmac_f32_e32 v4, s22, v2
.LBB163_27:
	global_store_dword v[0:1], v4, off
.LBB163_28:
	s_endpgm
	.section	.rodata,"a",@progbits
	.p2align	6, 0x0
	.amdhsa_kernel _ZL29rocblas_internal_gemmt_kernelIlLi16ELi32ELi8ELc78ELc84ELc85ELb0ELb0EffPKfPfEviT_T9_T10_S3_lS5_S3_lS4_T11_S3_li
		.amdhsa_group_segment_fixed_size 2048
		.amdhsa_private_segment_fixed_size 0
		.amdhsa_kernarg_size 108
		.amdhsa_user_sgpr_count 2
		.amdhsa_user_sgpr_dispatch_ptr 0
		.amdhsa_user_sgpr_queue_ptr 0
		.amdhsa_user_sgpr_kernarg_segment_ptr 1
		.amdhsa_user_sgpr_dispatch_id 0
		.amdhsa_user_sgpr_kernarg_preload_length 0
		.amdhsa_user_sgpr_kernarg_preload_offset 0
		.amdhsa_user_sgpr_private_segment_size 0
		.amdhsa_uses_dynamic_stack 0
		.amdhsa_enable_private_segment 0
		.amdhsa_system_sgpr_workgroup_id_x 1
		.amdhsa_system_sgpr_workgroup_id_y 1
		.amdhsa_system_sgpr_workgroup_id_z 1
		.amdhsa_system_sgpr_workgroup_info 0
		.amdhsa_system_vgpr_workitem_id 1
		.amdhsa_next_free_vgpr 50
		.amdhsa_next_free_sgpr 26
		.amdhsa_accum_offset 52
		.amdhsa_reserve_vcc 1
		.amdhsa_float_round_mode_32 0
		.amdhsa_float_round_mode_16_64 0
		.amdhsa_float_denorm_mode_32 3
		.amdhsa_float_denorm_mode_16_64 3
		.amdhsa_dx10_clamp 1
		.amdhsa_ieee_mode 1
		.amdhsa_fp16_overflow 0
		.amdhsa_tg_split 0
		.amdhsa_exception_fp_ieee_invalid_op 0
		.amdhsa_exception_fp_denorm_src 0
		.amdhsa_exception_fp_ieee_div_zero 0
		.amdhsa_exception_fp_ieee_overflow 0
		.amdhsa_exception_fp_ieee_underflow 0
		.amdhsa_exception_fp_ieee_inexact 0
		.amdhsa_exception_int_div_zero 0
	.end_amdhsa_kernel
	.section	.text._ZL29rocblas_internal_gemmt_kernelIlLi16ELi32ELi8ELc78ELc84ELc85ELb0ELb0EffPKfPfEviT_T9_T10_S3_lS5_S3_lS4_T11_S3_li,"axG",@progbits,_ZL29rocblas_internal_gemmt_kernelIlLi16ELi32ELi8ELc78ELc84ELc85ELb0ELb0EffPKfPfEviT_T9_T10_S3_lS5_S3_lS4_T11_S3_li,comdat
.Lfunc_end163:
	.size	_ZL29rocblas_internal_gemmt_kernelIlLi16ELi32ELi8ELc78ELc84ELc85ELb0ELb0EffPKfPfEviT_T9_T10_S3_lS5_S3_lS4_T11_S3_li, .Lfunc_end163-_ZL29rocblas_internal_gemmt_kernelIlLi16ELi32ELi8ELc78ELc84ELc85ELb0ELb0EffPKfPfEviT_T9_T10_S3_lS5_S3_lS4_T11_S3_li
                                        ; -- End function
	.set _ZL29rocblas_internal_gemmt_kernelIlLi16ELi32ELi8ELc78ELc84ELc85ELb0ELb0EffPKfPfEviT_T9_T10_S3_lS5_S3_lS4_T11_S3_li.num_vgpr, 50
	.set _ZL29rocblas_internal_gemmt_kernelIlLi16ELi32ELi8ELc78ELc84ELc85ELb0ELb0EffPKfPfEviT_T9_T10_S3_lS5_S3_lS4_T11_S3_li.num_agpr, 0
	.set _ZL29rocblas_internal_gemmt_kernelIlLi16ELi32ELi8ELc78ELc84ELc85ELb0ELb0EffPKfPfEviT_T9_T10_S3_lS5_S3_lS4_T11_S3_li.numbered_sgpr, 26
	.set _ZL29rocblas_internal_gemmt_kernelIlLi16ELi32ELi8ELc78ELc84ELc85ELb0ELb0EffPKfPfEviT_T9_T10_S3_lS5_S3_lS4_T11_S3_li.num_named_barrier, 0
	.set _ZL29rocblas_internal_gemmt_kernelIlLi16ELi32ELi8ELc78ELc84ELc85ELb0ELb0EffPKfPfEviT_T9_T10_S3_lS5_S3_lS4_T11_S3_li.private_seg_size, 0
	.set _ZL29rocblas_internal_gemmt_kernelIlLi16ELi32ELi8ELc78ELc84ELc85ELb0ELb0EffPKfPfEviT_T9_T10_S3_lS5_S3_lS4_T11_S3_li.uses_vcc, 1
	.set _ZL29rocblas_internal_gemmt_kernelIlLi16ELi32ELi8ELc78ELc84ELc85ELb0ELb0EffPKfPfEviT_T9_T10_S3_lS5_S3_lS4_T11_S3_li.uses_flat_scratch, 0
	.set _ZL29rocblas_internal_gemmt_kernelIlLi16ELi32ELi8ELc78ELc84ELc85ELb0ELb0EffPKfPfEviT_T9_T10_S3_lS5_S3_lS4_T11_S3_li.has_dyn_sized_stack, 0
	.set _ZL29rocblas_internal_gemmt_kernelIlLi16ELi32ELi8ELc78ELc84ELc85ELb0ELb0EffPKfPfEviT_T9_T10_S3_lS5_S3_lS4_T11_S3_li.has_recursion, 0
	.set _ZL29rocblas_internal_gemmt_kernelIlLi16ELi32ELi8ELc78ELc84ELc85ELb0ELb0EffPKfPfEviT_T9_T10_S3_lS5_S3_lS4_T11_S3_li.has_indirect_call, 0
	.section	.AMDGPU.csdata,"",@progbits
; Kernel info:
; codeLenInByte = 1308
; TotalNumSgprs: 32
; NumVgprs: 50
; NumAgprs: 0
; TotalNumVgprs: 50
; ScratchSize: 0
; MemoryBound: 0
; FloatMode: 240
; IeeeMode: 1
; LDSByteSize: 2048 bytes/workgroup (compile time only)
; SGPRBlocks: 3
; VGPRBlocks: 6
; NumSGPRsForWavesPerEU: 32
; NumVGPRsForWavesPerEU: 50
; AccumOffset: 52
; Occupancy: 8
; WaveLimiterHint : 0
; COMPUTE_PGM_RSRC2:SCRATCH_EN: 0
; COMPUTE_PGM_RSRC2:USER_SGPR: 2
; COMPUTE_PGM_RSRC2:TRAP_HANDLER: 0
; COMPUTE_PGM_RSRC2:TGID_X_EN: 1
; COMPUTE_PGM_RSRC2:TGID_Y_EN: 1
; COMPUTE_PGM_RSRC2:TGID_Z_EN: 1
; COMPUTE_PGM_RSRC2:TIDIG_COMP_CNT: 1
; COMPUTE_PGM_RSRC3_GFX90A:ACCUM_OFFSET: 12
; COMPUTE_PGM_RSRC3_GFX90A:TG_SPLIT: 0
	.section	.text._ZL29rocblas_internal_gemmt_kernelIlLi16ELi32ELi8ELc78ELc67ELc85ELb0ELb0EffPKfPfEviT_T9_T10_S3_lS5_S3_lS4_T11_S3_li,"axG",@progbits,_ZL29rocblas_internal_gemmt_kernelIlLi16ELi32ELi8ELc78ELc67ELc85ELb0ELb0EffPKfPfEviT_T9_T10_S3_lS5_S3_lS4_T11_S3_li,comdat
	.globl	_ZL29rocblas_internal_gemmt_kernelIlLi16ELi32ELi8ELc78ELc67ELc85ELb0ELb0EffPKfPfEviT_T9_T10_S3_lS5_S3_lS4_T11_S3_li ; -- Begin function _ZL29rocblas_internal_gemmt_kernelIlLi16ELi32ELi8ELc78ELc67ELc85ELb0ELb0EffPKfPfEviT_T9_T10_S3_lS5_S3_lS4_T11_S3_li
	.p2align	8
	.type	_ZL29rocblas_internal_gemmt_kernelIlLi16ELi32ELi8ELc78ELc67ELc85ELb0ELb0EffPKfPfEviT_T9_T10_S3_lS5_S3_lS4_T11_S3_li,@function
_ZL29rocblas_internal_gemmt_kernelIlLi16ELi32ELi8ELc78ELc67ELc85ELb0ELb0EffPKfPfEviT_T9_T10_S3_lS5_S3_lS4_T11_S3_li: ; @_ZL29rocblas_internal_gemmt_kernelIlLi16ELi32ELi8ELc78ELc67ELc85ELb0ELb0EffPKfPfEviT_T9_T10_S3_lS5_S3_lS4_T11_S3_li
; %bb.0:
	s_load_dword s22, s[0:1], 0x48
	s_load_dwordx2 s[20:21], s[0:1], 0x8
	s_load_dword s23, s[0:1], 0x10
	s_waitcnt lgkmcnt(0)
	v_cmp_neq_f32_e64 s[6:7], s22, 1.0
	s_and_b64 vcc, exec, s[6:7]
	s_cbranch_vccnz .LBB164_2
; %bb.1:
	s_cmp_lg_u64 s[20:21], 0
	s_cselect_b64 s[6:7], -1, 0
	v_cmp_neq_f32_e64 s[8:9], s23, 0
	s_and_b64 s[6:7], s[6:7], s[8:9]
.LBB164_2:
	s_andn2_b64 vcc, exec, s[6:7]
	s_cbranch_vccnz .LBB164_28
; %bb.3:
	s_load_dword s24, s[0:1], 0x0
	s_lshl_b32 s5, s2, 5
	s_lshl_b32 s25, s3, 5
	v_cmp_eq_f32_e64 s[2:3], s23, 0
	v_cmp_lt_i64_e64 s[6:7], s[20:21], 1
	v_mov_b32_e32 v3, 0
	s_or_b64 s[2:3], s[2:3], s[6:7]
	v_and_b32_e32 v7, 0x3ff, v0
	v_bfe_u32 v5, v0, 10, 10
	s_and_b64 vcc, exec, s[2:3]
	v_mov_b32_e32 v2, v3
	v_mov_b32_e32 v1, v3
	v_mov_b32_e32 v0, v3
	s_cbranch_vccnz .LBB164_12
; %bb.4:
	s_load_dwordx8 s[8:15], s[0:1], 0x18
	s_load_dwordx4 s[16:19], s[0:1], 0x38
	v_lshl_add_u32 v1, v5, 4, v7
	v_lshrrev_b32_e32 v6, 5, v1
	v_lshrrev_b32_e32 v10, 3, v1
	v_and_b32_e32 v1, 31, v1
	s_waitcnt lgkmcnt(0)
	s_mul_i32 s2, s19, s4
	s_mul_hi_u32 s3, s18, s4
	s_add_i32 s3, s3, s2
	s_mul_i32 s2, s18, s4
	s_lshl_b64 s[2:3], s[2:3], 2
	s_add_u32 s14, s14, s2
	s_addc_u32 s15, s15, s3
	s_mul_i32 s2, s13, s4
	s_mul_hi_u32 s3, s12, s4
	v_and_b32_e32 v4, 7, v7
	v_or_b32_e32 v2, s5, v1
	s_add_i32 s3, s3, s2
	s_mul_i32 s2, s12, s4
	v_lshlrev_b32_e32 v1, 2, v1
	s_lshl_b64 s[2:3], s[2:3], 2
	v_lshl_or_b32 v14, v6, 7, v1
	v_lshlrev_b32_e32 v1, 2, v4
	v_add_u32_e32 v0, s25, v10
	s_add_u32 s6, s8, s2
	v_lshl_or_b32 v1, v10, 5, v1
	s_addc_u32 s7, s9, s3
	v_ashrrev_i32_e32 v3, 31, v2
	v_add_u32_e32 v15, 0x400, v1
	v_ashrrev_i32_e32 v1, 31, v0
	v_lshl_add_u64 v[8:9], v[2:3], 2, s[6:7]
	v_cmp_gt_i32_e64 s[6:7], s24, v0
	v_lshl_add_u64 v[10:11], v[0:1], 2, s[14:15]
	v_mov_b32_e32 v0, 0x400
	v_mov_b32_e32 v13, 0
	v_cmp_gt_i32_e64 s[2:3], s24, v2
	v_lshlrev_b32_e32 v16, 2, v7
	v_lshl_add_u32 v17, v5, 5, v0
	s_mov_b64 s[8:9], 0
	v_mov_b32_e32 v0, v13
	v_mov_b32_e32 v1, v13
	;; [unrolled: 1-line block ×4, first 2 shown]
	s_branch .LBB164_6
.LBB164_5:                              ;   in Loop: Header=BB164_6 Depth=1
	s_or_b64 exec, exec, s[12:13]
	s_waitcnt vmcnt(0)
	ds_write_b32 v15, v18
	s_waitcnt lgkmcnt(0)
	s_barrier
	ds_read_b128 v[18:21], v17
	ds_read_b128 v[22:25], v17 offset:16
	ds_read2_b32 v[34:35], v16 offset1:16
	ds_read2_b32 v[36:37], v16 offset0:32 offset1:48
	ds_read2_b32 v[38:39], v16 offset0:64 offset1:80
	;; [unrolled: 1-line block ×4, first 2 shown]
	ds_read_b128 v[26:29], v17 offset:512
	ds_read_b128 v[30:33], v17 offset:528
	ds_read2_b32 v[44:45], v16 offset0:160 offset1:176
	ds_read2_b32 v[46:47], v16 offset0:192 offset1:208
	;; [unrolled: 1-line block ×3, first 2 shown]
	s_waitcnt lgkmcnt(9)
	v_pk_fma_f32 v[2:3], v[34:35], v[18:19], v[2:3] op_sel_hi:[1,0,1]
	v_mov_b32_e32 v12, v21
	s_waitcnt lgkmcnt(8)
	v_pk_fma_f32 v[2:3], v[36:37], v[18:19], v[2:3] op_sel:[0,1,0]
	s_waitcnt lgkmcnt(4)
	v_pk_fma_f32 v[0:1], v[34:35], v[26:27], v[0:1] op_sel_hi:[1,0,1]
	v_pk_fma_f32 v[2:3], v[38:39], v[20:21], v[2:3] op_sel_hi:[1,0,1]
	v_pk_fma_f32 v[0:1], v[36:37], v[26:27], v[0:1] op_sel:[0,1,0]
	v_pk_fma_f32 v[2:3], v[40:41], v[12:13], v[2:3] op_sel_hi:[1,0,1]
	v_mov_b32_e32 v12, v25
	v_pk_fma_f32 v[2:3], v[42:43], v[22:23], v[2:3] op_sel_hi:[1,0,1]
	v_pk_fma_f32 v[0:1], v[38:39], v[28:29], v[0:1] op_sel_hi:[1,0,1]
	s_waitcnt lgkmcnt(2)
	v_pk_fma_f32 v[2:3], v[44:45], v[22:23], v[2:3] op_sel:[0,1,0]
	s_add_u32 s8, s8, 8
	s_waitcnt lgkmcnt(1)
	v_pk_fma_f32 v[2:3], v[46:47], v[24:25], v[2:3] op_sel_hi:[1,0,1]
	s_addc_u32 s9, s9, 0
	s_waitcnt lgkmcnt(0)
	v_pk_fma_f32 v[2:3], v[48:49], v[12:13], v[2:3] op_sel_hi:[1,0,1]
	v_mov_b32_e32 v12, v29
	v_pk_fma_f32 v[0:1], v[40:41], v[12:13], v[0:1] op_sel_hi:[1,0,1]
	v_mov_b64_e32 v[18:19], s[8:9]
	v_pk_fma_f32 v[0:1], v[42:43], v[30:31], v[0:1] op_sel_hi:[1,0,1]
	v_mov_b32_e32 v12, v33
	v_pk_fma_f32 v[0:1], v[44:45], v[30:31], v[0:1] op_sel:[0,1,0]
	v_cmp_gt_i64_e32 vcc, s[20:21], v[18:19]
	v_pk_fma_f32 v[0:1], v[46:47], v[32:33], v[0:1] op_sel_hi:[1,0,1]
	s_nop 0
	v_pk_fma_f32 v[0:1], v[48:49], v[12:13], v[0:1] op_sel_hi:[1,0,1]
	s_barrier
	s_cbranch_vccz .LBB164_12
.LBB164_6:                              ; =>This Inner Loop Header: Depth=1
	v_mov_b32_e32 v18, 0
	s_and_saveexec_b64 s[12:13], s[2:3]
	s_cbranch_execz .LBB164_10
; %bb.7:                                ;   in Loop: Header=BB164_6 Depth=1
	v_add_u32_e32 v12, s8, v6
	v_cmp_gt_u64_e32 vcc, s[20:21], v[12:13]
	v_mov_b32_e32 v18, 0
	s_and_saveexec_b64 s[14:15], vcc
	s_cbranch_execz .LBB164_9
; %bb.8:                                ;   in Loop: Header=BB164_6 Depth=1
	v_mad_u64_u32 v[18:19], s[18:19], s10, v12, 0
	v_mov_b32_e32 v20, v19
	v_mad_u64_u32 v[20:21], s[18:19], s11, v12, v[20:21]
	v_mov_b32_e32 v19, v20
	v_lshl_add_u64 v[18:19], v[18:19], 2, v[8:9]
	global_load_dword v18, v[18:19], off
.LBB164_9:                              ;   in Loop: Header=BB164_6 Depth=1
	s_or_b64 exec, exec, s[14:15]
.LBB164_10:                             ;   in Loop: Header=BB164_6 Depth=1
	s_or_b64 exec, exec, s[12:13]
	v_add_u32_e32 v12, s8, v4
	v_cmp_gt_u64_e32 vcc, s[20:21], v[12:13]
	s_waitcnt vmcnt(0)
	ds_write_b32 v14, v18
	s_and_b64 s[14:15], vcc, s[6:7]
	v_mov_b32_e32 v18, 0
	s_and_saveexec_b64 s[12:13], s[14:15]
	s_cbranch_execz .LBB164_5
; %bb.11:                               ;   in Loop: Header=BB164_6 Depth=1
	v_mad_u64_u32 v[18:19], s[14:15], s16, v12, 0
	v_mov_b32_e32 v20, v19
	v_mad_u64_u32 v[20:21], s[14:15], s17, v12, v[20:21]
	v_mov_b32_e32 v19, v20
	v_lshl_add_u64 v[18:19], v[18:19], 2, v[10:11]
	global_load_dword v18, v[18:19], off
	s_branch .LBB164_5
.LBB164_12:
	s_load_dwordx2 s[2:3], s[0:1], 0x60
	s_load_dwordx4 s[8:11], s[0:1], 0x50
	v_add_u32_e32 v10, s25, v5
	v_ashrrev_i32_e32 v5, 31, v10
	v_add_u32_e32 v4, s5, v7
	s_waitcnt lgkmcnt(0)
	s_mul_i32 s1, s3, s4
	s_mul_hi_u32 s3, s2, s4
	s_mul_i32 s0, s2, s4
	s_add_i32 s1, s3, s1
	s_lshl_b64 s[0:1], s[0:1], 2
	s_add_u32 s4, s8, s0
	s_addc_u32 s5, s9, s1
	v_mul_lo_u32 v5, s10, v5
	v_mul_lo_u32 v8, s11, v10
	v_mad_u64_u32 v[6:7], s[0:1], s10, v10, 0
	v_add3_u32 v7, v7, v5, v8
	v_cmp_neq_f32_e64 s[0:1], s22, 0
	v_cmp_gt_i32_e64 s[2:3], s24, v10
	v_lshl_add_u64 v[8:9], v[6:7], 2, s[4:5]
	v_cmp_le_i32_e32 vcc, v4, v10
	v_cndmask_b32_e64 v6, 0, 1, s[0:1]
	s_and_b64 s[8:9], s[2:3], vcc
	v_ashrrev_i32_e32 v5, 31, v4
	v_cmp_ne_u32_e64 s[0:1], 1, v6
	s_and_saveexec_b64 s[6:7], s[8:9]
	s_cbranch_execz .LBB164_16
; %bb.13:
	v_mul_f32_e32 v2, s23, v2
	s_and_b64 vcc, exec, s[0:1]
	v_lshl_add_u64 v[6:7], v[4:5], 2, v[8:9]
	s_cbranch_vccnz .LBB164_15
; %bb.14:
	global_load_dword v11, v[6:7], off
	s_waitcnt vmcnt(0)
	v_fmac_f32_e32 v2, s22, v11
.LBB164_15:
	global_store_dword v[6:7], v2, off
.LBB164_16:
	s_or_b64 exec, exec, s[6:7]
	v_add_u32_e32 v6, 16, v4
	v_cmp_le_i32_e32 vcc, v6, v10
	s_and_b64 s[6:7], s[2:3], vcc
	v_ashrrev_i32_e32 v7, 31, v6
	s_and_saveexec_b64 s[2:3], s[6:7]
	s_cbranch_execz .LBB164_20
; %bb.17:
	v_mul_f32_e32 v11, s23, v3
	s_and_b64 vcc, exec, s[0:1]
	v_lshl_add_u64 v[2:3], v[6:7], 2, v[8:9]
	s_cbranch_vccnz .LBB164_19
; %bb.18:
	global_load_dword v8, v[2:3], off
	s_waitcnt vmcnt(0)
	v_fmac_f32_e32 v11, s22, v8
.LBB164_19:
	global_store_dword v[2:3], v11, off
.LBB164_20:
	s_or_b64 exec, exec, s[2:3]
	v_add_u32_e32 v8, 16, v10
	v_ashrrev_i32_e32 v2, 31, v8
	v_mul_lo_u32 v9, s10, v2
	v_mul_lo_u32 v10, s11, v8
	v_mad_u64_u32 v[2:3], s[6:7], s10, v8, 0
	v_cmp_gt_i32_e64 s[2:3], s24, v8
	v_add3_u32 v3, v3, v9, v10
	v_cmp_le_i32_e32 vcc, v4, v8
	v_lshl_add_u64 v[2:3], v[2:3], 2, s[4:5]
	s_and_b64 s[6:7], s[2:3], vcc
	s_and_saveexec_b64 s[4:5], s[6:7]
	s_cbranch_execz .LBB164_24
; %bb.21:
	v_mul_f32_e32 v0, s23, v0
	s_and_b64 vcc, exec, s[0:1]
	v_lshl_add_u64 v[4:5], v[4:5], 2, v[2:3]
	s_cbranch_vccnz .LBB164_23
; %bb.22:
	global_load_dword v9, v[4:5], off
	s_waitcnt vmcnt(0)
	v_fmac_f32_e32 v0, s22, v9
.LBB164_23:
	global_store_dword v[4:5], v0, off
.LBB164_24:
	s_or_b64 exec, exec, s[4:5]
	v_cmp_le_i32_e32 vcc, v6, v8
	s_and_b64 s[2:3], s[2:3], vcc
	s_and_saveexec_b64 s[4:5], s[2:3]
	s_cbranch_execz .LBB164_28
; %bb.25:
	v_mul_f32_e32 v4, s23, v1
	s_and_b64 vcc, exec, s[0:1]
	v_lshl_add_u64 v[0:1], v[6:7], 2, v[2:3]
	s_cbranch_vccnz .LBB164_27
; %bb.26:
	global_load_dword v2, v[0:1], off
	s_waitcnt vmcnt(0)
	v_fmac_f32_e32 v4, s22, v2
.LBB164_27:
	global_store_dword v[0:1], v4, off
.LBB164_28:
	s_endpgm
	.section	.rodata,"a",@progbits
	.p2align	6, 0x0
	.amdhsa_kernel _ZL29rocblas_internal_gemmt_kernelIlLi16ELi32ELi8ELc78ELc67ELc85ELb0ELb0EffPKfPfEviT_T9_T10_S3_lS5_S3_lS4_T11_S3_li
		.amdhsa_group_segment_fixed_size 2048
		.amdhsa_private_segment_fixed_size 0
		.amdhsa_kernarg_size 108
		.amdhsa_user_sgpr_count 2
		.amdhsa_user_sgpr_dispatch_ptr 0
		.amdhsa_user_sgpr_queue_ptr 0
		.amdhsa_user_sgpr_kernarg_segment_ptr 1
		.amdhsa_user_sgpr_dispatch_id 0
		.amdhsa_user_sgpr_kernarg_preload_length 0
		.amdhsa_user_sgpr_kernarg_preload_offset 0
		.amdhsa_user_sgpr_private_segment_size 0
		.amdhsa_uses_dynamic_stack 0
		.amdhsa_enable_private_segment 0
		.amdhsa_system_sgpr_workgroup_id_x 1
		.amdhsa_system_sgpr_workgroup_id_y 1
		.amdhsa_system_sgpr_workgroup_id_z 1
		.amdhsa_system_sgpr_workgroup_info 0
		.amdhsa_system_vgpr_workitem_id 1
		.amdhsa_next_free_vgpr 50
		.amdhsa_next_free_sgpr 26
		.amdhsa_accum_offset 52
		.amdhsa_reserve_vcc 1
		.amdhsa_float_round_mode_32 0
		.amdhsa_float_round_mode_16_64 0
		.amdhsa_float_denorm_mode_32 3
		.amdhsa_float_denorm_mode_16_64 3
		.amdhsa_dx10_clamp 1
		.amdhsa_ieee_mode 1
		.amdhsa_fp16_overflow 0
		.amdhsa_tg_split 0
		.amdhsa_exception_fp_ieee_invalid_op 0
		.amdhsa_exception_fp_denorm_src 0
		.amdhsa_exception_fp_ieee_div_zero 0
		.amdhsa_exception_fp_ieee_overflow 0
		.amdhsa_exception_fp_ieee_underflow 0
		.amdhsa_exception_fp_ieee_inexact 0
		.amdhsa_exception_int_div_zero 0
	.end_amdhsa_kernel
	.section	.text._ZL29rocblas_internal_gemmt_kernelIlLi16ELi32ELi8ELc78ELc67ELc85ELb0ELb0EffPKfPfEviT_T9_T10_S3_lS5_S3_lS4_T11_S3_li,"axG",@progbits,_ZL29rocblas_internal_gemmt_kernelIlLi16ELi32ELi8ELc78ELc67ELc85ELb0ELb0EffPKfPfEviT_T9_T10_S3_lS5_S3_lS4_T11_S3_li,comdat
.Lfunc_end164:
	.size	_ZL29rocblas_internal_gemmt_kernelIlLi16ELi32ELi8ELc78ELc67ELc85ELb0ELb0EffPKfPfEviT_T9_T10_S3_lS5_S3_lS4_T11_S3_li, .Lfunc_end164-_ZL29rocblas_internal_gemmt_kernelIlLi16ELi32ELi8ELc78ELc67ELc85ELb0ELb0EffPKfPfEviT_T9_T10_S3_lS5_S3_lS4_T11_S3_li
                                        ; -- End function
	.set _ZL29rocblas_internal_gemmt_kernelIlLi16ELi32ELi8ELc78ELc67ELc85ELb0ELb0EffPKfPfEviT_T9_T10_S3_lS5_S3_lS4_T11_S3_li.num_vgpr, 50
	.set _ZL29rocblas_internal_gemmt_kernelIlLi16ELi32ELi8ELc78ELc67ELc85ELb0ELb0EffPKfPfEviT_T9_T10_S3_lS5_S3_lS4_T11_S3_li.num_agpr, 0
	.set _ZL29rocblas_internal_gemmt_kernelIlLi16ELi32ELi8ELc78ELc67ELc85ELb0ELb0EffPKfPfEviT_T9_T10_S3_lS5_S3_lS4_T11_S3_li.numbered_sgpr, 26
	.set _ZL29rocblas_internal_gemmt_kernelIlLi16ELi32ELi8ELc78ELc67ELc85ELb0ELb0EffPKfPfEviT_T9_T10_S3_lS5_S3_lS4_T11_S3_li.num_named_barrier, 0
	.set _ZL29rocblas_internal_gemmt_kernelIlLi16ELi32ELi8ELc78ELc67ELc85ELb0ELb0EffPKfPfEviT_T9_T10_S3_lS5_S3_lS4_T11_S3_li.private_seg_size, 0
	.set _ZL29rocblas_internal_gemmt_kernelIlLi16ELi32ELi8ELc78ELc67ELc85ELb0ELb0EffPKfPfEviT_T9_T10_S3_lS5_S3_lS4_T11_S3_li.uses_vcc, 1
	.set _ZL29rocblas_internal_gemmt_kernelIlLi16ELi32ELi8ELc78ELc67ELc85ELb0ELb0EffPKfPfEviT_T9_T10_S3_lS5_S3_lS4_T11_S3_li.uses_flat_scratch, 0
	.set _ZL29rocblas_internal_gemmt_kernelIlLi16ELi32ELi8ELc78ELc67ELc85ELb0ELb0EffPKfPfEviT_T9_T10_S3_lS5_S3_lS4_T11_S3_li.has_dyn_sized_stack, 0
	.set _ZL29rocblas_internal_gemmt_kernelIlLi16ELi32ELi8ELc78ELc67ELc85ELb0ELb0EffPKfPfEviT_T9_T10_S3_lS5_S3_lS4_T11_S3_li.has_recursion, 0
	.set _ZL29rocblas_internal_gemmt_kernelIlLi16ELi32ELi8ELc78ELc67ELc85ELb0ELb0EffPKfPfEviT_T9_T10_S3_lS5_S3_lS4_T11_S3_li.has_indirect_call, 0
	.section	.AMDGPU.csdata,"",@progbits
; Kernel info:
; codeLenInByte = 1308
; TotalNumSgprs: 32
; NumVgprs: 50
; NumAgprs: 0
; TotalNumVgprs: 50
; ScratchSize: 0
; MemoryBound: 0
; FloatMode: 240
; IeeeMode: 1
; LDSByteSize: 2048 bytes/workgroup (compile time only)
; SGPRBlocks: 3
; VGPRBlocks: 6
; NumSGPRsForWavesPerEU: 32
; NumVGPRsForWavesPerEU: 50
; AccumOffset: 52
; Occupancy: 8
; WaveLimiterHint : 0
; COMPUTE_PGM_RSRC2:SCRATCH_EN: 0
; COMPUTE_PGM_RSRC2:USER_SGPR: 2
; COMPUTE_PGM_RSRC2:TRAP_HANDLER: 0
; COMPUTE_PGM_RSRC2:TGID_X_EN: 1
; COMPUTE_PGM_RSRC2:TGID_Y_EN: 1
; COMPUTE_PGM_RSRC2:TGID_Z_EN: 1
; COMPUTE_PGM_RSRC2:TIDIG_COMP_CNT: 1
; COMPUTE_PGM_RSRC3_GFX90A:ACCUM_OFFSET: 12
; COMPUTE_PGM_RSRC3_GFX90A:TG_SPLIT: 0
	.section	.text._ZL29rocblas_internal_gemmt_kernelIlLi16ELi32ELi8ELc84ELc78ELc85ELb0ELb0EffPKfPfEviT_T9_T10_S3_lS5_S3_lS4_T11_S3_li,"axG",@progbits,_ZL29rocblas_internal_gemmt_kernelIlLi16ELi32ELi8ELc84ELc78ELc85ELb0ELb0EffPKfPfEviT_T9_T10_S3_lS5_S3_lS4_T11_S3_li,comdat
	.globl	_ZL29rocblas_internal_gemmt_kernelIlLi16ELi32ELi8ELc84ELc78ELc85ELb0ELb0EffPKfPfEviT_T9_T10_S3_lS5_S3_lS4_T11_S3_li ; -- Begin function _ZL29rocblas_internal_gemmt_kernelIlLi16ELi32ELi8ELc84ELc78ELc85ELb0ELb0EffPKfPfEviT_T9_T10_S3_lS5_S3_lS4_T11_S3_li
	.p2align	8
	.type	_ZL29rocblas_internal_gemmt_kernelIlLi16ELi32ELi8ELc84ELc78ELc85ELb0ELb0EffPKfPfEviT_T9_T10_S3_lS5_S3_lS4_T11_S3_li,@function
_ZL29rocblas_internal_gemmt_kernelIlLi16ELi32ELi8ELc84ELc78ELc85ELb0ELb0EffPKfPfEviT_T9_T10_S3_lS5_S3_lS4_T11_S3_li: ; @_ZL29rocblas_internal_gemmt_kernelIlLi16ELi32ELi8ELc84ELc78ELc85ELb0ELb0EffPKfPfEviT_T9_T10_S3_lS5_S3_lS4_T11_S3_li
; %bb.0:
	s_load_dword s16, s[0:1], 0x48
	s_load_dwordx2 s[8:9], s[0:1], 0x8
	s_load_dword s17, s[0:1], 0x10
	s_waitcnt lgkmcnt(0)
	v_cmp_neq_f32_e64 s[6:7], s16, 1.0
	s_and_b64 vcc, exec, s[6:7]
	s_cbranch_vccnz .LBB165_2
; %bb.1:
	s_cmp_lg_u64 s[8:9], 0
	s_cselect_b64 s[6:7], -1, 0
	v_cmp_neq_f32_e64 s[10:11], s17, 0
	s_and_b64 s[6:7], s[6:7], s[10:11]
.LBB165_2:
	s_andn2_b64 vcc, exec, s[6:7]
	s_cbranch_vccnz .LBB165_28
; %bb.3:
	s_load_dword s18, s[0:1], 0x0
	s_lshl_b32 s5, s2, 5
	s_lshl_b32 s19, s3, 5
	v_cmp_eq_f32_e64 s[2:3], s17, 0
	v_cmp_lt_i64_e64 s[6:7], s[8:9], 1
	v_mov_b32_e32 v3, 0
	s_or_b64 s[2:3], s[2:3], s[6:7]
	v_and_b32_e32 v7, 0x3ff, v0
	v_bfe_u32 v5, v0, 10, 10
	s_and_b64 vcc, exec, s[2:3]
	v_mov_b32_e32 v2, v3
	v_mov_b32_e32 v1, v3
	;; [unrolled: 1-line block ×3, first 2 shown]
	s_cbranch_vccnz .LBB165_12
; %bb.4:
	s_load_dwordx8 s[20:27], s[0:1], 0x18
	s_load_dwordx4 s[12:15], s[0:1], 0x38
	v_lshl_add_u32 v0, v5, 4, v7
	v_lshrrev_b32_e32 v6, 5, v0
	v_lshrrev_b32_e32 v2, 3, v0
	v_and_b32_e32 v0, 31, v0
	s_waitcnt lgkmcnt(0)
	s_mul_i32 s2, s15, s4
	s_mul_hi_u32 s3, s14, s4
	s_add_i32 s3, s3, s2
	s_mul_i32 s2, s14, s4
	s_lshl_b64 s[2:3], s[2:3], 2
	s_add_u32 s10, s26, s2
	s_addc_u32 s11, s27, s3
	s_mul_i32 s2, s25, s4
	s_mul_hi_u32 s3, s24, s4
	s_add_i32 s3, s3, s2
	s_mul_i32 s2, s24, s4
	s_lshl_b64 s[2:3], s[2:3], 2
	v_or_b32_e32 v1, s5, v0
	s_add_u32 s6, s20, s2
	v_lshlrev_b32_e32 v0, 2, v0
	s_addc_u32 s7, s21, s3
	v_cmp_gt_i32_e64 s[2:3], s18, v1
	v_lshl_or_b32 v14, v6, 7, v0
	s_ashr_i32 s20, s5, 31
	v_mul_lo_u32 v8, s23, v1
	v_mad_u64_u32 v[0:1], s[14:15], s22, v1, 0
	s_mul_i32 s14, s22, s20
	v_and_b32_e32 v4, 7, v7
	v_add3_u32 v1, v1, s14, v8
	v_lshl_add_u64 v[8:9], v[0:1], 2, s[6:7]
	v_lshlrev_b32_e32 v0, 2, v4
	v_add_u32_e32 v3, s19, v2
	v_lshl_or_b32 v0, v2, 5, v0
	v_add_u32_e32 v15, 0x400, v0
	v_ashrrev_i32_e32 v0, 31, v3
	v_mul_lo_u32 v2, s12, v0
	v_mul_lo_u32 v10, s13, v3
	v_mad_u64_u32 v[0:1], s[12:13], s12, v3, 0
	v_add3_u32 v1, v1, v2, v10
	v_lshl_add_u64 v[10:11], v[0:1], 2, s[10:11]
	v_mov_b32_e32 v0, 0x400
	v_mov_b32_e32 v13, 0
	v_cmp_gt_i32_e64 s[6:7], s18, v3
	v_lshlrev_b32_e32 v16, 2, v7
	v_lshl_add_u32 v17, v5, 5, v0
	s_mov_b64 s[10:11], 0
	v_mov_b32_e32 v0, v13
	v_mov_b32_e32 v1, v13
	;; [unrolled: 1-line block ×4, first 2 shown]
	s_branch .LBB165_6
.LBB165_5:                              ;   in Loop: Header=BB165_6 Depth=1
	s_or_b64 exec, exec, s[12:13]
	s_waitcnt vmcnt(0)
	ds_write_b32 v15, v18
	s_waitcnt lgkmcnt(0)
	s_barrier
	ds_read_b128 v[18:21], v17
	ds_read_b128 v[22:25], v17 offset:16
	ds_read2_b32 v[34:35], v16 offset1:16
	ds_read2_b32 v[36:37], v16 offset0:32 offset1:48
	ds_read2_b32 v[38:39], v16 offset0:64 offset1:80
	;; [unrolled: 1-line block ×4, first 2 shown]
	ds_read_b128 v[26:29], v17 offset:512
	ds_read_b128 v[30:33], v17 offset:528
	ds_read2_b32 v[44:45], v16 offset0:160 offset1:176
	ds_read2_b32 v[46:47], v16 offset0:192 offset1:208
	;; [unrolled: 1-line block ×3, first 2 shown]
	s_waitcnt lgkmcnt(9)
	v_pk_fma_f32 v[2:3], v[34:35], v[18:19], v[2:3] op_sel_hi:[1,0,1]
	v_mov_b32_e32 v12, v21
	s_waitcnt lgkmcnt(8)
	v_pk_fma_f32 v[2:3], v[36:37], v[18:19], v[2:3] op_sel:[0,1,0]
	s_waitcnt lgkmcnt(4)
	v_pk_fma_f32 v[0:1], v[34:35], v[26:27], v[0:1] op_sel_hi:[1,0,1]
	v_pk_fma_f32 v[2:3], v[38:39], v[20:21], v[2:3] op_sel_hi:[1,0,1]
	v_pk_fma_f32 v[0:1], v[36:37], v[26:27], v[0:1] op_sel:[0,1,0]
	v_pk_fma_f32 v[2:3], v[40:41], v[12:13], v[2:3] op_sel_hi:[1,0,1]
	v_mov_b32_e32 v12, v25
	v_pk_fma_f32 v[2:3], v[42:43], v[22:23], v[2:3] op_sel_hi:[1,0,1]
	v_pk_fma_f32 v[0:1], v[38:39], v[28:29], v[0:1] op_sel_hi:[1,0,1]
	s_waitcnt lgkmcnt(2)
	v_pk_fma_f32 v[2:3], v[44:45], v[22:23], v[2:3] op_sel:[0,1,0]
	s_add_u32 s10, s10, 8
	s_waitcnt lgkmcnt(1)
	v_pk_fma_f32 v[2:3], v[46:47], v[24:25], v[2:3] op_sel_hi:[1,0,1]
	s_addc_u32 s11, s11, 0
	s_waitcnt lgkmcnt(0)
	v_pk_fma_f32 v[2:3], v[48:49], v[12:13], v[2:3] op_sel_hi:[1,0,1]
	v_mov_b32_e32 v12, v29
	v_pk_fma_f32 v[0:1], v[40:41], v[12:13], v[0:1] op_sel_hi:[1,0,1]
	v_mov_b64_e32 v[18:19], s[10:11]
	v_pk_fma_f32 v[0:1], v[42:43], v[30:31], v[0:1] op_sel_hi:[1,0,1]
	v_mov_b32_e32 v12, v33
	v_pk_fma_f32 v[0:1], v[44:45], v[30:31], v[0:1] op_sel:[0,1,0]
	v_cmp_gt_i64_e32 vcc, s[8:9], v[18:19]
	v_pk_fma_f32 v[0:1], v[46:47], v[32:33], v[0:1] op_sel_hi:[1,0,1]
	s_nop 0
	v_pk_fma_f32 v[0:1], v[48:49], v[12:13], v[0:1] op_sel_hi:[1,0,1]
	s_barrier
	s_cbranch_vccz .LBB165_12
.LBB165_6:                              ; =>This Inner Loop Header: Depth=1
	v_mov_b32_e32 v18, 0
	s_and_saveexec_b64 s[12:13], s[2:3]
	s_cbranch_execz .LBB165_10
; %bb.7:                                ;   in Loop: Header=BB165_6 Depth=1
	v_add_u32_e32 v12, s10, v6
	v_cmp_gt_u64_e32 vcc, s[8:9], v[12:13]
	v_mov_b32_e32 v18, 0
	s_and_saveexec_b64 s[14:15], vcc
	s_cbranch_execz .LBB165_9
; %bb.8:                                ;   in Loop: Header=BB165_6 Depth=1
	v_lshl_add_u64 v[18:19], v[12:13], 2, v[8:9]
	global_load_dword v18, v[18:19], off
.LBB165_9:                              ;   in Loop: Header=BB165_6 Depth=1
	s_or_b64 exec, exec, s[14:15]
.LBB165_10:                             ;   in Loop: Header=BB165_6 Depth=1
	s_or_b64 exec, exec, s[12:13]
	v_add_u32_e32 v12, s10, v4
	v_cmp_gt_u64_e32 vcc, s[8:9], v[12:13]
	s_waitcnt vmcnt(0)
	ds_write_b32 v14, v18
	s_and_b64 s[14:15], vcc, s[6:7]
	v_mov_b32_e32 v18, 0
	s_and_saveexec_b64 s[12:13], s[14:15]
	s_cbranch_execz .LBB165_5
; %bb.11:                               ;   in Loop: Header=BB165_6 Depth=1
	v_lshl_add_u64 v[18:19], v[12:13], 2, v[10:11]
	global_load_dword v18, v[18:19], off
	s_branch .LBB165_5
.LBB165_12:
	s_load_dwordx2 s[2:3], s[0:1], 0x60
	s_load_dwordx4 s[8:11], s[0:1], 0x50
	v_add_u32_e32 v10, s19, v5
	v_ashrrev_i32_e32 v5, 31, v10
	v_add_u32_e32 v4, s5, v7
	s_waitcnt lgkmcnt(0)
	s_mul_i32 s1, s3, s4
	s_mul_hi_u32 s3, s2, s4
	s_mul_i32 s0, s2, s4
	s_add_i32 s1, s3, s1
	s_lshl_b64 s[0:1], s[0:1], 2
	s_add_u32 s4, s8, s0
	s_addc_u32 s5, s9, s1
	v_mul_lo_u32 v5, s10, v5
	v_mul_lo_u32 v8, s11, v10
	v_mad_u64_u32 v[6:7], s[0:1], s10, v10, 0
	v_add3_u32 v7, v7, v5, v8
	v_cmp_neq_f32_e64 s[0:1], s16, 0
	v_cmp_gt_i32_e64 s[2:3], s18, v10
	v_lshl_add_u64 v[8:9], v[6:7], 2, s[4:5]
	v_cmp_le_i32_e32 vcc, v4, v10
	v_cndmask_b32_e64 v6, 0, 1, s[0:1]
	s_and_b64 s[8:9], s[2:3], vcc
	v_ashrrev_i32_e32 v5, 31, v4
	v_cmp_ne_u32_e64 s[0:1], 1, v6
	s_and_saveexec_b64 s[6:7], s[8:9]
	s_cbranch_execz .LBB165_16
; %bb.13:
	v_mul_f32_e32 v2, s17, v2
	s_and_b64 vcc, exec, s[0:1]
	v_lshl_add_u64 v[6:7], v[4:5], 2, v[8:9]
	s_cbranch_vccnz .LBB165_15
; %bb.14:
	global_load_dword v11, v[6:7], off
	s_waitcnt vmcnt(0)
	v_fmac_f32_e32 v2, s16, v11
.LBB165_15:
	global_store_dword v[6:7], v2, off
.LBB165_16:
	s_or_b64 exec, exec, s[6:7]
	v_add_u32_e32 v6, 16, v4
	v_cmp_le_i32_e32 vcc, v6, v10
	s_and_b64 s[6:7], s[2:3], vcc
	v_ashrrev_i32_e32 v7, 31, v6
	s_and_saveexec_b64 s[2:3], s[6:7]
	s_cbranch_execz .LBB165_20
; %bb.17:
	v_mul_f32_e32 v11, s17, v3
	s_and_b64 vcc, exec, s[0:1]
	v_lshl_add_u64 v[2:3], v[6:7], 2, v[8:9]
	s_cbranch_vccnz .LBB165_19
; %bb.18:
	global_load_dword v8, v[2:3], off
	s_waitcnt vmcnt(0)
	v_fmac_f32_e32 v11, s16, v8
.LBB165_19:
	global_store_dword v[2:3], v11, off
.LBB165_20:
	s_or_b64 exec, exec, s[2:3]
	v_add_u32_e32 v8, 16, v10
	v_ashrrev_i32_e32 v2, 31, v8
	v_mul_lo_u32 v9, s10, v2
	v_mul_lo_u32 v10, s11, v8
	v_mad_u64_u32 v[2:3], s[6:7], s10, v8, 0
	v_cmp_gt_i32_e64 s[2:3], s18, v8
	v_add3_u32 v3, v3, v9, v10
	v_cmp_le_i32_e32 vcc, v4, v8
	v_lshl_add_u64 v[2:3], v[2:3], 2, s[4:5]
	s_and_b64 s[6:7], s[2:3], vcc
	s_and_saveexec_b64 s[4:5], s[6:7]
	s_cbranch_execz .LBB165_24
; %bb.21:
	v_mul_f32_e32 v0, s17, v0
	s_and_b64 vcc, exec, s[0:1]
	v_lshl_add_u64 v[4:5], v[4:5], 2, v[2:3]
	s_cbranch_vccnz .LBB165_23
; %bb.22:
	global_load_dword v9, v[4:5], off
	s_waitcnt vmcnt(0)
	v_fmac_f32_e32 v0, s16, v9
.LBB165_23:
	global_store_dword v[4:5], v0, off
.LBB165_24:
	s_or_b64 exec, exec, s[4:5]
	v_cmp_le_i32_e32 vcc, v6, v8
	s_and_b64 s[2:3], s[2:3], vcc
	s_and_saveexec_b64 s[4:5], s[2:3]
	s_cbranch_execz .LBB165_28
; %bb.25:
	v_mul_f32_e32 v4, s17, v1
	s_and_b64 vcc, exec, s[0:1]
	v_lshl_add_u64 v[0:1], v[6:7], 2, v[2:3]
	s_cbranch_vccnz .LBB165_27
; %bb.26:
	global_load_dword v2, v[0:1], off
	s_waitcnt vmcnt(0)
	v_fmac_f32_e32 v4, s16, v2
.LBB165_27:
	global_store_dword v[0:1], v4, off
.LBB165_28:
	s_endpgm
	.section	.rodata,"a",@progbits
	.p2align	6, 0x0
	.amdhsa_kernel _ZL29rocblas_internal_gemmt_kernelIlLi16ELi32ELi8ELc84ELc78ELc85ELb0ELb0EffPKfPfEviT_T9_T10_S3_lS5_S3_lS4_T11_S3_li
		.amdhsa_group_segment_fixed_size 2048
		.amdhsa_private_segment_fixed_size 0
		.amdhsa_kernarg_size 108
		.amdhsa_user_sgpr_count 2
		.amdhsa_user_sgpr_dispatch_ptr 0
		.amdhsa_user_sgpr_queue_ptr 0
		.amdhsa_user_sgpr_kernarg_segment_ptr 1
		.amdhsa_user_sgpr_dispatch_id 0
		.amdhsa_user_sgpr_kernarg_preload_length 0
		.amdhsa_user_sgpr_kernarg_preload_offset 0
		.amdhsa_user_sgpr_private_segment_size 0
		.amdhsa_uses_dynamic_stack 0
		.amdhsa_enable_private_segment 0
		.amdhsa_system_sgpr_workgroup_id_x 1
		.amdhsa_system_sgpr_workgroup_id_y 1
		.amdhsa_system_sgpr_workgroup_id_z 1
		.amdhsa_system_sgpr_workgroup_info 0
		.amdhsa_system_vgpr_workitem_id 1
		.amdhsa_next_free_vgpr 50
		.amdhsa_next_free_sgpr 28
		.amdhsa_accum_offset 52
		.amdhsa_reserve_vcc 1
		.amdhsa_float_round_mode_32 0
		.amdhsa_float_round_mode_16_64 0
		.amdhsa_float_denorm_mode_32 3
		.amdhsa_float_denorm_mode_16_64 3
		.amdhsa_dx10_clamp 1
		.amdhsa_ieee_mode 1
		.amdhsa_fp16_overflow 0
		.amdhsa_tg_split 0
		.amdhsa_exception_fp_ieee_invalid_op 0
		.amdhsa_exception_fp_denorm_src 0
		.amdhsa_exception_fp_ieee_div_zero 0
		.amdhsa_exception_fp_ieee_overflow 0
		.amdhsa_exception_fp_ieee_underflow 0
		.amdhsa_exception_fp_ieee_inexact 0
		.amdhsa_exception_int_div_zero 0
	.end_amdhsa_kernel
	.section	.text._ZL29rocblas_internal_gemmt_kernelIlLi16ELi32ELi8ELc84ELc78ELc85ELb0ELb0EffPKfPfEviT_T9_T10_S3_lS5_S3_lS4_T11_S3_li,"axG",@progbits,_ZL29rocblas_internal_gemmt_kernelIlLi16ELi32ELi8ELc84ELc78ELc85ELb0ELb0EffPKfPfEviT_T9_T10_S3_lS5_S3_lS4_T11_S3_li,comdat
.Lfunc_end165:
	.size	_ZL29rocblas_internal_gemmt_kernelIlLi16ELi32ELi8ELc84ELc78ELc85ELb0ELb0EffPKfPfEviT_T9_T10_S3_lS5_S3_lS4_T11_S3_li, .Lfunc_end165-_ZL29rocblas_internal_gemmt_kernelIlLi16ELi32ELi8ELc84ELc78ELc85ELb0ELb0EffPKfPfEviT_T9_T10_S3_lS5_S3_lS4_T11_S3_li
                                        ; -- End function
	.set _ZL29rocblas_internal_gemmt_kernelIlLi16ELi32ELi8ELc84ELc78ELc85ELb0ELb0EffPKfPfEviT_T9_T10_S3_lS5_S3_lS4_T11_S3_li.num_vgpr, 50
	.set _ZL29rocblas_internal_gemmt_kernelIlLi16ELi32ELi8ELc84ELc78ELc85ELb0ELb0EffPKfPfEviT_T9_T10_S3_lS5_S3_lS4_T11_S3_li.num_agpr, 0
	.set _ZL29rocblas_internal_gemmt_kernelIlLi16ELi32ELi8ELc84ELc78ELc85ELb0ELb0EffPKfPfEviT_T9_T10_S3_lS5_S3_lS4_T11_S3_li.numbered_sgpr, 28
	.set _ZL29rocblas_internal_gemmt_kernelIlLi16ELi32ELi8ELc84ELc78ELc85ELb0ELb0EffPKfPfEviT_T9_T10_S3_lS5_S3_lS4_T11_S3_li.num_named_barrier, 0
	.set _ZL29rocblas_internal_gemmt_kernelIlLi16ELi32ELi8ELc84ELc78ELc85ELb0ELb0EffPKfPfEviT_T9_T10_S3_lS5_S3_lS4_T11_S3_li.private_seg_size, 0
	.set _ZL29rocblas_internal_gemmt_kernelIlLi16ELi32ELi8ELc84ELc78ELc85ELb0ELb0EffPKfPfEviT_T9_T10_S3_lS5_S3_lS4_T11_S3_li.uses_vcc, 1
	.set _ZL29rocblas_internal_gemmt_kernelIlLi16ELi32ELi8ELc84ELc78ELc85ELb0ELb0EffPKfPfEviT_T9_T10_S3_lS5_S3_lS4_T11_S3_li.uses_flat_scratch, 0
	.set _ZL29rocblas_internal_gemmt_kernelIlLi16ELi32ELi8ELc84ELc78ELc85ELb0ELb0EffPKfPfEviT_T9_T10_S3_lS5_S3_lS4_T11_S3_li.has_dyn_sized_stack, 0
	.set _ZL29rocblas_internal_gemmt_kernelIlLi16ELi32ELi8ELc84ELc78ELc85ELb0ELb0EffPKfPfEviT_T9_T10_S3_lS5_S3_lS4_T11_S3_li.has_recursion, 0
	.set _ZL29rocblas_internal_gemmt_kernelIlLi16ELi32ELi8ELc84ELc78ELc85ELb0ELb0EffPKfPfEviT_T9_T10_S3_lS5_S3_lS4_T11_S3_li.has_indirect_call, 0
	.section	.AMDGPU.csdata,"",@progbits
; Kernel info:
; codeLenInByte = 1320
; TotalNumSgprs: 34
; NumVgprs: 50
; NumAgprs: 0
; TotalNumVgprs: 50
; ScratchSize: 0
; MemoryBound: 0
; FloatMode: 240
; IeeeMode: 1
; LDSByteSize: 2048 bytes/workgroup (compile time only)
; SGPRBlocks: 4
; VGPRBlocks: 6
; NumSGPRsForWavesPerEU: 34
; NumVGPRsForWavesPerEU: 50
; AccumOffset: 52
; Occupancy: 8
; WaveLimiterHint : 0
; COMPUTE_PGM_RSRC2:SCRATCH_EN: 0
; COMPUTE_PGM_RSRC2:USER_SGPR: 2
; COMPUTE_PGM_RSRC2:TRAP_HANDLER: 0
; COMPUTE_PGM_RSRC2:TGID_X_EN: 1
; COMPUTE_PGM_RSRC2:TGID_Y_EN: 1
; COMPUTE_PGM_RSRC2:TGID_Z_EN: 1
; COMPUTE_PGM_RSRC2:TIDIG_COMP_CNT: 1
; COMPUTE_PGM_RSRC3_GFX90A:ACCUM_OFFSET: 12
; COMPUTE_PGM_RSRC3_GFX90A:TG_SPLIT: 0
	.section	.text._ZL29rocblas_internal_gemmt_kernelIlLi16ELi32ELi8ELc84ELc84ELc85ELb0ELb0EffPKfPfEviT_T9_T10_S3_lS5_S3_lS4_T11_S3_li,"axG",@progbits,_ZL29rocblas_internal_gemmt_kernelIlLi16ELi32ELi8ELc84ELc84ELc85ELb0ELb0EffPKfPfEviT_T9_T10_S3_lS5_S3_lS4_T11_S3_li,comdat
	.globl	_ZL29rocblas_internal_gemmt_kernelIlLi16ELi32ELi8ELc84ELc84ELc85ELb0ELb0EffPKfPfEviT_T9_T10_S3_lS5_S3_lS4_T11_S3_li ; -- Begin function _ZL29rocblas_internal_gemmt_kernelIlLi16ELi32ELi8ELc84ELc84ELc85ELb0ELb0EffPKfPfEviT_T9_T10_S3_lS5_S3_lS4_T11_S3_li
	.p2align	8
	.type	_ZL29rocblas_internal_gemmt_kernelIlLi16ELi32ELi8ELc84ELc84ELc85ELb0ELb0EffPKfPfEviT_T9_T10_S3_lS5_S3_lS4_T11_S3_li,@function
_ZL29rocblas_internal_gemmt_kernelIlLi16ELi32ELi8ELc84ELc84ELc85ELb0ELb0EffPKfPfEviT_T9_T10_S3_lS5_S3_lS4_T11_S3_li: ; @_ZL29rocblas_internal_gemmt_kernelIlLi16ELi32ELi8ELc84ELc84ELc85ELb0ELb0EffPKfPfEviT_T9_T10_S3_lS5_S3_lS4_T11_S3_li
; %bb.0:
	s_load_dword s18, s[0:1], 0x48
	s_load_dwordx2 s[12:13], s[0:1], 0x8
	s_load_dword s19, s[0:1], 0x10
	s_waitcnt lgkmcnt(0)
	v_cmp_neq_f32_e64 s[6:7], s18, 1.0
	s_and_b64 vcc, exec, s[6:7]
	s_cbranch_vccnz .LBB166_2
; %bb.1:
	s_cmp_lg_u64 s[12:13], 0
	s_cselect_b64 s[6:7], -1, 0
	v_cmp_neq_f32_e64 s[8:9], s19, 0
	s_and_b64 s[6:7], s[6:7], s[8:9]
.LBB166_2:
	s_andn2_b64 vcc, exec, s[6:7]
	s_cbranch_vccnz .LBB166_28
; %bb.3:
	s_load_dword s20, s[0:1], 0x0
	s_lshl_b32 s5, s2, 5
	s_lshl_b32 s21, s3, 5
	v_cmp_eq_f32_e64 s[2:3], s19, 0
	v_cmp_lt_i64_e64 s[6:7], s[12:13], 1
	v_mov_b32_e32 v3, 0
	s_or_b64 s[2:3], s[2:3], s[6:7]
	v_and_b32_e32 v7, 0x3ff, v0
	v_bfe_u32 v5, v0, 10, 10
	s_and_b64 vcc, exec, s[2:3]
	v_mov_b32_e32 v2, v3
	v_mov_b32_e32 v1, v3
	;; [unrolled: 1-line block ×3, first 2 shown]
	s_cbranch_vccnz .LBB166_12
; %bb.4:
	s_load_dwordx8 s[24:31], s[0:1], 0x18
	s_load_dwordx4 s[8:11], s[0:1], 0x38
	v_lshl_add_u32 v1, v5, 4, v7
	v_lshrrev_b32_e32 v6, 5, v1
	v_lshrrev_b32_e32 v10, 3, v1
	v_and_b32_e32 v1, 31, v1
	s_waitcnt lgkmcnt(0)
	s_mul_i32 s2, s11, s4
	s_mul_hi_u32 s3, s10, s4
	s_add_i32 s3, s3, s2
	s_mul_i32 s2, s10, s4
	s_lshl_b64 s[2:3], s[2:3], 2
	s_add_u32 s10, s30, s2
	s_addc_u32 s11, s31, s3
	s_mul_i32 s2, s29, s4
	s_mul_hi_u32 s3, s28, s4
	s_add_i32 s3, s3, s2
	s_mul_i32 s2, s28, s4
	s_lshl_b64 s[2:3], s[2:3], 2
	v_or_b32_e32 v2, s5, v1
	s_add_u32 s6, s24, s2
	v_lshlrev_b32_e32 v1, 2, v1
	s_addc_u32 s7, s25, s3
	v_cmp_gt_i32_e64 s[2:3], s20, v2
	v_lshl_or_b32 v14, v6, 7, v1
	s_ashr_i32 s16, s5, 31
	v_mul_lo_u32 v1, s27, v2
	v_mad_u64_u32 v[2:3], s[14:15], s26, v2, 0
	v_and_b32_e32 v4, 7, v7
	s_mul_i32 s14, s26, s16
	v_add3_u32 v3, v3, s14, v1
	v_lshlrev_b32_e32 v1, 2, v4
	v_add_u32_e32 v0, s21, v10
	v_lshl_or_b32 v1, v10, 5, v1
	v_add_u32_e32 v15, 0x400, v1
	v_ashrrev_i32_e32 v1, 31, v0
	v_lshl_add_u64 v[8:9], v[2:3], 2, s[6:7]
	v_cmp_gt_i32_e64 s[6:7], s20, v0
	v_lshl_add_u64 v[10:11], v[0:1], 2, s[10:11]
	v_mov_b32_e32 v0, 0x400
	v_mov_b32_e32 v13, 0
	v_lshlrev_b32_e32 v16, 2, v7
	v_lshl_add_u32 v17, v5, 5, v0
	s_mov_b64 s[10:11], 0
	v_mov_b32_e32 v0, v13
	v_mov_b32_e32 v1, v13
	;; [unrolled: 1-line block ×4, first 2 shown]
	s_branch .LBB166_6
.LBB166_5:                              ;   in Loop: Header=BB166_6 Depth=1
	s_or_b64 exec, exec, s[14:15]
	s_waitcnt vmcnt(0)
	ds_write_b32 v15, v18
	s_waitcnt lgkmcnt(0)
	s_barrier
	ds_read_b128 v[18:21], v17
	ds_read_b128 v[22:25], v17 offset:16
	ds_read2_b32 v[34:35], v16 offset1:16
	ds_read2_b32 v[36:37], v16 offset0:32 offset1:48
	ds_read2_b32 v[38:39], v16 offset0:64 offset1:80
	;; [unrolled: 1-line block ×4, first 2 shown]
	ds_read_b128 v[26:29], v17 offset:512
	ds_read_b128 v[30:33], v17 offset:528
	ds_read2_b32 v[44:45], v16 offset0:160 offset1:176
	ds_read2_b32 v[46:47], v16 offset0:192 offset1:208
	;; [unrolled: 1-line block ×3, first 2 shown]
	s_waitcnt lgkmcnt(9)
	v_pk_fma_f32 v[2:3], v[34:35], v[18:19], v[2:3] op_sel_hi:[1,0,1]
	v_mov_b32_e32 v12, v21
	s_waitcnt lgkmcnt(8)
	v_pk_fma_f32 v[2:3], v[36:37], v[18:19], v[2:3] op_sel:[0,1,0]
	s_waitcnt lgkmcnt(4)
	v_pk_fma_f32 v[0:1], v[34:35], v[26:27], v[0:1] op_sel_hi:[1,0,1]
	v_pk_fma_f32 v[2:3], v[38:39], v[20:21], v[2:3] op_sel_hi:[1,0,1]
	v_pk_fma_f32 v[0:1], v[36:37], v[26:27], v[0:1] op_sel:[0,1,0]
	v_pk_fma_f32 v[2:3], v[40:41], v[12:13], v[2:3] op_sel_hi:[1,0,1]
	v_mov_b32_e32 v12, v25
	v_pk_fma_f32 v[2:3], v[42:43], v[22:23], v[2:3] op_sel_hi:[1,0,1]
	v_pk_fma_f32 v[0:1], v[38:39], v[28:29], v[0:1] op_sel_hi:[1,0,1]
	s_waitcnt lgkmcnt(2)
	v_pk_fma_f32 v[2:3], v[44:45], v[22:23], v[2:3] op_sel:[0,1,0]
	s_add_u32 s10, s10, 8
	s_waitcnt lgkmcnt(1)
	v_pk_fma_f32 v[2:3], v[46:47], v[24:25], v[2:3] op_sel_hi:[1,0,1]
	s_addc_u32 s11, s11, 0
	s_waitcnt lgkmcnt(0)
	v_pk_fma_f32 v[2:3], v[48:49], v[12:13], v[2:3] op_sel_hi:[1,0,1]
	v_mov_b32_e32 v12, v29
	v_pk_fma_f32 v[0:1], v[40:41], v[12:13], v[0:1] op_sel_hi:[1,0,1]
	v_mov_b64_e32 v[18:19], s[10:11]
	v_pk_fma_f32 v[0:1], v[42:43], v[30:31], v[0:1] op_sel_hi:[1,0,1]
	v_mov_b32_e32 v12, v33
	v_pk_fma_f32 v[0:1], v[44:45], v[30:31], v[0:1] op_sel:[0,1,0]
	v_cmp_gt_i64_e32 vcc, s[12:13], v[18:19]
	v_pk_fma_f32 v[0:1], v[46:47], v[32:33], v[0:1] op_sel_hi:[1,0,1]
	s_nop 0
	v_pk_fma_f32 v[0:1], v[48:49], v[12:13], v[0:1] op_sel_hi:[1,0,1]
	s_barrier
	s_cbranch_vccz .LBB166_12
.LBB166_6:                              ; =>This Inner Loop Header: Depth=1
	v_mov_b32_e32 v18, 0
	s_and_saveexec_b64 s[14:15], s[2:3]
	s_cbranch_execz .LBB166_10
; %bb.7:                                ;   in Loop: Header=BB166_6 Depth=1
	v_add_u32_e32 v12, s10, v6
	v_cmp_gt_u64_e32 vcc, s[12:13], v[12:13]
	v_mov_b32_e32 v18, 0
	s_and_saveexec_b64 s[16:17], vcc
	s_cbranch_execz .LBB166_9
; %bb.8:                                ;   in Loop: Header=BB166_6 Depth=1
	v_lshl_add_u64 v[18:19], v[12:13], 2, v[8:9]
	global_load_dword v18, v[18:19], off
.LBB166_9:                              ;   in Loop: Header=BB166_6 Depth=1
	s_or_b64 exec, exec, s[16:17]
.LBB166_10:                             ;   in Loop: Header=BB166_6 Depth=1
	s_or_b64 exec, exec, s[14:15]
	v_add_u32_e32 v12, s10, v4
	v_cmp_gt_u64_e32 vcc, s[12:13], v[12:13]
	s_waitcnt vmcnt(0)
	ds_write_b32 v14, v18
	s_and_b64 s[16:17], vcc, s[6:7]
	v_mov_b32_e32 v18, 0
	s_and_saveexec_b64 s[14:15], s[16:17]
	s_cbranch_execz .LBB166_5
; %bb.11:                               ;   in Loop: Header=BB166_6 Depth=1
	v_mad_u64_u32 v[18:19], s[16:17], s8, v12, 0
	v_mov_b32_e32 v20, v19
	v_mad_u64_u32 v[20:21], s[16:17], s9, v12, v[20:21]
	v_mov_b32_e32 v19, v20
	v_lshl_add_u64 v[18:19], v[18:19], 2, v[10:11]
	global_load_dword v18, v[18:19], off
	s_branch .LBB166_5
.LBB166_12:
	s_load_dwordx2 s[2:3], s[0:1], 0x60
	s_load_dwordx4 s[8:11], s[0:1], 0x50
	v_add_u32_e32 v10, s21, v5
	v_ashrrev_i32_e32 v5, 31, v10
	v_add_u32_e32 v4, s5, v7
	s_waitcnt lgkmcnt(0)
	s_mul_i32 s1, s3, s4
	s_mul_hi_u32 s3, s2, s4
	s_mul_i32 s0, s2, s4
	s_add_i32 s1, s3, s1
	s_lshl_b64 s[0:1], s[0:1], 2
	s_add_u32 s4, s8, s0
	s_addc_u32 s5, s9, s1
	v_mul_lo_u32 v5, s10, v5
	v_mul_lo_u32 v8, s11, v10
	v_mad_u64_u32 v[6:7], s[0:1], s10, v10, 0
	v_add3_u32 v7, v7, v5, v8
	v_cmp_neq_f32_e64 s[0:1], s18, 0
	v_cmp_gt_i32_e64 s[2:3], s20, v10
	v_lshl_add_u64 v[8:9], v[6:7], 2, s[4:5]
	v_cmp_le_i32_e32 vcc, v4, v10
	v_cndmask_b32_e64 v6, 0, 1, s[0:1]
	s_and_b64 s[8:9], s[2:3], vcc
	v_ashrrev_i32_e32 v5, 31, v4
	v_cmp_ne_u32_e64 s[0:1], 1, v6
	s_and_saveexec_b64 s[6:7], s[8:9]
	s_cbranch_execz .LBB166_16
; %bb.13:
	v_mul_f32_e32 v2, s19, v2
	s_and_b64 vcc, exec, s[0:1]
	v_lshl_add_u64 v[6:7], v[4:5], 2, v[8:9]
	s_cbranch_vccnz .LBB166_15
; %bb.14:
	global_load_dword v11, v[6:7], off
	s_waitcnt vmcnt(0)
	v_fmac_f32_e32 v2, s18, v11
.LBB166_15:
	global_store_dword v[6:7], v2, off
.LBB166_16:
	s_or_b64 exec, exec, s[6:7]
	v_add_u32_e32 v6, 16, v4
	v_cmp_le_i32_e32 vcc, v6, v10
	s_and_b64 s[6:7], s[2:3], vcc
	v_ashrrev_i32_e32 v7, 31, v6
	s_and_saveexec_b64 s[2:3], s[6:7]
	s_cbranch_execz .LBB166_20
; %bb.17:
	v_mul_f32_e32 v11, s19, v3
	s_and_b64 vcc, exec, s[0:1]
	v_lshl_add_u64 v[2:3], v[6:7], 2, v[8:9]
	s_cbranch_vccnz .LBB166_19
; %bb.18:
	global_load_dword v8, v[2:3], off
	s_waitcnt vmcnt(0)
	v_fmac_f32_e32 v11, s18, v8
.LBB166_19:
	global_store_dword v[2:3], v11, off
.LBB166_20:
	s_or_b64 exec, exec, s[2:3]
	v_add_u32_e32 v8, 16, v10
	v_ashrrev_i32_e32 v2, 31, v8
	v_mul_lo_u32 v9, s10, v2
	v_mul_lo_u32 v10, s11, v8
	v_mad_u64_u32 v[2:3], s[6:7], s10, v8, 0
	v_cmp_gt_i32_e64 s[2:3], s20, v8
	v_add3_u32 v3, v3, v9, v10
	v_cmp_le_i32_e32 vcc, v4, v8
	v_lshl_add_u64 v[2:3], v[2:3], 2, s[4:5]
	s_and_b64 s[6:7], s[2:3], vcc
	s_and_saveexec_b64 s[4:5], s[6:7]
	s_cbranch_execz .LBB166_24
; %bb.21:
	v_mul_f32_e32 v0, s19, v0
	s_and_b64 vcc, exec, s[0:1]
	v_lshl_add_u64 v[4:5], v[4:5], 2, v[2:3]
	s_cbranch_vccnz .LBB166_23
; %bb.22:
	global_load_dword v9, v[4:5], off
	s_waitcnt vmcnt(0)
	v_fmac_f32_e32 v0, s18, v9
.LBB166_23:
	global_store_dword v[4:5], v0, off
.LBB166_24:
	s_or_b64 exec, exec, s[4:5]
	v_cmp_le_i32_e32 vcc, v6, v8
	s_and_b64 s[2:3], s[2:3], vcc
	s_and_saveexec_b64 s[4:5], s[2:3]
	s_cbranch_execz .LBB166_28
; %bb.25:
	v_mul_f32_e32 v4, s19, v1
	s_and_b64 vcc, exec, s[0:1]
	v_lshl_add_u64 v[0:1], v[6:7], 2, v[2:3]
	s_cbranch_vccnz .LBB166_27
; %bb.26:
	global_load_dword v2, v[0:1], off
	s_waitcnt vmcnt(0)
	v_fmac_f32_e32 v4, s18, v2
.LBB166_27:
	global_store_dword v[0:1], v4, off
.LBB166_28:
	s_endpgm
	.section	.rodata,"a",@progbits
	.p2align	6, 0x0
	.amdhsa_kernel _ZL29rocblas_internal_gemmt_kernelIlLi16ELi32ELi8ELc84ELc84ELc85ELb0ELb0EffPKfPfEviT_T9_T10_S3_lS5_S3_lS4_T11_S3_li
		.amdhsa_group_segment_fixed_size 2048
		.amdhsa_private_segment_fixed_size 0
		.amdhsa_kernarg_size 108
		.amdhsa_user_sgpr_count 2
		.amdhsa_user_sgpr_dispatch_ptr 0
		.amdhsa_user_sgpr_queue_ptr 0
		.amdhsa_user_sgpr_kernarg_segment_ptr 1
		.amdhsa_user_sgpr_dispatch_id 0
		.amdhsa_user_sgpr_kernarg_preload_length 0
		.amdhsa_user_sgpr_kernarg_preload_offset 0
		.amdhsa_user_sgpr_private_segment_size 0
		.amdhsa_uses_dynamic_stack 0
		.amdhsa_enable_private_segment 0
		.amdhsa_system_sgpr_workgroup_id_x 1
		.amdhsa_system_sgpr_workgroup_id_y 1
		.amdhsa_system_sgpr_workgroup_id_z 1
		.amdhsa_system_sgpr_workgroup_info 0
		.amdhsa_system_vgpr_workitem_id 1
		.amdhsa_next_free_vgpr 50
		.amdhsa_next_free_sgpr 32
		.amdhsa_accum_offset 52
		.amdhsa_reserve_vcc 1
		.amdhsa_float_round_mode_32 0
		.amdhsa_float_round_mode_16_64 0
		.amdhsa_float_denorm_mode_32 3
		.amdhsa_float_denorm_mode_16_64 3
		.amdhsa_dx10_clamp 1
		.amdhsa_ieee_mode 1
		.amdhsa_fp16_overflow 0
		.amdhsa_tg_split 0
		.amdhsa_exception_fp_ieee_invalid_op 0
		.amdhsa_exception_fp_denorm_src 0
		.amdhsa_exception_fp_ieee_div_zero 0
		.amdhsa_exception_fp_ieee_overflow 0
		.amdhsa_exception_fp_ieee_underflow 0
		.amdhsa_exception_fp_ieee_inexact 0
		.amdhsa_exception_int_div_zero 0
	.end_amdhsa_kernel
	.section	.text._ZL29rocblas_internal_gemmt_kernelIlLi16ELi32ELi8ELc84ELc84ELc85ELb0ELb0EffPKfPfEviT_T9_T10_S3_lS5_S3_lS4_T11_S3_li,"axG",@progbits,_ZL29rocblas_internal_gemmt_kernelIlLi16ELi32ELi8ELc84ELc84ELc85ELb0ELb0EffPKfPfEviT_T9_T10_S3_lS5_S3_lS4_T11_S3_li,comdat
.Lfunc_end166:
	.size	_ZL29rocblas_internal_gemmt_kernelIlLi16ELi32ELi8ELc84ELc84ELc85ELb0ELb0EffPKfPfEviT_T9_T10_S3_lS5_S3_lS4_T11_S3_li, .Lfunc_end166-_ZL29rocblas_internal_gemmt_kernelIlLi16ELi32ELi8ELc84ELc84ELc85ELb0ELb0EffPKfPfEviT_T9_T10_S3_lS5_S3_lS4_T11_S3_li
                                        ; -- End function
	.set _ZL29rocblas_internal_gemmt_kernelIlLi16ELi32ELi8ELc84ELc84ELc85ELb0ELb0EffPKfPfEviT_T9_T10_S3_lS5_S3_lS4_T11_S3_li.num_vgpr, 50
	.set _ZL29rocblas_internal_gemmt_kernelIlLi16ELi32ELi8ELc84ELc84ELc85ELb0ELb0EffPKfPfEviT_T9_T10_S3_lS5_S3_lS4_T11_S3_li.num_agpr, 0
	.set _ZL29rocblas_internal_gemmt_kernelIlLi16ELi32ELi8ELc84ELc84ELc85ELb0ELb0EffPKfPfEviT_T9_T10_S3_lS5_S3_lS4_T11_S3_li.numbered_sgpr, 32
	.set _ZL29rocblas_internal_gemmt_kernelIlLi16ELi32ELi8ELc84ELc84ELc85ELb0ELb0EffPKfPfEviT_T9_T10_S3_lS5_S3_lS4_T11_S3_li.num_named_barrier, 0
	.set _ZL29rocblas_internal_gemmt_kernelIlLi16ELi32ELi8ELc84ELc84ELc85ELb0ELb0EffPKfPfEviT_T9_T10_S3_lS5_S3_lS4_T11_S3_li.private_seg_size, 0
	.set _ZL29rocblas_internal_gemmt_kernelIlLi16ELi32ELi8ELc84ELc84ELc85ELb0ELb0EffPKfPfEviT_T9_T10_S3_lS5_S3_lS4_T11_S3_li.uses_vcc, 1
	.set _ZL29rocblas_internal_gemmt_kernelIlLi16ELi32ELi8ELc84ELc84ELc85ELb0ELb0EffPKfPfEviT_T9_T10_S3_lS5_S3_lS4_T11_S3_li.uses_flat_scratch, 0
	.set _ZL29rocblas_internal_gemmt_kernelIlLi16ELi32ELi8ELc84ELc84ELc85ELb0ELb0EffPKfPfEviT_T9_T10_S3_lS5_S3_lS4_T11_S3_li.has_dyn_sized_stack, 0
	.set _ZL29rocblas_internal_gemmt_kernelIlLi16ELi32ELi8ELc84ELc84ELc85ELb0ELb0EffPKfPfEviT_T9_T10_S3_lS5_S3_lS4_T11_S3_li.has_recursion, 0
	.set _ZL29rocblas_internal_gemmt_kernelIlLi16ELi32ELi8ELc84ELc84ELc85ELb0ELb0EffPKfPfEviT_T9_T10_S3_lS5_S3_lS4_T11_S3_li.has_indirect_call, 0
	.section	.AMDGPU.csdata,"",@progbits
; Kernel info:
; codeLenInByte = 1312
; TotalNumSgprs: 38
; NumVgprs: 50
; NumAgprs: 0
; TotalNumVgprs: 50
; ScratchSize: 0
; MemoryBound: 0
; FloatMode: 240
; IeeeMode: 1
; LDSByteSize: 2048 bytes/workgroup (compile time only)
; SGPRBlocks: 4
; VGPRBlocks: 6
; NumSGPRsForWavesPerEU: 38
; NumVGPRsForWavesPerEU: 50
; AccumOffset: 52
; Occupancy: 8
; WaveLimiterHint : 0
; COMPUTE_PGM_RSRC2:SCRATCH_EN: 0
; COMPUTE_PGM_RSRC2:USER_SGPR: 2
; COMPUTE_PGM_RSRC2:TRAP_HANDLER: 0
; COMPUTE_PGM_RSRC2:TGID_X_EN: 1
; COMPUTE_PGM_RSRC2:TGID_Y_EN: 1
; COMPUTE_PGM_RSRC2:TGID_Z_EN: 1
; COMPUTE_PGM_RSRC2:TIDIG_COMP_CNT: 1
; COMPUTE_PGM_RSRC3_GFX90A:ACCUM_OFFSET: 12
; COMPUTE_PGM_RSRC3_GFX90A:TG_SPLIT: 0
	.section	.text._ZL29rocblas_internal_gemmt_kernelIlLi16ELi32ELi8ELc84ELc67ELc85ELb0ELb0EffPKfPfEviT_T9_T10_S3_lS5_S3_lS4_T11_S3_li,"axG",@progbits,_ZL29rocblas_internal_gemmt_kernelIlLi16ELi32ELi8ELc84ELc67ELc85ELb0ELb0EffPKfPfEviT_T9_T10_S3_lS5_S3_lS4_T11_S3_li,comdat
	.globl	_ZL29rocblas_internal_gemmt_kernelIlLi16ELi32ELi8ELc84ELc67ELc85ELb0ELb0EffPKfPfEviT_T9_T10_S3_lS5_S3_lS4_T11_S3_li ; -- Begin function _ZL29rocblas_internal_gemmt_kernelIlLi16ELi32ELi8ELc84ELc67ELc85ELb0ELb0EffPKfPfEviT_T9_T10_S3_lS5_S3_lS4_T11_S3_li
	.p2align	8
	.type	_ZL29rocblas_internal_gemmt_kernelIlLi16ELi32ELi8ELc84ELc67ELc85ELb0ELb0EffPKfPfEviT_T9_T10_S3_lS5_S3_lS4_T11_S3_li,@function
_ZL29rocblas_internal_gemmt_kernelIlLi16ELi32ELi8ELc84ELc67ELc85ELb0ELb0EffPKfPfEviT_T9_T10_S3_lS5_S3_lS4_T11_S3_li: ; @_ZL29rocblas_internal_gemmt_kernelIlLi16ELi32ELi8ELc84ELc67ELc85ELb0ELb0EffPKfPfEviT_T9_T10_S3_lS5_S3_lS4_T11_S3_li
; %bb.0:
	s_load_dword s18, s[0:1], 0x48
	s_load_dwordx2 s[12:13], s[0:1], 0x8
	s_load_dword s19, s[0:1], 0x10
	s_waitcnt lgkmcnt(0)
	v_cmp_neq_f32_e64 s[6:7], s18, 1.0
	s_and_b64 vcc, exec, s[6:7]
	s_cbranch_vccnz .LBB167_2
; %bb.1:
	s_cmp_lg_u64 s[12:13], 0
	s_cselect_b64 s[6:7], -1, 0
	v_cmp_neq_f32_e64 s[8:9], s19, 0
	s_and_b64 s[6:7], s[6:7], s[8:9]
.LBB167_2:
	s_andn2_b64 vcc, exec, s[6:7]
	s_cbranch_vccnz .LBB167_28
; %bb.3:
	s_load_dword s20, s[0:1], 0x0
	s_lshl_b32 s5, s2, 5
	s_lshl_b32 s21, s3, 5
	v_cmp_eq_f32_e64 s[2:3], s19, 0
	v_cmp_lt_i64_e64 s[6:7], s[12:13], 1
	v_mov_b32_e32 v3, 0
	s_or_b64 s[2:3], s[2:3], s[6:7]
	v_and_b32_e32 v7, 0x3ff, v0
	v_bfe_u32 v5, v0, 10, 10
	s_and_b64 vcc, exec, s[2:3]
	v_mov_b32_e32 v2, v3
	v_mov_b32_e32 v1, v3
	;; [unrolled: 1-line block ×3, first 2 shown]
	s_cbranch_vccnz .LBB167_12
; %bb.4:
	s_load_dwordx8 s[24:31], s[0:1], 0x18
	s_load_dwordx4 s[8:11], s[0:1], 0x38
	v_lshl_add_u32 v1, v5, 4, v7
	v_lshrrev_b32_e32 v6, 5, v1
	v_lshrrev_b32_e32 v10, 3, v1
	v_and_b32_e32 v1, 31, v1
	s_waitcnt lgkmcnt(0)
	s_mul_i32 s2, s11, s4
	s_mul_hi_u32 s3, s10, s4
	s_add_i32 s3, s3, s2
	s_mul_i32 s2, s10, s4
	s_lshl_b64 s[2:3], s[2:3], 2
	s_add_u32 s10, s30, s2
	s_addc_u32 s11, s31, s3
	s_mul_i32 s2, s29, s4
	s_mul_hi_u32 s3, s28, s4
	s_add_i32 s3, s3, s2
	s_mul_i32 s2, s28, s4
	s_lshl_b64 s[2:3], s[2:3], 2
	v_or_b32_e32 v2, s5, v1
	s_add_u32 s6, s24, s2
	v_lshlrev_b32_e32 v1, 2, v1
	s_addc_u32 s7, s25, s3
	v_cmp_gt_i32_e64 s[2:3], s20, v2
	v_lshl_or_b32 v14, v6, 7, v1
	s_ashr_i32 s16, s5, 31
	v_mul_lo_u32 v1, s27, v2
	v_mad_u64_u32 v[2:3], s[14:15], s26, v2, 0
	v_and_b32_e32 v4, 7, v7
	s_mul_i32 s14, s26, s16
	v_add3_u32 v3, v3, s14, v1
	v_lshlrev_b32_e32 v1, 2, v4
	v_add_u32_e32 v0, s21, v10
	v_lshl_or_b32 v1, v10, 5, v1
	v_add_u32_e32 v15, 0x400, v1
	v_ashrrev_i32_e32 v1, 31, v0
	v_lshl_add_u64 v[8:9], v[2:3], 2, s[6:7]
	v_cmp_gt_i32_e64 s[6:7], s20, v0
	v_lshl_add_u64 v[10:11], v[0:1], 2, s[10:11]
	v_mov_b32_e32 v0, 0x400
	v_mov_b32_e32 v13, 0
	v_lshlrev_b32_e32 v16, 2, v7
	v_lshl_add_u32 v17, v5, 5, v0
	s_mov_b64 s[10:11], 0
	v_mov_b32_e32 v0, v13
	v_mov_b32_e32 v1, v13
	;; [unrolled: 1-line block ×4, first 2 shown]
	s_branch .LBB167_6
.LBB167_5:                              ;   in Loop: Header=BB167_6 Depth=1
	s_or_b64 exec, exec, s[14:15]
	s_waitcnt vmcnt(0)
	ds_write_b32 v15, v18
	s_waitcnt lgkmcnt(0)
	s_barrier
	ds_read_b128 v[18:21], v17
	ds_read_b128 v[22:25], v17 offset:16
	ds_read2_b32 v[34:35], v16 offset1:16
	ds_read2_b32 v[36:37], v16 offset0:32 offset1:48
	ds_read2_b32 v[38:39], v16 offset0:64 offset1:80
	ds_read2_b32 v[40:41], v16 offset0:96 offset1:112
	ds_read2_b32 v[42:43], v16 offset0:128 offset1:144
	ds_read_b128 v[26:29], v17 offset:512
	ds_read_b128 v[30:33], v17 offset:528
	ds_read2_b32 v[44:45], v16 offset0:160 offset1:176
	ds_read2_b32 v[46:47], v16 offset0:192 offset1:208
	;; [unrolled: 1-line block ×3, first 2 shown]
	s_waitcnt lgkmcnt(9)
	v_pk_fma_f32 v[2:3], v[34:35], v[18:19], v[2:3] op_sel_hi:[1,0,1]
	v_mov_b32_e32 v12, v21
	s_waitcnt lgkmcnt(8)
	v_pk_fma_f32 v[2:3], v[36:37], v[18:19], v[2:3] op_sel:[0,1,0]
	s_waitcnt lgkmcnt(4)
	v_pk_fma_f32 v[0:1], v[34:35], v[26:27], v[0:1] op_sel_hi:[1,0,1]
	v_pk_fma_f32 v[2:3], v[38:39], v[20:21], v[2:3] op_sel_hi:[1,0,1]
	v_pk_fma_f32 v[0:1], v[36:37], v[26:27], v[0:1] op_sel:[0,1,0]
	v_pk_fma_f32 v[2:3], v[40:41], v[12:13], v[2:3] op_sel_hi:[1,0,1]
	v_mov_b32_e32 v12, v25
	v_pk_fma_f32 v[2:3], v[42:43], v[22:23], v[2:3] op_sel_hi:[1,0,1]
	v_pk_fma_f32 v[0:1], v[38:39], v[28:29], v[0:1] op_sel_hi:[1,0,1]
	s_waitcnt lgkmcnt(2)
	v_pk_fma_f32 v[2:3], v[44:45], v[22:23], v[2:3] op_sel:[0,1,0]
	s_add_u32 s10, s10, 8
	s_waitcnt lgkmcnt(1)
	v_pk_fma_f32 v[2:3], v[46:47], v[24:25], v[2:3] op_sel_hi:[1,0,1]
	s_addc_u32 s11, s11, 0
	s_waitcnt lgkmcnt(0)
	v_pk_fma_f32 v[2:3], v[48:49], v[12:13], v[2:3] op_sel_hi:[1,0,1]
	v_mov_b32_e32 v12, v29
	v_pk_fma_f32 v[0:1], v[40:41], v[12:13], v[0:1] op_sel_hi:[1,0,1]
	v_mov_b64_e32 v[18:19], s[10:11]
	v_pk_fma_f32 v[0:1], v[42:43], v[30:31], v[0:1] op_sel_hi:[1,0,1]
	v_mov_b32_e32 v12, v33
	v_pk_fma_f32 v[0:1], v[44:45], v[30:31], v[0:1] op_sel:[0,1,0]
	v_cmp_gt_i64_e32 vcc, s[12:13], v[18:19]
	v_pk_fma_f32 v[0:1], v[46:47], v[32:33], v[0:1] op_sel_hi:[1,0,1]
	s_nop 0
	v_pk_fma_f32 v[0:1], v[48:49], v[12:13], v[0:1] op_sel_hi:[1,0,1]
	s_barrier
	s_cbranch_vccz .LBB167_12
.LBB167_6:                              ; =>This Inner Loop Header: Depth=1
	v_mov_b32_e32 v18, 0
	s_and_saveexec_b64 s[14:15], s[2:3]
	s_cbranch_execz .LBB167_10
; %bb.7:                                ;   in Loop: Header=BB167_6 Depth=1
	v_add_u32_e32 v12, s10, v6
	v_cmp_gt_u64_e32 vcc, s[12:13], v[12:13]
	v_mov_b32_e32 v18, 0
	s_and_saveexec_b64 s[16:17], vcc
	s_cbranch_execz .LBB167_9
; %bb.8:                                ;   in Loop: Header=BB167_6 Depth=1
	v_lshl_add_u64 v[18:19], v[12:13], 2, v[8:9]
	global_load_dword v18, v[18:19], off
.LBB167_9:                              ;   in Loop: Header=BB167_6 Depth=1
	s_or_b64 exec, exec, s[16:17]
.LBB167_10:                             ;   in Loop: Header=BB167_6 Depth=1
	s_or_b64 exec, exec, s[14:15]
	v_add_u32_e32 v12, s10, v4
	v_cmp_gt_u64_e32 vcc, s[12:13], v[12:13]
	s_waitcnt vmcnt(0)
	ds_write_b32 v14, v18
	s_and_b64 s[16:17], vcc, s[6:7]
	v_mov_b32_e32 v18, 0
	s_and_saveexec_b64 s[14:15], s[16:17]
	s_cbranch_execz .LBB167_5
; %bb.11:                               ;   in Loop: Header=BB167_6 Depth=1
	v_mad_u64_u32 v[18:19], s[16:17], s8, v12, 0
	v_mov_b32_e32 v20, v19
	v_mad_u64_u32 v[20:21], s[16:17], s9, v12, v[20:21]
	v_mov_b32_e32 v19, v20
	v_lshl_add_u64 v[18:19], v[18:19], 2, v[10:11]
	global_load_dword v18, v[18:19], off
	s_branch .LBB167_5
.LBB167_12:
	s_load_dwordx2 s[2:3], s[0:1], 0x60
	s_load_dwordx4 s[8:11], s[0:1], 0x50
	v_add_u32_e32 v10, s21, v5
	v_ashrrev_i32_e32 v5, 31, v10
	v_add_u32_e32 v4, s5, v7
	s_waitcnt lgkmcnt(0)
	s_mul_i32 s1, s3, s4
	s_mul_hi_u32 s3, s2, s4
	s_mul_i32 s0, s2, s4
	s_add_i32 s1, s3, s1
	s_lshl_b64 s[0:1], s[0:1], 2
	s_add_u32 s4, s8, s0
	s_addc_u32 s5, s9, s1
	v_mul_lo_u32 v5, s10, v5
	v_mul_lo_u32 v8, s11, v10
	v_mad_u64_u32 v[6:7], s[0:1], s10, v10, 0
	v_add3_u32 v7, v7, v5, v8
	v_cmp_neq_f32_e64 s[0:1], s18, 0
	v_cmp_gt_i32_e64 s[2:3], s20, v10
	v_lshl_add_u64 v[8:9], v[6:7], 2, s[4:5]
	v_cmp_le_i32_e32 vcc, v4, v10
	v_cndmask_b32_e64 v6, 0, 1, s[0:1]
	s_and_b64 s[8:9], s[2:3], vcc
	v_ashrrev_i32_e32 v5, 31, v4
	v_cmp_ne_u32_e64 s[0:1], 1, v6
	s_and_saveexec_b64 s[6:7], s[8:9]
	s_cbranch_execz .LBB167_16
; %bb.13:
	v_mul_f32_e32 v2, s19, v2
	s_and_b64 vcc, exec, s[0:1]
	v_lshl_add_u64 v[6:7], v[4:5], 2, v[8:9]
	s_cbranch_vccnz .LBB167_15
; %bb.14:
	global_load_dword v11, v[6:7], off
	s_waitcnt vmcnt(0)
	v_fmac_f32_e32 v2, s18, v11
.LBB167_15:
	global_store_dword v[6:7], v2, off
.LBB167_16:
	s_or_b64 exec, exec, s[6:7]
	v_add_u32_e32 v6, 16, v4
	v_cmp_le_i32_e32 vcc, v6, v10
	s_and_b64 s[6:7], s[2:3], vcc
	v_ashrrev_i32_e32 v7, 31, v6
	s_and_saveexec_b64 s[2:3], s[6:7]
	s_cbranch_execz .LBB167_20
; %bb.17:
	v_mul_f32_e32 v11, s19, v3
	s_and_b64 vcc, exec, s[0:1]
	v_lshl_add_u64 v[2:3], v[6:7], 2, v[8:9]
	s_cbranch_vccnz .LBB167_19
; %bb.18:
	global_load_dword v8, v[2:3], off
	s_waitcnt vmcnt(0)
	v_fmac_f32_e32 v11, s18, v8
.LBB167_19:
	global_store_dword v[2:3], v11, off
.LBB167_20:
	s_or_b64 exec, exec, s[2:3]
	v_add_u32_e32 v8, 16, v10
	v_ashrrev_i32_e32 v2, 31, v8
	v_mul_lo_u32 v9, s10, v2
	v_mul_lo_u32 v10, s11, v8
	v_mad_u64_u32 v[2:3], s[6:7], s10, v8, 0
	v_cmp_gt_i32_e64 s[2:3], s20, v8
	v_add3_u32 v3, v3, v9, v10
	v_cmp_le_i32_e32 vcc, v4, v8
	v_lshl_add_u64 v[2:3], v[2:3], 2, s[4:5]
	s_and_b64 s[6:7], s[2:3], vcc
	s_and_saveexec_b64 s[4:5], s[6:7]
	s_cbranch_execz .LBB167_24
; %bb.21:
	v_mul_f32_e32 v0, s19, v0
	s_and_b64 vcc, exec, s[0:1]
	v_lshl_add_u64 v[4:5], v[4:5], 2, v[2:3]
	s_cbranch_vccnz .LBB167_23
; %bb.22:
	global_load_dword v9, v[4:5], off
	s_waitcnt vmcnt(0)
	v_fmac_f32_e32 v0, s18, v9
.LBB167_23:
	global_store_dword v[4:5], v0, off
.LBB167_24:
	s_or_b64 exec, exec, s[4:5]
	v_cmp_le_i32_e32 vcc, v6, v8
	s_and_b64 s[2:3], s[2:3], vcc
	s_and_saveexec_b64 s[4:5], s[2:3]
	s_cbranch_execz .LBB167_28
; %bb.25:
	v_mul_f32_e32 v4, s19, v1
	s_and_b64 vcc, exec, s[0:1]
	v_lshl_add_u64 v[0:1], v[6:7], 2, v[2:3]
	s_cbranch_vccnz .LBB167_27
; %bb.26:
	global_load_dword v2, v[0:1], off
	s_waitcnt vmcnt(0)
	v_fmac_f32_e32 v4, s18, v2
.LBB167_27:
	global_store_dword v[0:1], v4, off
.LBB167_28:
	s_endpgm
	.section	.rodata,"a",@progbits
	.p2align	6, 0x0
	.amdhsa_kernel _ZL29rocblas_internal_gemmt_kernelIlLi16ELi32ELi8ELc84ELc67ELc85ELb0ELb0EffPKfPfEviT_T9_T10_S3_lS5_S3_lS4_T11_S3_li
		.amdhsa_group_segment_fixed_size 2048
		.amdhsa_private_segment_fixed_size 0
		.amdhsa_kernarg_size 108
		.amdhsa_user_sgpr_count 2
		.amdhsa_user_sgpr_dispatch_ptr 0
		.amdhsa_user_sgpr_queue_ptr 0
		.amdhsa_user_sgpr_kernarg_segment_ptr 1
		.amdhsa_user_sgpr_dispatch_id 0
		.amdhsa_user_sgpr_kernarg_preload_length 0
		.amdhsa_user_sgpr_kernarg_preload_offset 0
		.amdhsa_user_sgpr_private_segment_size 0
		.amdhsa_uses_dynamic_stack 0
		.amdhsa_enable_private_segment 0
		.amdhsa_system_sgpr_workgroup_id_x 1
		.amdhsa_system_sgpr_workgroup_id_y 1
		.amdhsa_system_sgpr_workgroup_id_z 1
		.amdhsa_system_sgpr_workgroup_info 0
		.amdhsa_system_vgpr_workitem_id 1
		.amdhsa_next_free_vgpr 50
		.amdhsa_next_free_sgpr 32
		.amdhsa_accum_offset 52
		.amdhsa_reserve_vcc 1
		.amdhsa_float_round_mode_32 0
		.amdhsa_float_round_mode_16_64 0
		.amdhsa_float_denorm_mode_32 3
		.amdhsa_float_denorm_mode_16_64 3
		.amdhsa_dx10_clamp 1
		.amdhsa_ieee_mode 1
		.amdhsa_fp16_overflow 0
		.amdhsa_tg_split 0
		.amdhsa_exception_fp_ieee_invalid_op 0
		.amdhsa_exception_fp_denorm_src 0
		.amdhsa_exception_fp_ieee_div_zero 0
		.amdhsa_exception_fp_ieee_overflow 0
		.amdhsa_exception_fp_ieee_underflow 0
		.amdhsa_exception_fp_ieee_inexact 0
		.amdhsa_exception_int_div_zero 0
	.end_amdhsa_kernel
	.section	.text._ZL29rocblas_internal_gemmt_kernelIlLi16ELi32ELi8ELc84ELc67ELc85ELb0ELb0EffPKfPfEviT_T9_T10_S3_lS5_S3_lS4_T11_S3_li,"axG",@progbits,_ZL29rocblas_internal_gemmt_kernelIlLi16ELi32ELi8ELc84ELc67ELc85ELb0ELb0EffPKfPfEviT_T9_T10_S3_lS5_S3_lS4_T11_S3_li,comdat
.Lfunc_end167:
	.size	_ZL29rocblas_internal_gemmt_kernelIlLi16ELi32ELi8ELc84ELc67ELc85ELb0ELb0EffPKfPfEviT_T9_T10_S3_lS5_S3_lS4_T11_S3_li, .Lfunc_end167-_ZL29rocblas_internal_gemmt_kernelIlLi16ELi32ELi8ELc84ELc67ELc85ELb0ELb0EffPKfPfEviT_T9_T10_S3_lS5_S3_lS4_T11_S3_li
                                        ; -- End function
	.set _ZL29rocblas_internal_gemmt_kernelIlLi16ELi32ELi8ELc84ELc67ELc85ELb0ELb0EffPKfPfEviT_T9_T10_S3_lS5_S3_lS4_T11_S3_li.num_vgpr, 50
	.set _ZL29rocblas_internal_gemmt_kernelIlLi16ELi32ELi8ELc84ELc67ELc85ELb0ELb0EffPKfPfEviT_T9_T10_S3_lS5_S3_lS4_T11_S3_li.num_agpr, 0
	.set _ZL29rocblas_internal_gemmt_kernelIlLi16ELi32ELi8ELc84ELc67ELc85ELb0ELb0EffPKfPfEviT_T9_T10_S3_lS5_S3_lS4_T11_S3_li.numbered_sgpr, 32
	.set _ZL29rocblas_internal_gemmt_kernelIlLi16ELi32ELi8ELc84ELc67ELc85ELb0ELb0EffPKfPfEviT_T9_T10_S3_lS5_S3_lS4_T11_S3_li.num_named_barrier, 0
	.set _ZL29rocblas_internal_gemmt_kernelIlLi16ELi32ELi8ELc84ELc67ELc85ELb0ELb0EffPKfPfEviT_T9_T10_S3_lS5_S3_lS4_T11_S3_li.private_seg_size, 0
	.set _ZL29rocblas_internal_gemmt_kernelIlLi16ELi32ELi8ELc84ELc67ELc85ELb0ELb0EffPKfPfEviT_T9_T10_S3_lS5_S3_lS4_T11_S3_li.uses_vcc, 1
	.set _ZL29rocblas_internal_gemmt_kernelIlLi16ELi32ELi8ELc84ELc67ELc85ELb0ELb0EffPKfPfEviT_T9_T10_S3_lS5_S3_lS4_T11_S3_li.uses_flat_scratch, 0
	.set _ZL29rocblas_internal_gemmt_kernelIlLi16ELi32ELi8ELc84ELc67ELc85ELb0ELb0EffPKfPfEviT_T9_T10_S3_lS5_S3_lS4_T11_S3_li.has_dyn_sized_stack, 0
	.set _ZL29rocblas_internal_gemmt_kernelIlLi16ELi32ELi8ELc84ELc67ELc85ELb0ELb0EffPKfPfEviT_T9_T10_S3_lS5_S3_lS4_T11_S3_li.has_recursion, 0
	.set _ZL29rocblas_internal_gemmt_kernelIlLi16ELi32ELi8ELc84ELc67ELc85ELb0ELb0EffPKfPfEviT_T9_T10_S3_lS5_S3_lS4_T11_S3_li.has_indirect_call, 0
	.section	.AMDGPU.csdata,"",@progbits
; Kernel info:
; codeLenInByte = 1312
; TotalNumSgprs: 38
; NumVgprs: 50
; NumAgprs: 0
; TotalNumVgprs: 50
; ScratchSize: 0
; MemoryBound: 0
; FloatMode: 240
; IeeeMode: 1
; LDSByteSize: 2048 bytes/workgroup (compile time only)
; SGPRBlocks: 4
; VGPRBlocks: 6
; NumSGPRsForWavesPerEU: 38
; NumVGPRsForWavesPerEU: 50
; AccumOffset: 52
; Occupancy: 8
; WaveLimiterHint : 0
; COMPUTE_PGM_RSRC2:SCRATCH_EN: 0
; COMPUTE_PGM_RSRC2:USER_SGPR: 2
; COMPUTE_PGM_RSRC2:TRAP_HANDLER: 0
; COMPUTE_PGM_RSRC2:TGID_X_EN: 1
; COMPUTE_PGM_RSRC2:TGID_Y_EN: 1
; COMPUTE_PGM_RSRC2:TGID_Z_EN: 1
; COMPUTE_PGM_RSRC2:TIDIG_COMP_CNT: 1
; COMPUTE_PGM_RSRC3_GFX90A:ACCUM_OFFSET: 12
; COMPUTE_PGM_RSRC3_GFX90A:TG_SPLIT: 0
	.section	.text._ZL29rocblas_internal_gemmt_kernelIlLi16ELi32ELi8ELc67ELc78ELc85ELb0ELb0EffPKfPfEviT_T9_T10_S3_lS5_S3_lS4_T11_S3_li,"axG",@progbits,_ZL29rocblas_internal_gemmt_kernelIlLi16ELi32ELi8ELc67ELc78ELc85ELb0ELb0EffPKfPfEviT_T9_T10_S3_lS5_S3_lS4_T11_S3_li,comdat
	.globl	_ZL29rocblas_internal_gemmt_kernelIlLi16ELi32ELi8ELc67ELc78ELc85ELb0ELb0EffPKfPfEviT_T9_T10_S3_lS5_S3_lS4_T11_S3_li ; -- Begin function _ZL29rocblas_internal_gemmt_kernelIlLi16ELi32ELi8ELc67ELc78ELc85ELb0ELb0EffPKfPfEviT_T9_T10_S3_lS5_S3_lS4_T11_S3_li
	.p2align	8
	.type	_ZL29rocblas_internal_gemmt_kernelIlLi16ELi32ELi8ELc67ELc78ELc85ELb0ELb0EffPKfPfEviT_T9_T10_S3_lS5_S3_lS4_T11_S3_li,@function
_ZL29rocblas_internal_gemmt_kernelIlLi16ELi32ELi8ELc67ELc78ELc85ELb0ELb0EffPKfPfEviT_T9_T10_S3_lS5_S3_lS4_T11_S3_li: ; @_ZL29rocblas_internal_gemmt_kernelIlLi16ELi32ELi8ELc67ELc78ELc85ELb0ELb0EffPKfPfEviT_T9_T10_S3_lS5_S3_lS4_T11_S3_li
; %bb.0:
	s_load_dword s16, s[0:1], 0x48
	s_load_dwordx2 s[8:9], s[0:1], 0x8
	s_load_dword s17, s[0:1], 0x10
	s_waitcnt lgkmcnt(0)
	v_cmp_neq_f32_e64 s[6:7], s16, 1.0
	s_and_b64 vcc, exec, s[6:7]
	s_cbranch_vccnz .LBB168_2
; %bb.1:
	s_cmp_lg_u64 s[8:9], 0
	s_cselect_b64 s[6:7], -1, 0
	v_cmp_neq_f32_e64 s[10:11], s17, 0
	s_and_b64 s[6:7], s[6:7], s[10:11]
.LBB168_2:
	s_andn2_b64 vcc, exec, s[6:7]
	s_cbranch_vccnz .LBB168_28
; %bb.3:
	s_load_dword s18, s[0:1], 0x0
	s_lshl_b32 s5, s2, 5
	s_lshl_b32 s19, s3, 5
	v_cmp_eq_f32_e64 s[2:3], s17, 0
	v_cmp_lt_i64_e64 s[6:7], s[8:9], 1
	v_mov_b32_e32 v3, 0
	s_or_b64 s[2:3], s[2:3], s[6:7]
	v_and_b32_e32 v7, 0x3ff, v0
	v_bfe_u32 v5, v0, 10, 10
	s_and_b64 vcc, exec, s[2:3]
	v_mov_b32_e32 v2, v3
	v_mov_b32_e32 v1, v3
	;; [unrolled: 1-line block ×3, first 2 shown]
	s_cbranch_vccnz .LBB168_12
; %bb.4:
	s_load_dwordx8 s[20:27], s[0:1], 0x18
	s_load_dwordx4 s[12:15], s[0:1], 0x38
	v_lshl_add_u32 v0, v5, 4, v7
	v_lshrrev_b32_e32 v6, 5, v0
	v_lshrrev_b32_e32 v2, 3, v0
	v_and_b32_e32 v0, 31, v0
	s_waitcnt lgkmcnt(0)
	s_mul_i32 s2, s15, s4
	s_mul_hi_u32 s3, s14, s4
	s_add_i32 s3, s3, s2
	s_mul_i32 s2, s14, s4
	s_lshl_b64 s[2:3], s[2:3], 2
	s_add_u32 s10, s26, s2
	s_addc_u32 s11, s27, s3
	s_mul_i32 s2, s25, s4
	s_mul_hi_u32 s3, s24, s4
	s_add_i32 s3, s3, s2
	s_mul_i32 s2, s24, s4
	s_lshl_b64 s[2:3], s[2:3], 2
	v_or_b32_e32 v1, s5, v0
	s_add_u32 s6, s20, s2
	v_lshlrev_b32_e32 v0, 2, v0
	s_addc_u32 s7, s21, s3
	v_cmp_gt_i32_e64 s[2:3], s18, v1
	v_lshl_or_b32 v14, v6, 7, v0
	s_ashr_i32 s20, s5, 31
	v_mul_lo_u32 v8, s23, v1
	v_mad_u64_u32 v[0:1], s[14:15], s22, v1, 0
	s_mul_i32 s14, s22, s20
	v_and_b32_e32 v4, 7, v7
	v_add3_u32 v1, v1, s14, v8
	v_lshl_add_u64 v[8:9], v[0:1], 2, s[6:7]
	v_lshlrev_b32_e32 v0, 2, v4
	v_add_u32_e32 v3, s19, v2
	v_lshl_or_b32 v0, v2, 5, v0
	v_add_u32_e32 v15, 0x400, v0
	v_ashrrev_i32_e32 v0, 31, v3
	v_mul_lo_u32 v2, s12, v0
	v_mul_lo_u32 v10, s13, v3
	v_mad_u64_u32 v[0:1], s[12:13], s12, v3, 0
	v_add3_u32 v1, v1, v2, v10
	v_lshl_add_u64 v[10:11], v[0:1], 2, s[10:11]
	v_mov_b32_e32 v0, 0x400
	v_mov_b32_e32 v13, 0
	v_cmp_gt_i32_e64 s[6:7], s18, v3
	v_lshlrev_b32_e32 v16, 2, v7
	v_lshl_add_u32 v17, v5, 5, v0
	s_mov_b64 s[10:11], 0
	v_mov_b32_e32 v0, v13
	v_mov_b32_e32 v1, v13
	;; [unrolled: 1-line block ×4, first 2 shown]
	s_branch .LBB168_6
.LBB168_5:                              ;   in Loop: Header=BB168_6 Depth=1
	s_or_b64 exec, exec, s[12:13]
	s_waitcnt vmcnt(0)
	ds_write_b32 v15, v18
	s_waitcnt lgkmcnt(0)
	s_barrier
	ds_read_b128 v[18:21], v17
	ds_read_b128 v[22:25], v17 offset:16
	ds_read2_b32 v[34:35], v16 offset1:16
	ds_read2_b32 v[36:37], v16 offset0:32 offset1:48
	ds_read2_b32 v[38:39], v16 offset0:64 offset1:80
	;; [unrolled: 1-line block ×4, first 2 shown]
	ds_read_b128 v[26:29], v17 offset:512
	ds_read_b128 v[30:33], v17 offset:528
	ds_read2_b32 v[44:45], v16 offset0:160 offset1:176
	ds_read2_b32 v[46:47], v16 offset0:192 offset1:208
	;; [unrolled: 1-line block ×3, first 2 shown]
	s_waitcnt lgkmcnt(9)
	v_pk_fma_f32 v[2:3], v[34:35], v[18:19], v[2:3] op_sel_hi:[1,0,1]
	v_mov_b32_e32 v12, v21
	s_waitcnt lgkmcnt(8)
	v_pk_fma_f32 v[2:3], v[36:37], v[18:19], v[2:3] op_sel:[0,1,0]
	s_waitcnt lgkmcnt(4)
	v_pk_fma_f32 v[0:1], v[34:35], v[26:27], v[0:1] op_sel_hi:[1,0,1]
	v_pk_fma_f32 v[2:3], v[38:39], v[20:21], v[2:3] op_sel_hi:[1,0,1]
	v_pk_fma_f32 v[0:1], v[36:37], v[26:27], v[0:1] op_sel:[0,1,0]
	v_pk_fma_f32 v[2:3], v[40:41], v[12:13], v[2:3] op_sel_hi:[1,0,1]
	v_mov_b32_e32 v12, v25
	v_pk_fma_f32 v[2:3], v[42:43], v[22:23], v[2:3] op_sel_hi:[1,0,1]
	v_pk_fma_f32 v[0:1], v[38:39], v[28:29], v[0:1] op_sel_hi:[1,0,1]
	s_waitcnt lgkmcnt(2)
	v_pk_fma_f32 v[2:3], v[44:45], v[22:23], v[2:3] op_sel:[0,1,0]
	s_add_u32 s10, s10, 8
	s_waitcnt lgkmcnt(1)
	v_pk_fma_f32 v[2:3], v[46:47], v[24:25], v[2:3] op_sel_hi:[1,0,1]
	s_addc_u32 s11, s11, 0
	s_waitcnt lgkmcnt(0)
	v_pk_fma_f32 v[2:3], v[48:49], v[12:13], v[2:3] op_sel_hi:[1,0,1]
	v_mov_b32_e32 v12, v29
	v_pk_fma_f32 v[0:1], v[40:41], v[12:13], v[0:1] op_sel_hi:[1,0,1]
	v_mov_b64_e32 v[18:19], s[10:11]
	v_pk_fma_f32 v[0:1], v[42:43], v[30:31], v[0:1] op_sel_hi:[1,0,1]
	v_mov_b32_e32 v12, v33
	v_pk_fma_f32 v[0:1], v[44:45], v[30:31], v[0:1] op_sel:[0,1,0]
	v_cmp_gt_i64_e32 vcc, s[8:9], v[18:19]
	v_pk_fma_f32 v[0:1], v[46:47], v[32:33], v[0:1] op_sel_hi:[1,0,1]
	s_nop 0
	v_pk_fma_f32 v[0:1], v[48:49], v[12:13], v[0:1] op_sel_hi:[1,0,1]
	s_barrier
	s_cbranch_vccz .LBB168_12
.LBB168_6:                              ; =>This Inner Loop Header: Depth=1
	v_mov_b32_e32 v18, 0
	s_and_saveexec_b64 s[12:13], s[2:3]
	s_cbranch_execz .LBB168_10
; %bb.7:                                ;   in Loop: Header=BB168_6 Depth=1
	v_add_u32_e32 v12, s10, v6
	v_cmp_gt_u64_e32 vcc, s[8:9], v[12:13]
	v_mov_b32_e32 v18, 0
	s_and_saveexec_b64 s[14:15], vcc
	s_cbranch_execz .LBB168_9
; %bb.8:                                ;   in Loop: Header=BB168_6 Depth=1
	v_lshl_add_u64 v[18:19], v[12:13], 2, v[8:9]
	global_load_dword v18, v[18:19], off
.LBB168_9:                              ;   in Loop: Header=BB168_6 Depth=1
	s_or_b64 exec, exec, s[14:15]
.LBB168_10:                             ;   in Loop: Header=BB168_6 Depth=1
	s_or_b64 exec, exec, s[12:13]
	v_add_u32_e32 v12, s10, v4
	v_cmp_gt_u64_e32 vcc, s[8:9], v[12:13]
	s_waitcnt vmcnt(0)
	ds_write_b32 v14, v18
	s_and_b64 s[14:15], vcc, s[6:7]
	v_mov_b32_e32 v18, 0
	s_and_saveexec_b64 s[12:13], s[14:15]
	s_cbranch_execz .LBB168_5
; %bb.11:                               ;   in Loop: Header=BB168_6 Depth=1
	v_lshl_add_u64 v[18:19], v[12:13], 2, v[10:11]
	global_load_dword v18, v[18:19], off
	s_branch .LBB168_5
.LBB168_12:
	s_load_dwordx2 s[2:3], s[0:1], 0x60
	s_load_dwordx4 s[8:11], s[0:1], 0x50
	v_add_u32_e32 v10, s19, v5
	v_ashrrev_i32_e32 v5, 31, v10
	v_add_u32_e32 v4, s5, v7
	s_waitcnt lgkmcnt(0)
	s_mul_i32 s1, s3, s4
	s_mul_hi_u32 s3, s2, s4
	s_mul_i32 s0, s2, s4
	s_add_i32 s1, s3, s1
	s_lshl_b64 s[0:1], s[0:1], 2
	s_add_u32 s4, s8, s0
	s_addc_u32 s5, s9, s1
	v_mul_lo_u32 v5, s10, v5
	v_mul_lo_u32 v8, s11, v10
	v_mad_u64_u32 v[6:7], s[0:1], s10, v10, 0
	v_add3_u32 v7, v7, v5, v8
	v_cmp_neq_f32_e64 s[0:1], s16, 0
	v_cmp_gt_i32_e64 s[2:3], s18, v10
	v_lshl_add_u64 v[8:9], v[6:7], 2, s[4:5]
	v_cmp_le_i32_e32 vcc, v4, v10
	v_cndmask_b32_e64 v6, 0, 1, s[0:1]
	s_and_b64 s[8:9], s[2:3], vcc
	v_ashrrev_i32_e32 v5, 31, v4
	v_cmp_ne_u32_e64 s[0:1], 1, v6
	s_and_saveexec_b64 s[6:7], s[8:9]
	s_cbranch_execz .LBB168_16
; %bb.13:
	v_mul_f32_e32 v2, s17, v2
	s_and_b64 vcc, exec, s[0:1]
	v_lshl_add_u64 v[6:7], v[4:5], 2, v[8:9]
	s_cbranch_vccnz .LBB168_15
; %bb.14:
	global_load_dword v11, v[6:7], off
	s_waitcnt vmcnt(0)
	v_fmac_f32_e32 v2, s16, v11
.LBB168_15:
	global_store_dword v[6:7], v2, off
.LBB168_16:
	s_or_b64 exec, exec, s[6:7]
	v_add_u32_e32 v6, 16, v4
	v_cmp_le_i32_e32 vcc, v6, v10
	s_and_b64 s[6:7], s[2:3], vcc
	v_ashrrev_i32_e32 v7, 31, v6
	s_and_saveexec_b64 s[2:3], s[6:7]
	s_cbranch_execz .LBB168_20
; %bb.17:
	v_mul_f32_e32 v11, s17, v3
	s_and_b64 vcc, exec, s[0:1]
	v_lshl_add_u64 v[2:3], v[6:7], 2, v[8:9]
	s_cbranch_vccnz .LBB168_19
; %bb.18:
	global_load_dword v8, v[2:3], off
	s_waitcnt vmcnt(0)
	v_fmac_f32_e32 v11, s16, v8
.LBB168_19:
	global_store_dword v[2:3], v11, off
.LBB168_20:
	s_or_b64 exec, exec, s[2:3]
	v_add_u32_e32 v8, 16, v10
	v_ashrrev_i32_e32 v2, 31, v8
	v_mul_lo_u32 v9, s10, v2
	v_mul_lo_u32 v10, s11, v8
	v_mad_u64_u32 v[2:3], s[6:7], s10, v8, 0
	v_cmp_gt_i32_e64 s[2:3], s18, v8
	v_add3_u32 v3, v3, v9, v10
	v_cmp_le_i32_e32 vcc, v4, v8
	v_lshl_add_u64 v[2:3], v[2:3], 2, s[4:5]
	s_and_b64 s[6:7], s[2:3], vcc
	s_and_saveexec_b64 s[4:5], s[6:7]
	s_cbranch_execz .LBB168_24
; %bb.21:
	v_mul_f32_e32 v0, s17, v0
	s_and_b64 vcc, exec, s[0:1]
	v_lshl_add_u64 v[4:5], v[4:5], 2, v[2:3]
	s_cbranch_vccnz .LBB168_23
; %bb.22:
	global_load_dword v9, v[4:5], off
	s_waitcnt vmcnt(0)
	v_fmac_f32_e32 v0, s16, v9
.LBB168_23:
	global_store_dword v[4:5], v0, off
.LBB168_24:
	s_or_b64 exec, exec, s[4:5]
	v_cmp_le_i32_e32 vcc, v6, v8
	s_and_b64 s[2:3], s[2:3], vcc
	s_and_saveexec_b64 s[4:5], s[2:3]
	s_cbranch_execz .LBB168_28
; %bb.25:
	v_mul_f32_e32 v4, s17, v1
	s_and_b64 vcc, exec, s[0:1]
	v_lshl_add_u64 v[0:1], v[6:7], 2, v[2:3]
	s_cbranch_vccnz .LBB168_27
; %bb.26:
	global_load_dword v2, v[0:1], off
	s_waitcnt vmcnt(0)
	v_fmac_f32_e32 v4, s16, v2
.LBB168_27:
	global_store_dword v[0:1], v4, off
.LBB168_28:
	s_endpgm
	.section	.rodata,"a",@progbits
	.p2align	6, 0x0
	.amdhsa_kernel _ZL29rocblas_internal_gemmt_kernelIlLi16ELi32ELi8ELc67ELc78ELc85ELb0ELb0EffPKfPfEviT_T9_T10_S3_lS5_S3_lS4_T11_S3_li
		.amdhsa_group_segment_fixed_size 2048
		.amdhsa_private_segment_fixed_size 0
		.amdhsa_kernarg_size 108
		.amdhsa_user_sgpr_count 2
		.amdhsa_user_sgpr_dispatch_ptr 0
		.amdhsa_user_sgpr_queue_ptr 0
		.amdhsa_user_sgpr_kernarg_segment_ptr 1
		.amdhsa_user_sgpr_dispatch_id 0
		.amdhsa_user_sgpr_kernarg_preload_length 0
		.amdhsa_user_sgpr_kernarg_preload_offset 0
		.amdhsa_user_sgpr_private_segment_size 0
		.amdhsa_uses_dynamic_stack 0
		.amdhsa_enable_private_segment 0
		.amdhsa_system_sgpr_workgroup_id_x 1
		.amdhsa_system_sgpr_workgroup_id_y 1
		.amdhsa_system_sgpr_workgroup_id_z 1
		.amdhsa_system_sgpr_workgroup_info 0
		.amdhsa_system_vgpr_workitem_id 1
		.amdhsa_next_free_vgpr 50
		.amdhsa_next_free_sgpr 28
		.amdhsa_accum_offset 52
		.amdhsa_reserve_vcc 1
		.amdhsa_float_round_mode_32 0
		.amdhsa_float_round_mode_16_64 0
		.amdhsa_float_denorm_mode_32 3
		.amdhsa_float_denorm_mode_16_64 3
		.amdhsa_dx10_clamp 1
		.amdhsa_ieee_mode 1
		.amdhsa_fp16_overflow 0
		.amdhsa_tg_split 0
		.amdhsa_exception_fp_ieee_invalid_op 0
		.amdhsa_exception_fp_denorm_src 0
		.amdhsa_exception_fp_ieee_div_zero 0
		.amdhsa_exception_fp_ieee_overflow 0
		.amdhsa_exception_fp_ieee_underflow 0
		.amdhsa_exception_fp_ieee_inexact 0
		.amdhsa_exception_int_div_zero 0
	.end_amdhsa_kernel
	.section	.text._ZL29rocblas_internal_gemmt_kernelIlLi16ELi32ELi8ELc67ELc78ELc85ELb0ELb0EffPKfPfEviT_T9_T10_S3_lS5_S3_lS4_T11_S3_li,"axG",@progbits,_ZL29rocblas_internal_gemmt_kernelIlLi16ELi32ELi8ELc67ELc78ELc85ELb0ELb0EffPKfPfEviT_T9_T10_S3_lS5_S3_lS4_T11_S3_li,comdat
.Lfunc_end168:
	.size	_ZL29rocblas_internal_gemmt_kernelIlLi16ELi32ELi8ELc67ELc78ELc85ELb0ELb0EffPKfPfEviT_T9_T10_S3_lS5_S3_lS4_T11_S3_li, .Lfunc_end168-_ZL29rocblas_internal_gemmt_kernelIlLi16ELi32ELi8ELc67ELc78ELc85ELb0ELb0EffPKfPfEviT_T9_T10_S3_lS5_S3_lS4_T11_S3_li
                                        ; -- End function
	.set _ZL29rocblas_internal_gemmt_kernelIlLi16ELi32ELi8ELc67ELc78ELc85ELb0ELb0EffPKfPfEviT_T9_T10_S3_lS5_S3_lS4_T11_S3_li.num_vgpr, 50
	.set _ZL29rocblas_internal_gemmt_kernelIlLi16ELi32ELi8ELc67ELc78ELc85ELb0ELb0EffPKfPfEviT_T9_T10_S3_lS5_S3_lS4_T11_S3_li.num_agpr, 0
	.set _ZL29rocblas_internal_gemmt_kernelIlLi16ELi32ELi8ELc67ELc78ELc85ELb0ELb0EffPKfPfEviT_T9_T10_S3_lS5_S3_lS4_T11_S3_li.numbered_sgpr, 28
	.set _ZL29rocblas_internal_gemmt_kernelIlLi16ELi32ELi8ELc67ELc78ELc85ELb0ELb0EffPKfPfEviT_T9_T10_S3_lS5_S3_lS4_T11_S3_li.num_named_barrier, 0
	.set _ZL29rocblas_internal_gemmt_kernelIlLi16ELi32ELi8ELc67ELc78ELc85ELb0ELb0EffPKfPfEviT_T9_T10_S3_lS5_S3_lS4_T11_S3_li.private_seg_size, 0
	.set _ZL29rocblas_internal_gemmt_kernelIlLi16ELi32ELi8ELc67ELc78ELc85ELb0ELb0EffPKfPfEviT_T9_T10_S3_lS5_S3_lS4_T11_S3_li.uses_vcc, 1
	.set _ZL29rocblas_internal_gemmt_kernelIlLi16ELi32ELi8ELc67ELc78ELc85ELb0ELb0EffPKfPfEviT_T9_T10_S3_lS5_S3_lS4_T11_S3_li.uses_flat_scratch, 0
	.set _ZL29rocblas_internal_gemmt_kernelIlLi16ELi32ELi8ELc67ELc78ELc85ELb0ELb0EffPKfPfEviT_T9_T10_S3_lS5_S3_lS4_T11_S3_li.has_dyn_sized_stack, 0
	.set _ZL29rocblas_internal_gemmt_kernelIlLi16ELi32ELi8ELc67ELc78ELc85ELb0ELb0EffPKfPfEviT_T9_T10_S3_lS5_S3_lS4_T11_S3_li.has_recursion, 0
	.set _ZL29rocblas_internal_gemmt_kernelIlLi16ELi32ELi8ELc67ELc78ELc85ELb0ELb0EffPKfPfEviT_T9_T10_S3_lS5_S3_lS4_T11_S3_li.has_indirect_call, 0
	.section	.AMDGPU.csdata,"",@progbits
; Kernel info:
; codeLenInByte = 1320
; TotalNumSgprs: 34
; NumVgprs: 50
; NumAgprs: 0
; TotalNumVgprs: 50
; ScratchSize: 0
; MemoryBound: 0
; FloatMode: 240
; IeeeMode: 1
; LDSByteSize: 2048 bytes/workgroup (compile time only)
; SGPRBlocks: 4
; VGPRBlocks: 6
; NumSGPRsForWavesPerEU: 34
; NumVGPRsForWavesPerEU: 50
; AccumOffset: 52
; Occupancy: 8
; WaveLimiterHint : 0
; COMPUTE_PGM_RSRC2:SCRATCH_EN: 0
; COMPUTE_PGM_RSRC2:USER_SGPR: 2
; COMPUTE_PGM_RSRC2:TRAP_HANDLER: 0
; COMPUTE_PGM_RSRC2:TGID_X_EN: 1
; COMPUTE_PGM_RSRC2:TGID_Y_EN: 1
; COMPUTE_PGM_RSRC2:TGID_Z_EN: 1
; COMPUTE_PGM_RSRC2:TIDIG_COMP_CNT: 1
; COMPUTE_PGM_RSRC3_GFX90A:ACCUM_OFFSET: 12
; COMPUTE_PGM_RSRC3_GFX90A:TG_SPLIT: 0
	.section	.text._ZL29rocblas_internal_gemmt_kernelIlLi16ELi32ELi8ELc67ELc84ELc85ELb0ELb0EffPKfPfEviT_T9_T10_S3_lS5_S3_lS4_T11_S3_li,"axG",@progbits,_ZL29rocblas_internal_gemmt_kernelIlLi16ELi32ELi8ELc67ELc84ELc85ELb0ELb0EffPKfPfEviT_T9_T10_S3_lS5_S3_lS4_T11_S3_li,comdat
	.globl	_ZL29rocblas_internal_gemmt_kernelIlLi16ELi32ELi8ELc67ELc84ELc85ELb0ELb0EffPKfPfEviT_T9_T10_S3_lS5_S3_lS4_T11_S3_li ; -- Begin function _ZL29rocblas_internal_gemmt_kernelIlLi16ELi32ELi8ELc67ELc84ELc85ELb0ELb0EffPKfPfEviT_T9_T10_S3_lS5_S3_lS4_T11_S3_li
	.p2align	8
	.type	_ZL29rocblas_internal_gemmt_kernelIlLi16ELi32ELi8ELc67ELc84ELc85ELb0ELb0EffPKfPfEviT_T9_T10_S3_lS5_S3_lS4_T11_S3_li,@function
_ZL29rocblas_internal_gemmt_kernelIlLi16ELi32ELi8ELc67ELc84ELc85ELb0ELb0EffPKfPfEviT_T9_T10_S3_lS5_S3_lS4_T11_S3_li: ; @_ZL29rocblas_internal_gemmt_kernelIlLi16ELi32ELi8ELc67ELc84ELc85ELb0ELb0EffPKfPfEviT_T9_T10_S3_lS5_S3_lS4_T11_S3_li
; %bb.0:
	s_load_dword s18, s[0:1], 0x48
	s_load_dwordx2 s[12:13], s[0:1], 0x8
	s_load_dword s19, s[0:1], 0x10
	s_waitcnt lgkmcnt(0)
	v_cmp_neq_f32_e64 s[6:7], s18, 1.0
	s_and_b64 vcc, exec, s[6:7]
	s_cbranch_vccnz .LBB169_2
; %bb.1:
	s_cmp_lg_u64 s[12:13], 0
	s_cselect_b64 s[6:7], -1, 0
	v_cmp_neq_f32_e64 s[8:9], s19, 0
	s_and_b64 s[6:7], s[6:7], s[8:9]
.LBB169_2:
	s_andn2_b64 vcc, exec, s[6:7]
	s_cbranch_vccnz .LBB169_28
; %bb.3:
	s_load_dword s20, s[0:1], 0x0
	s_lshl_b32 s5, s2, 5
	s_lshl_b32 s21, s3, 5
	v_cmp_eq_f32_e64 s[2:3], s19, 0
	v_cmp_lt_i64_e64 s[6:7], s[12:13], 1
	v_mov_b32_e32 v3, 0
	s_or_b64 s[2:3], s[2:3], s[6:7]
	v_and_b32_e32 v7, 0x3ff, v0
	v_bfe_u32 v5, v0, 10, 10
	s_and_b64 vcc, exec, s[2:3]
	v_mov_b32_e32 v2, v3
	v_mov_b32_e32 v1, v3
	;; [unrolled: 1-line block ×3, first 2 shown]
	s_cbranch_vccnz .LBB169_12
; %bb.4:
	s_load_dwordx8 s[24:31], s[0:1], 0x18
	s_load_dwordx4 s[8:11], s[0:1], 0x38
	v_lshl_add_u32 v1, v5, 4, v7
	v_lshrrev_b32_e32 v6, 5, v1
	v_lshrrev_b32_e32 v10, 3, v1
	v_and_b32_e32 v1, 31, v1
	s_waitcnt lgkmcnt(0)
	s_mul_i32 s2, s11, s4
	s_mul_hi_u32 s3, s10, s4
	s_add_i32 s3, s3, s2
	s_mul_i32 s2, s10, s4
	s_lshl_b64 s[2:3], s[2:3], 2
	s_add_u32 s10, s30, s2
	s_addc_u32 s11, s31, s3
	s_mul_i32 s2, s29, s4
	s_mul_hi_u32 s3, s28, s4
	s_add_i32 s3, s3, s2
	s_mul_i32 s2, s28, s4
	s_lshl_b64 s[2:3], s[2:3], 2
	v_or_b32_e32 v2, s5, v1
	s_add_u32 s6, s24, s2
	v_lshlrev_b32_e32 v1, 2, v1
	s_addc_u32 s7, s25, s3
	v_cmp_gt_i32_e64 s[2:3], s20, v2
	v_lshl_or_b32 v14, v6, 7, v1
	s_ashr_i32 s16, s5, 31
	v_mul_lo_u32 v1, s27, v2
	v_mad_u64_u32 v[2:3], s[14:15], s26, v2, 0
	v_and_b32_e32 v4, 7, v7
	s_mul_i32 s14, s26, s16
	v_add3_u32 v3, v3, s14, v1
	v_lshlrev_b32_e32 v1, 2, v4
	v_add_u32_e32 v0, s21, v10
	v_lshl_or_b32 v1, v10, 5, v1
	v_add_u32_e32 v15, 0x400, v1
	v_ashrrev_i32_e32 v1, 31, v0
	v_lshl_add_u64 v[8:9], v[2:3], 2, s[6:7]
	v_cmp_gt_i32_e64 s[6:7], s20, v0
	v_lshl_add_u64 v[10:11], v[0:1], 2, s[10:11]
	v_mov_b32_e32 v0, 0x400
	v_mov_b32_e32 v13, 0
	v_lshlrev_b32_e32 v16, 2, v7
	v_lshl_add_u32 v17, v5, 5, v0
	s_mov_b64 s[10:11], 0
	v_mov_b32_e32 v0, v13
	v_mov_b32_e32 v1, v13
	;; [unrolled: 1-line block ×4, first 2 shown]
	s_branch .LBB169_6
.LBB169_5:                              ;   in Loop: Header=BB169_6 Depth=1
	s_or_b64 exec, exec, s[14:15]
	s_waitcnt vmcnt(0)
	ds_write_b32 v15, v18
	s_waitcnt lgkmcnt(0)
	s_barrier
	ds_read_b128 v[18:21], v17
	ds_read_b128 v[22:25], v17 offset:16
	ds_read2_b32 v[34:35], v16 offset1:16
	ds_read2_b32 v[36:37], v16 offset0:32 offset1:48
	ds_read2_b32 v[38:39], v16 offset0:64 offset1:80
	;; [unrolled: 1-line block ×4, first 2 shown]
	ds_read_b128 v[26:29], v17 offset:512
	ds_read_b128 v[30:33], v17 offset:528
	ds_read2_b32 v[44:45], v16 offset0:160 offset1:176
	ds_read2_b32 v[46:47], v16 offset0:192 offset1:208
	;; [unrolled: 1-line block ×3, first 2 shown]
	s_waitcnt lgkmcnt(9)
	v_pk_fma_f32 v[2:3], v[34:35], v[18:19], v[2:3] op_sel_hi:[1,0,1]
	v_mov_b32_e32 v12, v21
	s_waitcnt lgkmcnt(8)
	v_pk_fma_f32 v[2:3], v[36:37], v[18:19], v[2:3] op_sel:[0,1,0]
	s_waitcnt lgkmcnt(4)
	v_pk_fma_f32 v[0:1], v[34:35], v[26:27], v[0:1] op_sel_hi:[1,0,1]
	v_pk_fma_f32 v[2:3], v[38:39], v[20:21], v[2:3] op_sel_hi:[1,0,1]
	v_pk_fma_f32 v[0:1], v[36:37], v[26:27], v[0:1] op_sel:[0,1,0]
	v_pk_fma_f32 v[2:3], v[40:41], v[12:13], v[2:3] op_sel_hi:[1,0,1]
	v_mov_b32_e32 v12, v25
	v_pk_fma_f32 v[2:3], v[42:43], v[22:23], v[2:3] op_sel_hi:[1,0,1]
	v_pk_fma_f32 v[0:1], v[38:39], v[28:29], v[0:1] op_sel_hi:[1,0,1]
	s_waitcnt lgkmcnt(2)
	v_pk_fma_f32 v[2:3], v[44:45], v[22:23], v[2:3] op_sel:[0,1,0]
	s_add_u32 s10, s10, 8
	s_waitcnt lgkmcnt(1)
	v_pk_fma_f32 v[2:3], v[46:47], v[24:25], v[2:3] op_sel_hi:[1,0,1]
	s_addc_u32 s11, s11, 0
	s_waitcnt lgkmcnt(0)
	v_pk_fma_f32 v[2:3], v[48:49], v[12:13], v[2:3] op_sel_hi:[1,0,1]
	v_mov_b32_e32 v12, v29
	v_pk_fma_f32 v[0:1], v[40:41], v[12:13], v[0:1] op_sel_hi:[1,0,1]
	v_mov_b64_e32 v[18:19], s[10:11]
	v_pk_fma_f32 v[0:1], v[42:43], v[30:31], v[0:1] op_sel_hi:[1,0,1]
	v_mov_b32_e32 v12, v33
	v_pk_fma_f32 v[0:1], v[44:45], v[30:31], v[0:1] op_sel:[0,1,0]
	v_cmp_gt_i64_e32 vcc, s[12:13], v[18:19]
	v_pk_fma_f32 v[0:1], v[46:47], v[32:33], v[0:1] op_sel_hi:[1,0,1]
	s_nop 0
	v_pk_fma_f32 v[0:1], v[48:49], v[12:13], v[0:1] op_sel_hi:[1,0,1]
	s_barrier
	s_cbranch_vccz .LBB169_12
.LBB169_6:                              ; =>This Inner Loop Header: Depth=1
	v_mov_b32_e32 v18, 0
	s_and_saveexec_b64 s[14:15], s[2:3]
	s_cbranch_execz .LBB169_10
; %bb.7:                                ;   in Loop: Header=BB169_6 Depth=1
	v_add_u32_e32 v12, s10, v6
	v_cmp_gt_u64_e32 vcc, s[12:13], v[12:13]
	v_mov_b32_e32 v18, 0
	s_and_saveexec_b64 s[16:17], vcc
	s_cbranch_execz .LBB169_9
; %bb.8:                                ;   in Loop: Header=BB169_6 Depth=1
	v_lshl_add_u64 v[18:19], v[12:13], 2, v[8:9]
	global_load_dword v18, v[18:19], off
.LBB169_9:                              ;   in Loop: Header=BB169_6 Depth=1
	s_or_b64 exec, exec, s[16:17]
.LBB169_10:                             ;   in Loop: Header=BB169_6 Depth=1
	s_or_b64 exec, exec, s[14:15]
	v_add_u32_e32 v12, s10, v4
	v_cmp_gt_u64_e32 vcc, s[12:13], v[12:13]
	s_waitcnt vmcnt(0)
	ds_write_b32 v14, v18
	s_and_b64 s[16:17], vcc, s[6:7]
	v_mov_b32_e32 v18, 0
	s_and_saveexec_b64 s[14:15], s[16:17]
	s_cbranch_execz .LBB169_5
; %bb.11:                               ;   in Loop: Header=BB169_6 Depth=1
	v_mad_u64_u32 v[18:19], s[16:17], s8, v12, 0
	v_mov_b32_e32 v20, v19
	v_mad_u64_u32 v[20:21], s[16:17], s9, v12, v[20:21]
	v_mov_b32_e32 v19, v20
	v_lshl_add_u64 v[18:19], v[18:19], 2, v[10:11]
	global_load_dword v18, v[18:19], off
	s_branch .LBB169_5
.LBB169_12:
	s_load_dwordx2 s[2:3], s[0:1], 0x60
	s_load_dwordx4 s[8:11], s[0:1], 0x50
	v_add_u32_e32 v10, s21, v5
	v_ashrrev_i32_e32 v5, 31, v10
	v_add_u32_e32 v4, s5, v7
	s_waitcnt lgkmcnt(0)
	s_mul_i32 s1, s3, s4
	s_mul_hi_u32 s3, s2, s4
	s_mul_i32 s0, s2, s4
	s_add_i32 s1, s3, s1
	s_lshl_b64 s[0:1], s[0:1], 2
	s_add_u32 s4, s8, s0
	s_addc_u32 s5, s9, s1
	v_mul_lo_u32 v5, s10, v5
	v_mul_lo_u32 v8, s11, v10
	v_mad_u64_u32 v[6:7], s[0:1], s10, v10, 0
	v_add3_u32 v7, v7, v5, v8
	v_cmp_neq_f32_e64 s[0:1], s18, 0
	v_cmp_gt_i32_e64 s[2:3], s20, v10
	v_lshl_add_u64 v[8:9], v[6:7], 2, s[4:5]
	v_cmp_le_i32_e32 vcc, v4, v10
	v_cndmask_b32_e64 v6, 0, 1, s[0:1]
	s_and_b64 s[8:9], s[2:3], vcc
	v_ashrrev_i32_e32 v5, 31, v4
	v_cmp_ne_u32_e64 s[0:1], 1, v6
	s_and_saveexec_b64 s[6:7], s[8:9]
	s_cbranch_execz .LBB169_16
; %bb.13:
	v_mul_f32_e32 v2, s19, v2
	s_and_b64 vcc, exec, s[0:1]
	v_lshl_add_u64 v[6:7], v[4:5], 2, v[8:9]
	s_cbranch_vccnz .LBB169_15
; %bb.14:
	global_load_dword v11, v[6:7], off
	s_waitcnt vmcnt(0)
	v_fmac_f32_e32 v2, s18, v11
.LBB169_15:
	global_store_dword v[6:7], v2, off
.LBB169_16:
	s_or_b64 exec, exec, s[6:7]
	v_add_u32_e32 v6, 16, v4
	v_cmp_le_i32_e32 vcc, v6, v10
	s_and_b64 s[6:7], s[2:3], vcc
	v_ashrrev_i32_e32 v7, 31, v6
	s_and_saveexec_b64 s[2:3], s[6:7]
	s_cbranch_execz .LBB169_20
; %bb.17:
	v_mul_f32_e32 v11, s19, v3
	s_and_b64 vcc, exec, s[0:1]
	v_lshl_add_u64 v[2:3], v[6:7], 2, v[8:9]
	s_cbranch_vccnz .LBB169_19
; %bb.18:
	global_load_dword v8, v[2:3], off
	s_waitcnt vmcnt(0)
	v_fmac_f32_e32 v11, s18, v8
.LBB169_19:
	global_store_dword v[2:3], v11, off
.LBB169_20:
	s_or_b64 exec, exec, s[2:3]
	v_add_u32_e32 v8, 16, v10
	v_ashrrev_i32_e32 v2, 31, v8
	v_mul_lo_u32 v9, s10, v2
	v_mul_lo_u32 v10, s11, v8
	v_mad_u64_u32 v[2:3], s[6:7], s10, v8, 0
	v_cmp_gt_i32_e64 s[2:3], s20, v8
	v_add3_u32 v3, v3, v9, v10
	v_cmp_le_i32_e32 vcc, v4, v8
	v_lshl_add_u64 v[2:3], v[2:3], 2, s[4:5]
	s_and_b64 s[6:7], s[2:3], vcc
	s_and_saveexec_b64 s[4:5], s[6:7]
	s_cbranch_execz .LBB169_24
; %bb.21:
	v_mul_f32_e32 v0, s19, v0
	s_and_b64 vcc, exec, s[0:1]
	v_lshl_add_u64 v[4:5], v[4:5], 2, v[2:3]
	s_cbranch_vccnz .LBB169_23
; %bb.22:
	global_load_dword v9, v[4:5], off
	s_waitcnt vmcnt(0)
	v_fmac_f32_e32 v0, s18, v9
.LBB169_23:
	global_store_dword v[4:5], v0, off
.LBB169_24:
	s_or_b64 exec, exec, s[4:5]
	v_cmp_le_i32_e32 vcc, v6, v8
	s_and_b64 s[2:3], s[2:3], vcc
	s_and_saveexec_b64 s[4:5], s[2:3]
	s_cbranch_execz .LBB169_28
; %bb.25:
	v_mul_f32_e32 v4, s19, v1
	s_and_b64 vcc, exec, s[0:1]
	v_lshl_add_u64 v[0:1], v[6:7], 2, v[2:3]
	s_cbranch_vccnz .LBB169_27
; %bb.26:
	global_load_dword v2, v[0:1], off
	s_waitcnt vmcnt(0)
	v_fmac_f32_e32 v4, s18, v2
.LBB169_27:
	global_store_dword v[0:1], v4, off
.LBB169_28:
	s_endpgm
	.section	.rodata,"a",@progbits
	.p2align	6, 0x0
	.amdhsa_kernel _ZL29rocblas_internal_gemmt_kernelIlLi16ELi32ELi8ELc67ELc84ELc85ELb0ELb0EffPKfPfEviT_T9_T10_S3_lS5_S3_lS4_T11_S3_li
		.amdhsa_group_segment_fixed_size 2048
		.amdhsa_private_segment_fixed_size 0
		.amdhsa_kernarg_size 108
		.amdhsa_user_sgpr_count 2
		.amdhsa_user_sgpr_dispatch_ptr 0
		.amdhsa_user_sgpr_queue_ptr 0
		.amdhsa_user_sgpr_kernarg_segment_ptr 1
		.amdhsa_user_sgpr_dispatch_id 0
		.amdhsa_user_sgpr_kernarg_preload_length 0
		.amdhsa_user_sgpr_kernarg_preload_offset 0
		.amdhsa_user_sgpr_private_segment_size 0
		.amdhsa_uses_dynamic_stack 0
		.amdhsa_enable_private_segment 0
		.amdhsa_system_sgpr_workgroup_id_x 1
		.amdhsa_system_sgpr_workgroup_id_y 1
		.amdhsa_system_sgpr_workgroup_id_z 1
		.amdhsa_system_sgpr_workgroup_info 0
		.amdhsa_system_vgpr_workitem_id 1
		.amdhsa_next_free_vgpr 50
		.amdhsa_next_free_sgpr 32
		.amdhsa_accum_offset 52
		.amdhsa_reserve_vcc 1
		.amdhsa_float_round_mode_32 0
		.amdhsa_float_round_mode_16_64 0
		.amdhsa_float_denorm_mode_32 3
		.amdhsa_float_denorm_mode_16_64 3
		.amdhsa_dx10_clamp 1
		.amdhsa_ieee_mode 1
		.amdhsa_fp16_overflow 0
		.amdhsa_tg_split 0
		.amdhsa_exception_fp_ieee_invalid_op 0
		.amdhsa_exception_fp_denorm_src 0
		.amdhsa_exception_fp_ieee_div_zero 0
		.amdhsa_exception_fp_ieee_overflow 0
		.amdhsa_exception_fp_ieee_underflow 0
		.amdhsa_exception_fp_ieee_inexact 0
		.amdhsa_exception_int_div_zero 0
	.end_amdhsa_kernel
	.section	.text._ZL29rocblas_internal_gemmt_kernelIlLi16ELi32ELi8ELc67ELc84ELc85ELb0ELb0EffPKfPfEviT_T9_T10_S3_lS5_S3_lS4_T11_S3_li,"axG",@progbits,_ZL29rocblas_internal_gemmt_kernelIlLi16ELi32ELi8ELc67ELc84ELc85ELb0ELb0EffPKfPfEviT_T9_T10_S3_lS5_S3_lS4_T11_S3_li,comdat
.Lfunc_end169:
	.size	_ZL29rocblas_internal_gemmt_kernelIlLi16ELi32ELi8ELc67ELc84ELc85ELb0ELb0EffPKfPfEviT_T9_T10_S3_lS5_S3_lS4_T11_S3_li, .Lfunc_end169-_ZL29rocblas_internal_gemmt_kernelIlLi16ELi32ELi8ELc67ELc84ELc85ELb0ELb0EffPKfPfEviT_T9_T10_S3_lS5_S3_lS4_T11_S3_li
                                        ; -- End function
	.set _ZL29rocblas_internal_gemmt_kernelIlLi16ELi32ELi8ELc67ELc84ELc85ELb0ELb0EffPKfPfEviT_T9_T10_S3_lS5_S3_lS4_T11_S3_li.num_vgpr, 50
	.set _ZL29rocblas_internal_gemmt_kernelIlLi16ELi32ELi8ELc67ELc84ELc85ELb0ELb0EffPKfPfEviT_T9_T10_S3_lS5_S3_lS4_T11_S3_li.num_agpr, 0
	.set _ZL29rocblas_internal_gemmt_kernelIlLi16ELi32ELi8ELc67ELc84ELc85ELb0ELb0EffPKfPfEviT_T9_T10_S3_lS5_S3_lS4_T11_S3_li.numbered_sgpr, 32
	.set _ZL29rocblas_internal_gemmt_kernelIlLi16ELi32ELi8ELc67ELc84ELc85ELb0ELb0EffPKfPfEviT_T9_T10_S3_lS5_S3_lS4_T11_S3_li.num_named_barrier, 0
	.set _ZL29rocblas_internal_gemmt_kernelIlLi16ELi32ELi8ELc67ELc84ELc85ELb0ELb0EffPKfPfEviT_T9_T10_S3_lS5_S3_lS4_T11_S3_li.private_seg_size, 0
	.set _ZL29rocblas_internal_gemmt_kernelIlLi16ELi32ELi8ELc67ELc84ELc85ELb0ELb0EffPKfPfEviT_T9_T10_S3_lS5_S3_lS4_T11_S3_li.uses_vcc, 1
	.set _ZL29rocblas_internal_gemmt_kernelIlLi16ELi32ELi8ELc67ELc84ELc85ELb0ELb0EffPKfPfEviT_T9_T10_S3_lS5_S3_lS4_T11_S3_li.uses_flat_scratch, 0
	.set _ZL29rocblas_internal_gemmt_kernelIlLi16ELi32ELi8ELc67ELc84ELc85ELb0ELb0EffPKfPfEviT_T9_T10_S3_lS5_S3_lS4_T11_S3_li.has_dyn_sized_stack, 0
	.set _ZL29rocblas_internal_gemmt_kernelIlLi16ELi32ELi8ELc67ELc84ELc85ELb0ELb0EffPKfPfEviT_T9_T10_S3_lS5_S3_lS4_T11_S3_li.has_recursion, 0
	.set _ZL29rocblas_internal_gemmt_kernelIlLi16ELi32ELi8ELc67ELc84ELc85ELb0ELb0EffPKfPfEviT_T9_T10_S3_lS5_S3_lS4_T11_S3_li.has_indirect_call, 0
	.section	.AMDGPU.csdata,"",@progbits
; Kernel info:
; codeLenInByte = 1312
; TotalNumSgprs: 38
; NumVgprs: 50
; NumAgprs: 0
; TotalNumVgprs: 50
; ScratchSize: 0
; MemoryBound: 0
; FloatMode: 240
; IeeeMode: 1
; LDSByteSize: 2048 bytes/workgroup (compile time only)
; SGPRBlocks: 4
; VGPRBlocks: 6
; NumSGPRsForWavesPerEU: 38
; NumVGPRsForWavesPerEU: 50
; AccumOffset: 52
; Occupancy: 8
; WaveLimiterHint : 0
; COMPUTE_PGM_RSRC2:SCRATCH_EN: 0
; COMPUTE_PGM_RSRC2:USER_SGPR: 2
; COMPUTE_PGM_RSRC2:TRAP_HANDLER: 0
; COMPUTE_PGM_RSRC2:TGID_X_EN: 1
; COMPUTE_PGM_RSRC2:TGID_Y_EN: 1
; COMPUTE_PGM_RSRC2:TGID_Z_EN: 1
; COMPUTE_PGM_RSRC2:TIDIG_COMP_CNT: 1
; COMPUTE_PGM_RSRC3_GFX90A:ACCUM_OFFSET: 12
; COMPUTE_PGM_RSRC3_GFX90A:TG_SPLIT: 0
	.section	.text._ZL29rocblas_internal_gemmt_kernelIlLi16ELi32ELi8ELc67ELc67ELc85ELb0ELb0EffPKfPfEviT_T9_T10_S3_lS5_S3_lS4_T11_S3_li,"axG",@progbits,_ZL29rocblas_internal_gemmt_kernelIlLi16ELi32ELi8ELc67ELc67ELc85ELb0ELb0EffPKfPfEviT_T9_T10_S3_lS5_S3_lS4_T11_S3_li,comdat
	.globl	_ZL29rocblas_internal_gemmt_kernelIlLi16ELi32ELi8ELc67ELc67ELc85ELb0ELb0EffPKfPfEviT_T9_T10_S3_lS5_S3_lS4_T11_S3_li ; -- Begin function _ZL29rocblas_internal_gemmt_kernelIlLi16ELi32ELi8ELc67ELc67ELc85ELb0ELb0EffPKfPfEviT_T9_T10_S3_lS5_S3_lS4_T11_S3_li
	.p2align	8
	.type	_ZL29rocblas_internal_gemmt_kernelIlLi16ELi32ELi8ELc67ELc67ELc85ELb0ELb0EffPKfPfEviT_T9_T10_S3_lS5_S3_lS4_T11_S3_li,@function
_ZL29rocblas_internal_gemmt_kernelIlLi16ELi32ELi8ELc67ELc67ELc85ELb0ELb0EffPKfPfEviT_T9_T10_S3_lS5_S3_lS4_T11_S3_li: ; @_ZL29rocblas_internal_gemmt_kernelIlLi16ELi32ELi8ELc67ELc67ELc85ELb0ELb0EffPKfPfEviT_T9_T10_S3_lS5_S3_lS4_T11_S3_li
; %bb.0:
	s_load_dword s18, s[0:1], 0x48
	s_load_dwordx2 s[12:13], s[0:1], 0x8
	s_load_dword s19, s[0:1], 0x10
	s_waitcnt lgkmcnt(0)
	v_cmp_neq_f32_e64 s[6:7], s18, 1.0
	s_and_b64 vcc, exec, s[6:7]
	s_cbranch_vccnz .LBB170_2
; %bb.1:
	s_cmp_lg_u64 s[12:13], 0
	s_cselect_b64 s[6:7], -1, 0
	v_cmp_neq_f32_e64 s[8:9], s19, 0
	s_and_b64 s[6:7], s[6:7], s[8:9]
.LBB170_2:
	s_andn2_b64 vcc, exec, s[6:7]
	s_cbranch_vccnz .LBB170_28
; %bb.3:
	s_load_dword s20, s[0:1], 0x0
	s_lshl_b32 s5, s2, 5
	s_lshl_b32 s21, s3, 5
	v_cmp_eq_f32_e64 s[2:3], s19, 0
	v_cmp_lt_i64_e64 s[6:7], s[12:13], 1
	v_mov_b32_e32 v3, 0
	s_or_b64 s[2:3], s[2:3], s[6:7]
	v_and_b32_e32 v7, 0x3ff, v0
	v_bfe_u32 v5, v0, 10, 10
	s_and_b64 vcc, exec, s[2:3]
	v_mov_b32_e32 v2, v3
	v_mov_b32_e32 v1, v3
	;; [unrolled: 1-line block ×3, first 2 shown]
	s_cbranch_vccnz .LBB170_12
; %bb.4:
	s_load_dwordx8 s[24:31], s[0:1], 0x18
	s_load_dwordx4 s[8:11], s[0:1], 0x38
	v_lshl_add_u32 v1, v5, 4, v7
	v_lshrrev_b32_e32 v6, 5, v1
	v_lshrrev_b32_e32 v10, 3, v1
	v_and_b32_e32 v1, 31, v1
	s_waitcnt lgkmcnt(0)
	s_mul_i32 s2, s11, s4
	s_mul_hi_u32 s3, s10, s4
	s_add_i32 s3, s3, s2
	s_mul_i32 s2, s10, s4
	s_lshl_b64 s[2:3], s[2:3], 2
	s_add_u32 s10, s30, s2
	s_addc_u32 s11, s31, s3
	s_mul_i32 s2, s29, s4
	s_mul_hi_u32 s3, s28, s4
	s_add_i32 s3, s3, s2
	s_mul_i32 s2, s28, s4
	s_lshl_b64 s[2:3], s[2:3], 2
	v_or_b32_e32 v2, s5, v1
	s_add_u32 s6, s24, s2
	v_lshlrev_b32_e32 v1, 2, v1
	s_addc_u32 s7, s25, s3
	v_cmp_gt_i32_e64 s[2:3], s20, v2
	v_lshl_or_b32 v14, v6, 7, v1
	s_ashr_i32 s16, s5, 31
	v_mul_lo_u32 v1, s27, v2
	v_mad_u64_u32 v[2:3], s[14:15], s26, v2, 0
	v_and_b32_e32 v4, 7, v7
	s_mul_i32 s14, s26, s16
	v_add3_u32 v3, v3, s14, v1
	v_lshlrev_b32_e32 v1, 2, v4
	v_add_u32_e32 v0, s21, v10
	v_lshl_or_b32 v1, v10, 5, v1
	v_add_u32_e32 v15, 0x400, v1
	v_ashrrev_i32_e32 v1, 31, v0
	v_lshl_add_u64 v[8:9], v[2:3], 2, s[6:7]
	v_cmp_gt_i32_e64 s[6:7], s20, v0
	v_lshl_add_u64 v[10:11], v[0:1], 2, s[10:11]
	v_mov_b32_e32 v0, 0x400
	v_mov_b32_e32 v13, 0
	v_lshlrev_b32_e32 v16, 2, v7
	v_lshl_add_u32 v17, v5, 5, v0
	s_mov_b64 s[10:11], 0
	v_mov_b32_e32 v0, v13
	v_mov_b32_e32 v1, v13
	;; [unrolled: 1-line block ×4, first 2 shown]
	s_branch .LBB170_6
.LBB170_5:                              ;   in Loop: Header=BB170_6 Depth=1
	s_or_b64 exec, exec, s[14:15]
	s_waitcnt vmcnt(0)
	ds_write_b32 v15, v18
	s_waitcnt lgkmcnt(0)
	s_barrier
	ds_read_b128 v[18:21], v17
	ds_read_b128 v[22:25], v17 offset:16
	ds_read2_b32 v[34:35], v16 offset1:16
	ds_read2_b32 v[36:37], v16 offset0:32 offset1:48
	ds_read2_b32 v[38:39], v16 offset0:64 offset1:80
	;; [unrolled: 1-line block ×4, first 2 shown]
	ds_read_b128 v[26:29], v17 offset:512
	ds_read_b128 v[30:33], v17 offset:528
	ds_read2_b32 v[44:45], v16 offset0:160 offset1:176
	ds_read2_b32 v[46:47], v16 offset0:192 offset1:208
	;; [unrolled: 1-line block ×3, first 2 shown]
	s_waitcnt lgkmcnt(9)
	v_pk_fma_f32 v[2:3], v[34:35], v[18:19], v[2:3] op_sel_hi:[1,0,1]
	v_mov_b32_e32 v12, v21
	s_waitcnt lgkmcnt(8)
	v_pk_fma_f32 v[2:3], v[36:37], v[18:19], v[2:3] op_sel:[0,1,0]
	s_waitcnt lgkmcnt(4)
	v_pk_fma_f32 v[0:1], v[34:35], v[26:27], v[0:1] op_sel_hi:[1,0,1]
	v_pk_fma_f32 v[2:3], v[38:39], v[20:21], v[2:3] op_sel_hi:[1,0,1]
	v_pk_fma_f32 v[0:1], v[36:37], v[26:27], v[0:1] op_sel:[0,1,0]
	v_pk_fma_f32 v[2:3], v[40:41], v[12:13], v[2:3] op_sel_hi:[1,0,1]
	v_mov_b32_e32 v12, v25
	v_pk_fma_f32 v[2:3], v[42:43], v[22:23], v[2:3] op_sel_hi:[1,0,1]
	v_pk_fma_f32 v[0:1], v[38:39], v[28:29], v[0:1] op_sel_hi:[1,0,1]
	s_waitcnt lgkmcnt(2)
	v_pk_fma_f32 v[2:3], v[44:45], v[22:23], v[2:3] op_sel:[0,1,0]
	s_add_u32 s10, s10, 8
	s_waitcnt lgkmcnt(1)
	v_pk_fma_f32 v[2:3], v[46:47], v[24:25], v[2:3] op_sel_hi:[1,0,1]
	s_addc_u32 s11, s11, 0
	s_waitcnt lgkmcnt(0)
	v_pk_fma_f32 v[2:3], v[48:49], v[12:13], v[2:3] op_sel_hi:[1,0,1]
	v_mov_b32_e32 v12, v29
	v_pk_fma_f32 v[0:1], v[40:41], v[12:13], v[0:1] op_sel_hi:[1,0,1]
	v_mov_b64_e32 v[18:19], s[10:11]
	v_pk_fma_f32 v[0:1], v[42:43], v[30:31], v[0:1] op_sel_hi:[1,0,1]
	v_mov_b32_e32 v12, v33
	v_pk_fma_f32 v[0:1], v[44:45], v[30:31], v[0:1] op_sel:[0,1,0]
	v_cmp_gt_i64_e32 vcc, s[12:13], v[18:19]
	v_pk_fma_f32 v[0:1], v[46:47], v[32:33], v[0:1] op_sel_hi:[1,0,1]
	s_nop 0
	v_pk_fma_f32 v[0:1], v[48:49], v[12:13], v[0:1] op_sel_hi:[1,0,1]
	s_barrier
	s_cbranch_vccz .LBB170_12
.LBB170_6:                              ; =>This Inner Loop Header: Depth=1
	v_mov_b32_e32 v18, 0
	s_and_saveexec_b64 s[14:15], s[2:3]
	s_cbranch_execz .LBB170_10
; %bb.7:                                ;   in Loop: Header=BB170_6 Depth=1
	v_add_u32_e32 v12, s10, v6
	v_cmp_gt_u64_e32 vcc, s[12:13], v[12:13]
	v_mov_b32_e32 v18, 0
	s_and_saveexec_b64 s[16:17], vcc
	s_cbranch_execz .LBB170_9
; %bb.8:                                ;   in Loop: Header=BB170_6 Depth=1
	v_lshl_add_u64 v[18:19], v[12:13], 2, v[8:9]
	global_load_dword v18, v[18:19], off
.LBB170_9:                              ;   in Loop: Header=BB170_6 Depth=1
	s_or_b64 exec, exec, s[16:17]
.LBB170_10:                             ;   in Loop: Header=BB170_6 Depth=1
	s_or_b64 exec, exec, s[14:15]
	v_add_u32_e32 v12, s10, v4
	v_cmp_gt_u64_e32 vcc, s[12:13], v[12:13]
	s_waitcnt vmcnt(0)
	ds_write_b32 v14, v18
	s_and_b64 s[16:17], vcc, s[6:7]
	v_mov_b32_e32 v18, 0
	s_and_saveexec_b64 s[14:15], s[16:17]
	s_cbranch_execz .LBB170_5
; %bb.11:                               ;   in Loop: Header=BB170_6 Depth=1
	v_mad_u64_u32 v[18:19], s[16:17], s8, v12, 0
	v_mov_b32_e32 v20, v19
	v_mad_u64_u32 v[20:21], s[16:17], s9, v12, v[20:21]
	v_mov_b32_e32 v19, v20
	v_lshl_add_u64 v[18:19], v[18:19], 2, v[10:11]
	global_load_dword v18, v[18:19], off
	s_branch .LBB170_5
.LBB170_12:
	s_load_dwordx2 s[2:3], s[0:1], 0x60
	s_load_dwordx4 s[8:11], s[0:1], 0x50
	v_add_u32_e32 v10, s21, v5
	v_ashrrev_i32_e32 v5, 31, v10
	v_add_u32_e32 v4, s5, v7
	s_waitcnt lgkmcnt(0)
	s_mul_i32 s1, s3, s4
	s_mul_hi_u32 s3, s2, s4
	s_mul_i32 s0, s2, s4
	s_add_i32 s1, s3, s1
	s_lshl_b64 s[0:1], s[0:1], 2
	s_add_u32 s4, s8, s0
	s_addc_u32 s5, s9, s1
	v_mul_lo_u32 v5, s10, v5
	v_mul_lo_u32 v8, s11, v10
	v_mad_u64_u32 v[6:7], s[0:1], s10, v10, 0
	v_add3_u32 v7, v7, v5, v8
	v_cmp_neq_f32_e64 s[0:1], s18, 0
	v_cmp_gt_i32_e64 s[2:3], s20, v10
	v_lshl_add_u64 v[8:9], v[6:7], 2, s[4:5]
	v_cmp_le_i32_e32 vcc, v4, v10
	v_cndmask_b32_e64 v6, 0, 1, s[0:1]
	s_and_b64 s[8:9], s[2:3], vcc
	v_ashrrev_i32_e32 v5, 31, v4
	v_cmp_ne_u32_e64 s[0:1], 1, v6
	s_and_saveexec_b64 s[6:7], s[8:9]
	s_cbranch_execz .LBB170_16
; %bb.13:
	v_mul_f32_e32 v2, s19, v2
	s_and_b64 vcc, exec, s[0:1]
	v_lshl_add_u64 v[6:7], v[4:5], 2, v[8:9]
	s_cbranch_vccnz .LBB170_15
; %bb.14:
	global_load_dword v11, v[6:7], off
	s_waitcnt vmcnt(0)
	v_fmac_f32_e32 v2, s18, v11
.LBB170_15:
	global_store_dword v[6:7], v2, off
.LBB170_16:
	s_or_b64 exec, exec, s[6:7]
	v_add_u32_e32 v6, 16, v4
	v_cmp_le_i32_e32 vcc, v6, v10
	s_and_b64 s[6:7], s[2:3], vcc
	v_ashrrev_i32_e32 v7, 31, v6
	s_and_saveexec_b64 s[2:3], s[6:7]
	s_cbranch_execz .LBB170_20
; %bb.17:
	v_mul_f32_e32 v11, s19, v3
	s_and_b64 vcc, exec, s[0:1]
	v_lshl_add_u64 v[2:3], v[6:7], 2, v[8:9]
	s_cbranch_vccnz .LBB170_19
; %bb.18:
	global_load_dword v8, v[2:3], off
	s_waitcnt vmcnt(0)
	v_fmac_f32_e32 v11, s18, v8
.LBB170_19:
	global_store_dword v[2:3], v11, off
.LBB170_20:
	s_or_b64 exec, exec, s[2:3]
	v_add_u32_e32 v8, 16, v10
	v_ashrrev_i32_e32 v2, 31, v8
	v_mul_lo_u32 v9, s10, v2
	v_mul_lo_u32 v10, s11, v8
	v_mad_u64_u32 v[2:3], s[6:7], s10, v8, 0
	v_cmp_gt_i32_e64 s[2:3], s20, v8
	v_add3_u32 v3, v3, v9, v10
	v_cmp_le_i32_e32 vcc, v4, v8
	v_lshl_add_u64 v[2:3], v[2:3], 2, s[4:5]
	s_and_b64 s[6:7], s[2:3], vcc
	s_and_saveexec_b64 s[4:5], s[6:7]
	s_cbranch_execz .LBB170_24
; %bb.21:
	v_mul_f32_e32 v0, s19, v0
	s_and_b64 vcc, exec, s[0:1]
	v_lshl_add_u64 v[4:5], v[4:5], 2, v[2:3]
	s_cbranch_vccnz .LBB170_23
; %bb.22:
	global_load_dword v9, v[4:5], off
	s_waitcnt vmcnt(0)
	v_fmac_f32_e32 v0, s18, v9
.LBB170_23:
	global_store_dword v[4:5], v0, off
.LBB170_24:
	s_or_b64 exec, exec, s[4:5]
	v_cmp_le_i32_e32 vcc, v6, v8
	s_and_b64 s[2:3], s[2:3], vcc
	s_and_saveexec_b64 s[4:5], s[2:3]
	s_cbranch_execz .LBB170_28
; %bb.25:
	v_mul_f32_e32 v4, s19, v1
	s_and_b64 vcc, exec, s[0:1]
	v_lshl_add_u64 v[0:1], v[6:7], 2, v[2:3]
	s_cbranch_vccnz .LBB170_27
; %bb.26:
	global_load_dword v2, v[0:1], off
	s_waitcnt vmcnt(0)
	v_fmac_f32_e32 v4, s18, v2
.LBB170_27:
	global_store_dword v[0:1], v4, off
.LBB170_28:
	s_endpgm
	.section	.rodata,"a",@progbits
	.p2align	6, 0x0
	.amdhsa_kernel _ZL29rocblas_internal_gemmt_kernelIlLi16ELi32ELi8ELc67ELc67ELc85ELb0ELb0EffPKfPfEviT_T9_T10_S3_lS5_S3_lS4_T11_S3_li
		.amdhsa_group_segment_fixed_size 2048
		.amdhsa_private_segment_fixed_size 0
		.amdhsa_kernarg_size 108
		.amdhsa_user_sgpr_count 2
		.amdhsa_user_sgpr_dispatch_ptr 0
		.amdhsa_user_sgpr_queue_ptr 0
		.amdhsa_user_sgpr_kernarg_segment_ptr 1
		.amdhsa_user_sgpr_dispatch_id 0
		.amdhsa_user_sgpr_kernarg_preload_length 0
		.amdhsa_user_sgpr_kernarg_preload_offset 0
		.amdhsa_user_sgpr_private_segment_size 0
		.amdhsa_uses_dynamic_stack 0
		.amdhsa_enable_private_segment 0
		.amdhsa_system_sgpr_workgroup_id_x 1
		.amdhsa_system_sgpr_workgroup_id_y 1
		.amdhsa_system_sgpr_workgroup_id_z 1
		.amdhsa_system_sgpr_workgroup_info 0
		.amdhsa_system_vgpr_workitem_id 1
		.amdhsa_next_free_vgpr 50
		.amdhsa_next_free_sgpr 32
		.amdhsa_accum_offset 52
		.amdhsa_reserve_vcc 1
		.amdhsa_float_round_mode_32 0
		.amdhsa_float_round_mode_16_64 0
		.amdhsa_float_denorm_mode_32 3
		.amdhsa_float_denorm_mode_16_64 3
		.amdhsa_dx10_clamp 1
		.amdhsa_ieee_mode 1
		.amdhsa_fp16_overflow 0
		.amdhsa_tg_split 0
		.amdhsa_exception_fp_ieee_invalid_op 0
		.amdhsa_exception_fp_denorm_src 0
		.amdhsa_exception_fp_ieee_div_zero 0
		.amdhsa_exception_fp_ieee_overflow 0
		.amdhsa_exception_fp_ieee_underflow 0
		.amdhsa_exception_fp_ieee_inexact 0
		.amdhsa_exception_int_div_zero 0
	.end_amdhsa_kernel
	.section	.text._ZL29rocblas_internal_gemmt_kernelIlLi16ELi32ELi8ELc67ELc67ELc85ELb0ELb0EffPKfPfEviT_T9_T10_S3_lS5_S3_lS4_T11_S3_li,"axG",@progbits,_ZL29rocblas_internal_gemmt_kernelIlLi16ELi32ELi8ELc67ELc67ELc85ELb0ELb0EffPKfPfEviT_T9_T10_S3_lS5_S3_lS4_T11_S3_li,comdat
.Lfunc_end170:
	.size	_ZL29rocblas_internal_gemmt_kernelIlLi16ELi32ELi8ELc67ELc67ELc85ELb0ELb0EffPKfPfEviT_T9_T10_S3_lS5_S3_lS4_T11_S3_li, .Lfunc_end170-_ZL29rocblas_internal_gemmt_kernelIlLi16ELi32ELi8ELc67ELc67ELc85ELb0ELb0EffPKfPfEviT_T9_T10_S3_lS5_S3_lS4_T11_S3_li
                                        ; -- End function
	.set _ZL29rocblas_internal_gemmt_kernelIlLi16ELi32ELi8ELc67ELc67ELc85ELb0ELb0EffPKfPfEviT_T9_T10_S3_lS5_S3_lS4_T11_S3_li.num_vgpr, 50
	.set _ZL29rocblas_internal_gemmt_kernelIlLi16ELi32ELi8ELc67ELc67ELc85ELb0ELb0EffPKfPfEviT_T9_T10_S3_lS5_S3_lS4_T11_S3_li.num_agpr, 0
	.set _ZL29rocblas_internal_gemmt_kernelIlLi16ELi32ELi8ELc67ELc67ELc85ELb0ELb0EffPKfPfEviT_T9_T10_S3_lS5_S3_lS4_T11_S3_li.numbered_sgpr, 32
	.set _ZL29rocblas_internal_gemmt_kernelIlLi16ELi32ELi8ELc67ELc67ELc85ELb0ELb0EffPKfPfEviT_T9_T10_S3_lS5_S3_lS4_T11_S3_li.num_named_barrier, 0
	.set _ZL29rocblas_internal_gemmt_kernelIlLi16ELi32ELi8ELc67ELc67ELc85ELb0ELb0EffPKfPfEviT_T9_T10_S3_lS5_S3_lS4_T11_S3_li.private_seg_size, 0
	.set _ZL29rocblas_internal_gemmt_kernelIlLi16ELi32ELi8ELc67ELc67ELc85ELb0ELb0EffPKfPfEviT_T9_T10_S3_lS5_S3_lS4_T11_S3_li.uses_vcc, 1
	.set _ZL29rocblas_internal_gemmt_kernelIlLi16ELi32ELi8ELc67ELc67ELc85ELb0ELb0EffPKfPfEviT_T9_T10_S3_lS5_S3_lS4_T11_S3_li.uses_flat_scratch, 0
	.set _ZL29rocblas_internal_gemmt_kernelIlLi16ELi32ELi8ELc67ELc67ELc85ELb0ELb0EffPKfPfEviT_T9_T10_S3_lS5_S3_lS4_T11_S3_li.has_dyn_sized_stack, 0
	.set _ZL29rocblas_internal_gemmt_kernelIlLi16ELi32ELi8ELc67ELc67ELc85ELb0ELb0EffPKfPfEviT_T9_T10_S3_lS5_S3_lS4_T11_S3_li.has_recursion, 0
	.set _ZL29rocblas_internal_gemmt_kernelIlLi16ELi32ELi8ELc67ELc67ELc85ELb0ELb0EffPKfPfEviT_T9_T10_S3_lS5_S3_lS4_T11_S3_li.has_indirect_call, 0
	.section	.AMDGPU.csdata,"",@progbits
; Kernel info:
; codeLenInByte = 1312
; TotalNumSgprs: 38
; NumVgprs: 50
; NumAgprs: 0
; TotalNumVgprs: 50
; ScratchSize: 0
; MemoryBound: 0
; FloatMode: 240
; IeeeMode: 1
; LDSByteSize: 2048 bytes/workgroup (compile time only)
; SGPRBlocks: 4
; VGPRBlocks: 6
; NumSGPRsForWavesPerEU: 38
; NumVGPRsForWavesPerEU: 50
; AccumOffset: 52
; Occupancy: 8
; WaveLimiterHint : 0
; COMPUTE_PGM_RSRC2:SCRATCH_EN: 0
; COMPUTE_PGM_RSRC2:USER_SGPR: 2
; COMPUTE_PGM_RSRC2:TRAP_HANDLER: 0
; COMPUTE_PGM_RSRC2:TGID_X_EN: 1
; COMPUTE_PGM_RSRC2:TGID_Y_EN: 1
; COMPUTE_PGM_RSRC2:TGID_Z_EN: 1
; COMPUTE_PGM_RSRC2:TIDIG_COMP_CNT: 1
; COMPUTE_PGM_RSRC3_GFX90A:ACCUM_OFFSET: 12
; COMPUTE_PGM_RSRC3_GFX90A:TG_SPLIT: 0
	.section	.text._ZL29rocblas_internal_gemmt_kernelIlLi16ELi32ELi8ELc78ELc78ELc76ELb0ELb0EffPKfPfEviT_T9_T10_S3_lS5_S3_lS4_T11_S3_li,"axG",@progbits,_ZL29rocblas_internal_gemmt_kernelIlLi16ELi32ELi8ELc78ELc78ELc76ELb0ELb0EffPKfPfEviT_T9_T10_S3_lS5_S3_lS4_T11_S3_li,comdat
	.globl	_ZL29rocblas_internal_gemmt_kernelIlLi16ELi32ELi8ELc78ELc78ELc76ELb0ELb0EffPKfPfEviT_T9_T10_S3_lS5_S3_lS4_T11_S3_li ; -- Begin function _ZL29rocblas_internal_gemmt_kernelIlLi16ELi32ELi8ELc78ELc78ELc76ELb0ELb0EffPKfPfEviT_T9_T10_S3_lS5_S3_lS4_T11_S3_li
	.p2align	8
	.type	_ZL29rocblas_internal_gemmt_kernelIlLi16ELi32ELi8ELc78ELc78ELc76ELb0ELb0EffPKfPfEviT_T9_T10_S3_lS5_S3_lS4_T11_S3_li,@function
_ZL29rocblas_internal_gemmt_kernelIlLi16ELi32ELi8ELc78ELc78ELc76ELb0ELb0EffPKfPfEviT_T9_T10_S3_lS5_S3_lS4_T11_S3_li: ; @_ZL29rocblas_internal_gemmt_kernelIlLi16ELi32ELi8ELc78ELc78ELc76ELb0ELb0EffPKfPfEviT_T9_T10_S3_lS5_S3_lS4_T11_S3_li
; %bb.0:
	s_load_dword s18, s[0:1], 0x48
	s_load_dwordx2 s[16:17], s[0:1], 0x8
	s_load_dword s19, s[0:1], 0x10
	s_waitcnt lgkmcnt(0)
	v_cmp_neq_f32_e64 s[6:7], s18, 1.0
	s_and_b64 vcc, exec, s[6:7]
	s_cbranch_vccnz .LBB171_2
; %bb.1:
	s_cmp_lg_u64 s[16:17], 0
	s_cselect_b64 s[6:7], -1, 0
	v_cmp_neq_f32_e64 s[8:9], s19, 0
	s_and_b64 s[6:7], s[6:7], s[8:9]
.LBB171_2:
	s_andn2_b64 vcc, exec, s[6:7]
	s_cbranch_vccnz .LBB171_28
; %bb.3:
	s_load_dword s20, s[0:1], 0x0
	s_lshl_b32 s21, s2, 5
	s_lshl_b32 s5, s3, 5
	v_cmp_eq_f32_e64 s[2:3], s19, 0
	v_cmp_lt_i64_e64 s[6:7], s[16:17], 1
	v_mov_b32_e32 v3, 0
	s_or_b64 s[2:3], s[2:3], s[6:7]
	v_and_b32_e32 v7, 0x3ff, v0
	v_bfe_u32 v5, v0, 10, 10
	s_and_b64 vcc, exec, s[2:3]
	v_mov_b32_e32 v2, v3
	v_mov_b32_e32 v1, v3
	;; [unrolled: 1-line block ×3, first 2 shown]
	s_cbranch_vccnz .LBB171_12
; %bb.4:
	s_load_dwordx8 s[8:15], s[0:1], 0x18
	s_load_dwordx4 s[24:27], s[0:1], 0x38
	v_lshl_add_u32 v0, v5, 4, v7
	v_and_b32_e32 v1, 31, v0
	v_lshrrev_b32_e32 v6, 5, v0
	v_lshrrev_b32_e32 v2, 3, v0
	s_waitcnt lgkmcnt(0)
	s_mul_i32 s2, s27, s4
	s_mul_hi_u32 s3, s26, s4
	s_add_i32 s3, s3, s2
	s_mul_i32 s2, s26, s4
	s_lshl_b64 s[2:3], s[2:3], 2
	s_add_u32 s14, s14, s2
	s_addc_u32 s15, s15, s3
	s_mul_i32 s2, s13, s4
	s_mul_hi_u32 s3, s12, s4
	s_add_i32 s3, s3, s2
	s_mul_i32 s2, s12, s4
	s_lshl_b64 s[2:3], s[2:3], 2
	v_or_b32_e32 v0, s21, v1
	s_add_u32 s6, s8, s2
	v_lshlrev_b32_e32 v1, 2, v1
	v_and_b32_e32 v4, 7, v7
	s_addc_u32 s7, s9, s3
	v_lshl_or_b32 v14, v6, 7, v1
	v_ashrrev_i32_e32 v1, 31, v0
	v_cmp_gt_i32_e64 s[2:3], s20, v0
	v_lshl_add_u64 v[8:9], v[0:1], 2, s[6:7]
	v_lshlrev_b32_e32 v0, 2, v4
	v_add_u32_e32 v3, s5, v2
	v_lshl_or_b32 v0, v2, 5, v0
	v_add_u32_e32 v15, 0x400, v0
	v_ashrrev_i32_e32 v0, 31, v3
	v_mul_lo_u32 v2, s24, v0
	v_mul_lo_u32 v10, s25, v3
	v_mad_u64_u32 v[0:1], s[8:9], s24, v3, 0
	v_add3_u32 v1, v1, v2, v10
	v_lshl_add_u64 v[10:11], v[0:1], 2, s[14:15]
	v_mov_b32_e32 v0, 0x400
	v_mov_b32_e32 v13, 0
	v_cmp_gt_i32_e64 s[6:7], s20, v3
	v_lshlrev_b32_e32 v16, 2, v7
	v_lshl_add_u32 v17, v5, 5, v0
	s_mov_b64 s[8:9], 0
	v_mov_b32_e32 v0, v13
	v_mov_b32_e32 v1, v13
	;; [unrolled: 1-line block ×4, first 2 shown]
	s_branch .LBB171_6
.LBB171_5:                              ;   in Loop: Header=BB171_6 Depth=1
	s_or_b64 exec, exec, s[12:13]
	s_waitcnt vmcnt(0)
	ds_write_b32 v15, v18
	s_waitcnt lgkmcnt(0)
	s_barrier
	ds_read_b128 v[18:21], v17
	ds_read_b128 v[22:25], v17 offset:16
	ds_read2_b32 v[34:35], v16 offset1:16
	ds_read2_b32 v[36:37], v16 offset0:32 offset1:48
	ds_read2_b32 v[38:39], v16 offset0:64 offset1:80
	;; [unrolled: 1-line block ×4, first 2 shown]
	ds_read_b128 v[26:29], v17 offset:512
	ds_read_b128 v[30:33], v17 offset:528
	ds_read2_b32 v[44:45], v16 offset0:160 offset1:176
	ds_read2_b32 v[46:47], v16 offset0:192 offset1:208
	;; [unrolled: 1-line block ×3, first 2 shown]
	s_waitcnt lgkmcnt(9)
	v_pk_fma_f32 v[2:3], v[34:35], v[18:19], v[2:3] op_sel_hi:[1,0,1]
	v_mov_b32_e32 v12, v21
	s_waitcnt lgkmcnt(8)
	v_pk_fma_f32 v[2:3], v[36:37], v[18:19], v[2:3] op_sel:[0,1,0]
	s_waitcnt lgkmcnt(4)
	v_pk_fma_f32 v[0:1], v[34:35], v[26:27], v[0:1] op_sel_hi:[1,0,1]
	v_pk_fma_f32 v[2:3], v[38:39], v[20:21], v[2:3] op_sel_hi:[1,0,1]
	v_pk_fma_f32 v[0:1], v[36:37], v[26:27], v[0:1] op_sel:[0,1,0]
	v_pk_fma_f32 v[2:3], v[40:41], v[12:13], v[2:3] op_sel_hi:[1,0,1]
	v_mov_b32_e32 v12, v25
	v_pk_fma_f32 v[2:3], v[42:43], v[22:23], v[2:3] op_sel_hi:[1,0,1]
	v_pk_fma_f32 v[0:1], v[38:39], v[28:29], v[0:1] op_sel_hi:[1,0,1]
	s_waitcnt lgkmcnt(2)
	v_pk_fma_f32 v[2:3], v[44:45], v[22:23], v[2:3] op_sel:[0,1,0]
	s_add_u32 s8, s8, 8
	s_waitcnt lgkmcnt(1)
	v_pk_fma_f32 v[2:3], v[46:47], v[24:25], v[2:3] op_sel_hi:[1,0,1]
	s_addc_u32 s9, s9, 0
	s_waitcnt lgkmcnt(0)
	v_pk_fma_f32 v[2:3], v[48:49], v[12:13], v[2:3] op_sel_hi:[1,0,1]
	v_mov_b32_e32 v12, v29
	v_pk_fma_f32 v[0:1], v[40:41], v[12:13], v[0:1] op_sel_hi:[1,0,1]
	v_mov_b64_e32 v[18:19], s[8:9]
	v_pk_fma_f32 v[0:1], v[42:43], v[30:31], v[0:1] op_sel_hi:[1,0,1]
	v_mov_b32_e32 v12, v33
	v_pk_fma_f32 v[0:1], v[44:45], v[30:31], v[0:1] op_sel:[0,1,0]
	v_cmp_gt_i64_e32 vcc, s[16:17], v[18:19]
	v_pk_fma_f32 v[0:1], v[46:47], v[32:33], v[0:1] op_sel_hi:[1,0,1]
	s_nop 0
	v_pk_fma_f32 v[0:1], v[48:49], v[12:13], v[0:1] op_sel_hi:[1,0,1]
	s_barrier
	s_cbranch_vccz .LBB171_12
.LBB171_6:                              ; =>This Inner Loop Header: Depth=1
	v_mov_b32_e32 v18, 0
	s_and_saveexec_b64 s[12:13], s[2:3]
	s_cbranch_execz .LBB171_10
; %bb.7:                                ;   in Loop: Header=BB171_6 Depth=1
	v_add_u32_e32 v12, s8, v6
	v_cmp_gt_u64_e32 vcc, s[16:17], v[12:13]
	v_mov_b32_e32 v18, 0
	s_and_saveexec_b64 s[14:15], vcc
	s_cbranch_execz .LBB171_9
; %bb.8:                                ;   in Loop: Header=BB171_6 Depth=1
	v_mad_u64_u32 v[18:19], s[22:23], s10, v12, 0
	v_mov_b32_e32 v20, v19
	v_mad_u64_u32 v[20:21], s[22:23], s11, v12, v[20:21]
	v_mov_b32_e32 v19, v20
	v_lshl_add_u64 v[18:19], v[18:19], 2, v[8:9]
	global_load_dword v18, v[18:19], off
.LBB171_9:                              ;   in Loop: Header=BB171_6 Depth=1
	s_or_b64 exec, exec, s[14:15]
.LBB171_10:                             ;   in Loop: Header=BB171_6 Depth=1
	s_or_b64 exec, exec, s[12:13]
	v_add_u32_e32 v12, s8, v4
	v_cmp_gt_u64_e32 vcc, s[16:17], v[12:13]
	s_waitcnt vmcnt(0)
	ds_write_b32 v14, v18
	s_and_b64 s[14:15], vcc, s[6:7]
	v_mov_b32_e32 v18, 0
	s_and_saveexec_b64 s[12:13], s[14:15]
	s_cbranch_execz .LBB171_5
; %bb.11:                               ;   in Loop: Header=BB171_6 Depth=1
	v_lshl_add_u64 v[18:19], v[12:13], 2, v[10:11]
	global_load_dword v18, v[18:19], off
	s_branch .LBB171_5
.LBB171_12:
	s_load_dwordx2 s[2:3], s[0:1], 0x60
	s_load_dwordx4 s[8:11], s[0:1], 0x50
	v_add_u32_e32 v10, s5, v5
	v_ashrrev_i32_e32 v5, 31, v10
	v_add_u32_e32 v4, s21, v7
	s_waitcnt lgkmcnt(0)
	s_mul_i32 s1, s3, s4
	s_mul_hi_u32 s3, s2, s4
	s_mul_i32 s0, s2, s4
	s_add_i32 s1, s3, s1
	s_lshl_b64 s[0:1], s[0:1], 2
	s_add_u32 s6, s8, s0
	s_addc_u32 s7, s9, s1
	v_mul_lo_u32 v5, s10, v5
	v_mul_lo_u32 v8, s11, v10
	v_mad_u64_u32 v[6:7], s[0:1], s10, v10, 0
	v_add3_u32 v7, v7, v5, v8
	v_cmp_neq_f32_e64 s[0:1], s18, 0
	v_lshl_add_u64 v[8:9], v[6:7], 2, s[6:7]
	v_cmp_le_i32_e32 vcc, v10, v4
	v_cmp_gt_i32_e64 s[2:3], s20, v4
	v_cndmask_b32_e64 v6, 0, 1, s[0:1]
	s_and_b64 s[8:9], vcc, s[2:3]
	v_ashrrev_i32_e32 v5, 31, v4
	v_cmp_ne_u32_e64 s[0:1], 1, v6
	s_and_saveexec_b64 s[4:5], s[8:9]
	s_cbranch_execz .LBB171_16
; %bb.13:
	v_mul_f32_e32 v2, s19, v2
	s_and_b64 vcc, exec, s[0:1]
	v_lshl_add_u64 v[6:7], v[4:5], 2, v[8:9]
	s_cbranch_vccnz .LBB171_15
; %bb.14:
	global_load_dword v11, v[6:7], off
	s_waitcnt vmcnt(0)
	v_fmac_f32_e32 v2, s18, v11
.LBB171_15:
	global_store_dword v[6:7], v2, off
.LBB171_16:
	s_or_b64 exec, exec, s[4:5]
	v_add_u32_e32 v6, 16, v4
	v_cmp_le_i32_e32 vcc, v10, v6
	v_cmp_gt_i32_e64 s[4:5], s20, v6
	s_and_b64 s[12:13], vcc, s[4:5]
	v_ashrrev_i32_e32 v7, 31, v6
	s_and_saveexec_b64 s[8:9], s[12:13]
	s_cbranch_execz .LBB171_20
; %bb.17:
	v_mul_f32_e32 v11, s19, v3
	s_and_b64 vcc, exec, s[0:1]
	v_lshl_add_u64 v[2:3], v[6:7], 2, v[8:9]
	s_cbranch_vccnz .LBB171_19
; %bb.18:
	global_load_dword v8, v[2:3], off
	s_waitcnt vmcnt(0)
	v_fmac_f32_e32 v11, s18, v8
.LBB171_19:
	global_store_dword v[2:3], v11, off
.LBB171_20:
	s_or_b64 exec, exec, s[8:9]
	v_add_u32_e32 v8, 16, v10
	v_ashrrev_i32_e32 v2, 31, v8
	v_mul_lo_u32 v9, s10, v2
	v_mul_lo_u32 v10, s11, v8
	v_mad_u64_u32 v[2:3], s[8:9], s10, v8, 0
	v_add3_u32 v3, v3, v9, v10
	v_cmp_le_i32_e32 vcc, v8, v4
	v_lshl_add_u64 v[2:3], v[2:3], 2, s[6:7]
	s_and_b64 s[6:7], vcc, s[2:3]
	s_and_saveexec_b64 s[2:3], s[6:7]
	s_cbranch_execz .LBB171_24
; %bb.21:
	v_mul_f32_e32 v0, s19, v0
	s_and_b64 vcc, exec, s[0:1]
	v_lshl_add_u64 v[4:5], v[4:5], 2, v[2:3]
	s_cbranch_vccnz .LBB171_23
; %bb.22:
	global_load_dword v9, v[4:5], off
	s_waitcnt vmcnt(0)
	v_fmac_f32_e32 v0, s18, v9
.LBB171_23:
	global_store_dword v[4:5], v0, off
.LBB171_24:
	s_or_b64 exec, exec, s[2:3]
	v_cmp_le_i32_e32 vcc, v8, v6
	s_and_b64 s[2:3], vcc, s[4:5]
	s_and_saveexec_b64 s[4:5], s[2:3]
	s_cbranch_execz .LBB171_28
; %bb.25:
	v_mul_f32_e32 v4, s19, v1
	s_and_b64 vcc, exec, s[0:1]
	v_lshl_add_u64 v[0:1], v[6:7], 2, v[2:3]
	s_cbranch_vccnz .LBB171_27
; %bb.26:
	global_load_dword v2, v[0:1], off
	s_waitcnt vmcnt(0)
	v_fmac_f32_e32 v4, s18, v2
.LBB171_27:
	global_store_dword v[0:1], v4, off
.LBB171_28:
	s_endpgm
	.section	.rodata,"a",@progbits
	.p2align	6, 0x0
	.amdhsa_kernel _ZL29rocblas_internal_gemmt_kernelIlLi16ELi32ELi8ELc78ELc78ELc76ELb0ELb0EffPKfPfEviT_T9_T10_S3_lS5_S3_lS4_T11_S3_li
		.amdhsa_group_segment_fixed_size 2048
		.amdhsa_private_segment_fixed_size 0
		.amdhsa_kernarg_size 108
		.amdhsa_user_sgpr_count 2
		.amdhsa_user_sgpr_dispatch_ptr 0
		.amdhsa_user_sgpr_queue_ptr 0
		.amdhsa_user_sgpr_kernarg_segment_ptr 1
		.amdhsa_user_sgpr_dispatch_id 0
		.amdhsa_user_sgpr_kernarg_preload_length 0
		.amdhsa_user_sgpr_kernarg_preload_offset 0
		.amdhsa_user_sgpr_private_segment_size 0
		.amdhsa_uses_dynamic_stack 0
		.amdhsa_enable_private_segment 0
		.amdhsa_system_sgpr_workgroup_id_x 1
		.amdhsa_system_sgpr_workgroup_id_y 1
		.amdhsa_system_sgpr_workgroup_id_z 1
		.amdhsa_system_sgpr_workgroup_info 0
		.amdhsa_system_vgpr_workitem_id 1
		.amdhsa_next_free_vgpr 50
		.amdhsa_next_free_sgpr 28
		.amdhsa_accum_offset 52
		.amdhsa_reserve_vcc 1
		.amdhsa_float_round_mode_32 0
		.amdhsa_float_round_mode_16_64 0
		.amdhsa_float_denorm_mode_32 3
		.amdhsa_float_denorm_mode_16_64 3
		.amdhsa_dx10_clamp 1
		.amdhsa_ieee_mode 1
		.amdhsa_fp16_overflow 0
		.amdhsa_tg_split 0
		.amdhsa_exception_fp_ieee_invalid_op 0
		.amdhsa_exception_fp_denorm_src 0
		.amdhsa_exception_fp_ieee_div_zero 0
		.amdhsa_exception_fp_ieee_overflow 0
		.amdhsa_exception_fp_ieee_underflow 0
		.amdhsa_exception_fp_ieee_inexact 0
		.amdhsa_exception_int_div_zero 0
	.end_amdhsa_kernel
	.section	.text._ZL29rocblas_internal_gemmt_kernelIlLi16ELi32ELi8ELc78ELc78ELc76ELb0ELb0EffPKfPfEviT_T9_T10_S3_lS5_S3_lS4_T11_S3_li,"axG",@progbits,_ZL29rocblas_internal_gemmt_kernelIlLi16ELi32ELi8ELc78ELc78ELc76ELb0ELb0EffPKfPfEviT_T9_T10_S3_lS5_S3_lS4_T11_S3_li,comdat
.Lfunc_end171:
	.size	_ZL29rocblas_internal_gemmt_kernelIlLi16ELi32ELi8ELc78ELc78ELc76ELb0ELb0EffPKfPfEviT_T9_T10_S3_lS5_S3_lS4_T11_S3_li, .Lfunc_end171-_ZL29rocblas_internal_gemmt_kernelIlLi16ELi32ELi8ELc78ELc78ELc76ELb0ELb0EffPKfPfEviT_T9_T10_S3_lS5_S3_lS4_T11_S3_li
                                        ; -- End function
	.set _ZL29rocblas_internal_gemmt_kernelIlLi16ELi32ELi8ELc78ELc78ELc76ELb0ELb0EffPKfPfEviT_T9_T10_S3_lS5_S3_lS4_T11_S3_li.num_vgpr, 50
	.set _ZL29rocblas_internal_gemmt_kernelIlLi16ELi32ELi8ELc78ELc78ELc76ELb0ELb0EffPKfPfEviT_T9_T10_S3_lS5_S3_lS4_T11_S3_li.num_agpr, 0
	.set _ZL29rocblas_internal_gemmt_kernelIlLi16ELi32ELi8ELc78ELc78ELc76ELb0ELb0EffPKfPfEviT_T9_T10_S3_lS5_S3_lS4_T11_S3_li.numbered_sgpr, 28
	.set _ZL29rocblas_internal_gemmt_kernelIlLi16ELi32ELi8ELc78ELc78ELc76ELb0ELb0EffPKfPfEviT_T9_T10_S3_lS5_S3_lS4_T11_S3_li.num_named_barrier, 0
	.set _ZL29rocblas_internal_gemmt_kernelIlLi16ELi32ELi8ELc78ELc78ELc76ELb0ELb0EffPKfPfEviT_T9_T10_S3_lS5_S3_lS4_T11_S3_li.private_seg_size, 0
	.set _ZL29rocblas_internal_gemmt_kernelIlLi16ELi32ELi8ELc78ELc78ELc76ELb0ELb0EffPKfPfEviT_T9_T10_S3_lS5_S3_lS4_T11_S3_li.uses_vcc, 1
	.set _ZL29rocblas_internal_gemmt_kernelIlLi16ELi32ELi8ELc78ELc78ELc76ELb0ELb0EffPKfPfEviT_T9_T10_S3_lS5_S3_lS4_T11_S3_li.uses_flat_scratch, 0
	.set _ZL29rocblas_internal_gemmt_kernelIlLi16ELi32ELi8ELc78ELc78ELc76ELb0ELb0EffPKfPfEviT_T9_T10_S3_lS5_S3_lS4_T11_S3_li.has_dyn_sized_stack, 0
	.set _ZL29rocblas_internal_gemmt_kernelIlLi16ELi32ELi8ELc78ELc78ELc76ELb0ELb0EffPKfPfEviT_T9_T10_S3_lS5_S3_lS4_T11_S3_li.has_recursion, 0
	.set _ZL29rocblas_internal_gemmt_kernelIlLi16ELi32ELi8ELc78ELc78ELc76ELb0ELb0EffPKfPfEviT_T9_T10_S3_lS5_S3_lS4_T11_S3_li.has_indirect_call, 0
	.section	.AMDGPU.csdata,"",@progbits
; Kernel info:
; codeLenInByte = 1316
; TotalNumSgprs: 34
; NumVgprs: 50
; NumAgprs: 0
; TotalNumVgprs: 50
; ScratchSize: 0
; MemoryBound: 0
; FloatMode: 240
; IeeeMode: 1
; LDSByteSize: 2048 bytes/workgroup (compile time only)
; SGPRBlocks: 4
; VGPRBlocks: 6
; NumSGPRsForWavesPerEU: 34
; NumVGPRsForWavesPerEU: 50
; AccumOffset: 52
; Occupancy: 8
; WaveLimiterHint : 0
; COMPUTE_PGM_RSRC2:SCRATCH_EN: 0
; COMPUTE_PGM_RSRC2:USER_SGPR: 2
; COMPUTE_PGM_RSRC2:TRAP_HANDLER: 0
; COMPUTE_PGM_RSRC2:TGID_X_EN: 1
; COMPUTE_PGM_RSRC2:TGID_Y_EN: 1
; COMPUTE_PGM_RSRC2:TGID_Z_EN: 1
; COMPUTE_PGM_RSRC2:TIDIG_COMP_CNT: 1
; COMPUTE_PGM_RSRC3_GFX90A:ACCUM_OFFSET: 12
; COMPUTE_PGM_RSRC3_GFX90A:TG_SPLIT: 0
	.section	.text._ZL29rocblas_internal_gemmt_kernelIlLi16ELi32ELi8ELc78ELc84ELc76ELb0ELb0EffPKfPfEviT_T9_T10_S3_lS5_S3_lS4_T11_S3_li,"axG",@progbits,_ZL29rocblas_internal_gemmt_kernelIlLi16ELi32ELi8ELc78ELc84ELc76ELb0ELb0EffPKfPfEviT_T9_T10_S3_lS5_S3_lS4_T11_S3_li,comdat
	.globl	_ZL29rocblas_internal_gemmt_kernelIlLi16ELi32ELi8ELc78ELc84ELc76ELb0ELb0EffPKfPfEviT_T9_T10_S3_lS5_S3_lS4_T11_S3_li ; -- Begin function _ZL29rocblas_internal_gemmt_kernelIlLi16ELi32ELi8ELc78ELc84ELc76ELb0ELb0EffPKfPfEviT_T9_T10_S3_lS5_S3_lS4_T11_S3_li
	.p2align	8
	.type	_ZL29rocblas_internal_gemmt_kernelIlLi16ELi32ELi8ELc78ELc84ELc76ELb0ELb0EffPKfPfEviT_T9_T10_S3_lS5_S3_lS4_T11_S3_li,@function
_ZL29rocblas_internal_gemmt_kernelIlLi16ELi32ELi8ELc78ELc84ELc76ELb0ELb0EffPKfPfEviT_T9_T10_S3_lS5_S3_lS4_T11_S3_li: ; @_ZL29rocblas_internal_gemmt_kernelIlLi16ELi32ELi8ELc78ELc84ELc76ELb0ELb0EffPKfPfEviT_T9_T10_S3_lS5_S3_lS4_T11_S3_li
; %bb.0:
	s_load_dword s22, s[0:1], 0x48
	s_load_dwordx2 s[20:21], s[0:1], 0x8
	s_load_dword s23, s[0:1], 0x10
	s_waitcnt lgkmcnt(0)
	v_cmp_neq_f32_e64 s[6:7], s22, 1.0
	s_and_b64 vcc, exec, s[6:7]
	s_cbranch_vccnz .LBB172_2
; %bb.1:
	s_cmp_lg_u64 s[20:21], 0
	s_cselect_b64 s[6:7], -1, 0
	v_cmp_neq_f32_e64 s[8:9], s23, 0
	s_and_b64 s[6:7], s[6:7], s[8:9]
.LBB172_2:
	s_andn2_b64 vcc, exec, s[6:7]
	s_cbranch_vccnz .LBB172_28
; %bb.3:
	s_load_dword s24, s[0:1], 0x0
	s_lshl_b32 s25, s2, 5
	s_lshl_b32 s5, s3, 5
	v_cmp_eq_f32_e64 s[2:3], s23, 0
	v_cmp_lt_i64_e64 s[6:7], s[20:21], 1
	v_mov_b32_e32 v3, 0
	s_or_b64 s[2:3], s[2:3], s[6:7]
	v_and_b32_e32 v7, 0x3ff, v0
	v_bfe_u32 v5, v0, 10, 10
	s_and_b64 vcc, exec, s[2:3]
	v_mov_b32_e32 v2, v3
	v_mov_b32_e32 v1, v3
	;; [unrolled: 1-line block ×3, first 2 shown]
	s_cbranch_vccnz .LBB172_12
; %bb.4:
	s_load_dwordx8 s[8:15], s[0:1], 0x18
	s_load_dwordx4 s[16:19], s[0:1], 0x38
	v_lshl_add_u32 v1, v5, 4, v7
	v_lshrrev_b32_e32 v6, 5, v1
	v_lshrrev_b32_e32 v10, 3, v1
	v_and_b32_e32 v1, 31, v1
	s_waitcnt lgkmcnt(0)
	s_mul_i32 s2, s19, s4
	s_mul_hi_u32 s3, s18, s4
	s_add_i32 s3, s3, s2
	s_mul_i32 s2, s18, s4
	s_lshl_b64 s[2:3], s[2:3], 2
	s_add_u32 s14, s14, s2
	s_addc_u32 s15, s15, s3
	s_mul_i32 s2, s13, s4
	s_mul_hi_u32 s3, s12, s4
	v_and_b32_e32 v4, 7, v7
	v_or_b32_e32 v2, s25, v1
	s_add_i32 s3, s3, s2
	s_mul_i32 s2, s12, s4
	v_lshlrev_b32_e32 v1, 2, v1
	s_lshl_b64 s[2:3], s[2:3], 2
	v_lshl_or_b32 v14, v6, 7, v1
	v_lshlrev_b32_e32 v1, 2, v4
	v_add_u32_e32 v0, s5, v10
	s_add_u32 s6, s8, s2
	v_lshl_or_b32 v1, v10, 5, v1
	s_addc_u32 s7, s9, s3
	v_ashrrev_i32_e32 v3, 31, v2
	v_add_u32_e32 v15, 0x400, v1
	v_ashrrev_i32_e32 v1, 31, v0
	v_lshl_add_u64 v[8:9], v[2:3], 2, s[6:7]
	v_cmp_gt_i32_e64 s[6:7], s24, v0
	v_lshl_add_u64 v[10:11], v[0:1], 2, s[14:15]
	v_mov_b32_e32 v0, 0x400
	v_mov_b32_e32 v13, 0
	v_cmp_gt_i32_e64 s[2:3], s24, v2
	v_lshlrev_b32_e32 v16, 2, v7
	v_lshl_add_u32 v17, v5, 5, v0
	s_mov_b64 s[8:9], 0
	v_mov_b32_e32 v0, v13
	v_mov_b32_e32 v1, v13
	;; [unrolled: 1-line block ×4, first 2 shown]
	s_branch .LBB172_6
.LBB172_5:                              ;   in Loop: Header=BB172_6 Depth=1
	s_or_b64 exec, exec, s[12:13]
	s_waitcnt vmcnt(0)
	ds_write_b32 v15, v18
	s_waitcnt lgkmcnt(0)
	s_barrier
	ds_read_b128 v[18:21], v17
	ds_read_b128 v[22:25], v17 offset:16
	ds_read2_b32 v[34:35], v16 offset1:16
	ds_read2_b32 v[36:37], v16 offset0:32 offset1:48
	ds_read2_b32 v[38:39], v16 offset0:64 offset1:80
	;; [unrolled: 1-line block ×4, first 2 shown]
	ds_read_b128 v[26:29], v17 offset:512
	ds_read_b128 v[30:33], v17 offset:528
	ds_read2_b32 v[44:45], v16 offset0:160 offset1:176
	ds_read2_b32 v[46:47], v16 offset0:192 offset1:208
	;; [unrolled: 1-line block ×3, first 2 shown]
	s_waitcnt lgkmcnt(9)
	v_pk_fma_f32 v[2:3], v[34:35], v[18:19], v[2:3] op_sel_hi:[1,0,1]
	v_mov_b32_e32 v12, v21
	s_waitcnt lgkmcnt(8)
	v_pk_fma_f32 v[2:3], v[36:37], v[18:19], v[2:3] op_sel:[0,1,0]
	s_waitcnt lgkmcnt(4)
	v_pk_fma_f32 v[0:1], v[34:35], v[26:27], v[0:1] op_sel_hi:[1,0,1]
	v_pk_fma_f32 v[2:3], v[38:39], v[20:21], v[2:3] op_sel_hi:[1,0,1]
	v_pk_fma_f32 v[0:1], v[36:37], v[26:27], v[0:1] op_sel:[0,1,0]
	v_pk_fma_f32 v[2:3], v[40:41], v[12:13], v[2:3] op_sel_hi:[1,0,1]
	v_mov_b32_e32 v12, v25
	v_pk_fma_f32 v[2:3], v[42:43], v[22:23], v[2:3] op_sel_hi:[1,0,1]
	v_pk_fma_f32 v[0:1], v[38:39], v[28:29], v[0:1] op_sel_hi:[1,0,1]
	s_waitcnt lgkmcnt(2)
	v_pk_fma_f32 v[2:3], v[44:45], v[22:23], v[2:3] op_sel:[0,1,0]
	s_add_u32 s8, s8, 8
	s_waitcnt lgkmcnt(1)
	v_pk_fma_f32 v[2:3], v[46:47], v[24:25], v[2:3] op_sel_hi:[1,0,1]
	s_addc_u32 s9, s9, 0
	s_waitcnt lgkmcnt(0)
	v_pk_fma_f32 v[2:3], v[48:49], v[12:13], v[2:3] op_sel_hi:[1,0,1]
	v_mov_b32_e32 v12, v29
	v_pk_fma_f32 v[0:1], v[40:41], v[12:13], v[0:1] op_sel_hi:[1,0,1]
	v_mov_b64_e32 v[18:19], s[8:9]
	v_pk_fma_f32 v[0:1], v[42:43], v[30:31], v[0:1] op_sel_hi:[1,0,1]
	v_mov_b32_e32 v12, v33
	v_pk_fma_f32 v[0:1], v[44:45], v[30:31], v[0:1] op_sel:[0,1,0]
	v_cmp_gt_i64_e32 vcc, s[20:21], v[18:19]
	v_pk_fma_f32 v[0:1], v[46:47], v[32:33], v[0:1] op_sel_hi:[1,0,1]
	s_nop 0
	v_pk_fma_f32 v[0:1], v[48:49], v[12:13], v[0:1] op_sel_hi:[1,0,1]
	s_barrier
	s_cbranch_vccz .LBB172_12
.LBB172_6:                              ; =>This Inner Loop Header: Depth=1
	v_mov_b32_e32 v18, 0
	s_and_saveexec_b64 s[12:13], s[2:3]
	s_cbranch_execz .LBB172_10
; %bb.7:                                ;   in Loop: Header=BB172_6 Depth=1
	v_add_u32_e32 v12, s8, v6
	v_cmp_gt_u64_e32 vcc, s[20:21], v[12:13]
	v_mov_b32_e32 v18, 0
	s_and_saveexec_b64 s[14:15], vcc
	s_cbranch_execz .LBB172_9
; %bb.8:                                ;   in Loop: Header=BB172_6 Depth=1
	v_mad_u64_u32 v[18:19], s[18:19], s10, v12, 0
	v_mov_b32_e32 v20, v19
	v_mad_u64_u32 v[20:21], s[18:19], s11, v12, v[20:21]
	v_mov_b32_e32 v19, v20
	v_lshl_add_u64 v[18:19], v[18:19], 2, v[8:9]
	global_load_dword v18, v[18:19], off
.LBB172_9:                              ;   in Loop: Header=BB172_6 Depth=1
	s_or_b64 exec, exec, s[14:15]
.LBB172_10:                             ;   in Loop: Header=BB172_6 Depth=1
	s_or_b64 exec, exec, s[12:13]
	v_add_u32_e32 v12, s8, v4
	v_cmp_gt_u64_e32 vcc, s[20:21], v[12:13]
	s_waitcnt vmcnt(0)
	ds_write_b32 v14, v18
	s_and_b64 s[14:15], vcc, s[6:7]
	v_mov_b32_e32 v18, 0
	s_and_saveexec_b64 s[12:13], s[14:15]
	s_cbranch_execz .LBB172_5
; %bb.11:                               ;   in Loop: Header=BB172_6 Depth=1
	v_mad_u64_u32 v[18:19], s[14:15], s16, v12, 0
	v_mov_b32_e32 v20, v19
	v_mad_u64_u32 v[20:21], s[14:15], s17, v12, v[20:21]
	v_mov_b32_e32 v19, v20
	v_lshl_add_u64 v[18:19], v[18:19], 2, v[10:11]
	global_load_dword v18, v[18:19], off
	s_branch .LBB172_5
.LBB172_12:
	s_load_dwordx2 s[2:3], s[0:1], 0x60
	s_load_dwordx4 s[8:11], s[0:1], 0x50
	v_add_u32_e32 v10, s5, v5
	v_ashrrev_i32_e32 v5, 31, v10
	v_add_u32_e32 v4, s25, v7
	s_waitcnt lgkmcnt(0)
	s_mul_i32 s1, s3, s4
	s_mul_hi_u32 s3, s2, s4
	s_mul_i32 s0, s2, s4
	s_add_i32 s1, s3, s1
	s_lshl_b64 s[0:1], s[0:1], 2
	s_add_u32 s6, s8, s0
	s_addc_u32 s7, s9, s1
	v_mul_lo_u32 v5, s10, v5
	v_mul_lo_u32 v8, s11, v10
	v_mad_u64_u32 v[6:7], s[0:1], s10, v10, 0
	v_add3_u32 v7, v7, v5, v8
	v_cmp_neq_f32_e64 s[0:1], s22, 0
	v_lshl_add_u64 v[8:9], v[6:7], 2, s[6:7]
	v_cmp_le_i32_e32 vcc, v10, v4
	v_cmp_gt_i32_e64 s[2:3], s24, v4
	v_cndmask_b32_e64 v6, 0, 1, s[0:1]
	s_and_b64 s[8:9], vcc, s[2:3]
	v_ashrrev_i32_e32 v5, 31, v4
	v_cmp_ne_u32_e64 s[0:1], 1, v6
	s_and_saveexec_b64 s[4:5], s[8:9]
	s_cbranch_execz .LBB172_16
; %bb.13:
	v_mul_f32_e32 v2, s23, v2
	s_and_b64 vcc, exec, s[0:1]
	v_lshl_add_u64 v[6:7], v[4:5], 2, v[8:9]
	s_cbranch_vccnz .LBB172_15
; %bb.14:
	global_load_dword v11, v[6:7], off
	s_waitcnt vmcnt(0)
	v_fmac_f32_e32 v2, s22, v11
.LBB172_15:
	global_store_dword v[6:7], v2, off
.LBB172_16:
	s_or_b64 exec, exec, s[4:5]
	v_add_u32_e32 v6, 16, v4
	v_cmp_le_i32_e32 vcc, v10, v6
	v_cmp_gt_i32_e64 s[4:5], s24, v6
	s_and_b64 s[12:13], vcc, s[4:5]
	v_ashrrev_i32_e32 v7, 31, v6
	s_and_saveexec_b64 s[8:9], s[12:13]
	s_cbranch_execz .LBB172_20
; %bb.17:
	v_mul_f32_e32 v11, s23, v3
	s_and_b64 vcc, exec, s[0:1]
	v_lshl_add_u64 v[2:3], v[6:7], 2, v[8:9]
	s_cbranch_vccnz .LBB172_19
; %bb.18:
	global_load_dword v8, v[2:3], off
	s_waitcnt vmcnt(0)
	v_fmac_f32_e32 v11, s22, v8
.LBB172_19:
	global_store_dword v[2:3], v11, off
.LBB172_20:
	s_or_b64 exec, exec, s[8:9]
	v_add_u32_e32 v8, 16, v10
	v_ashrrev_i32_e32 v2, 31, v8
	v_mul_lo_u32 v9, s10, v2
	v_mul_lo_u32 v10, s11, v8
	v_mad_u64_u32 v[2:3], s[8:9], s10, v8, 0
	v_add3_u32 v3, v3, v9, v10
	v_cmp_le_i32_e32 vcc, v8, v4
	v_lshl_add_u64 v[2:3], v[2:3], 2, s[6:7]
	s_and_b64 s[6:7], vcc, s[2:3]
	s_and_saveexec_b64 s[2:3], s[6:7]
	s_cbranch_execz .LBB172_24
; %bb.21:
	v_mul_f32_e32 v0, s23, v0
	s_and_b64 vcc, exec, s[0:1]
	v_lshl_add_u64 v[4:5], v[4:5], 2, v[2:3]
	s_cbranch_vccnz .LBB172_23
; %bb.22:
	global_load_dword v9, v[4:5], off
	s_waitcnt vmcnt(0)
	v_fmac_f32_e32 v0, s22, v9
.LBB172_23:
	global_store_dword v[4:5], v0, off
.LBB172_24:
	s_or_b64 exec, exec, s[2:3]
	v_cmp_le_i32_e32 vcc, v8, v6
	s_and_b64 s[2:3], vcc, s[4:5]
	s_and_saveexec_b64 s[4:5], s[2:3]
	s_cbranch_execz .LBB172_28
; %bb.25:
	v_mul_f32_e32 v4, s23, v1
	s_and_b64 vcc, exec, s[0:1]
	v_lshl_add_u64 v[0:1], v[6:7], 2, v[2:3]
	s_cbranch_vccnz .LBB172_27
; %bb.26:
	global_load_dword v2, v[0:1], off
	s_waitcnt vmcnt(0)
	v_fmac_f32_e32 v4, s22, v2
.LBB172_27:
	global_store_dword v[0:1], v4, off
.LBB172_28:
	s_endpgm
	.section	.rodata,"a",@progbits
	.p2align	6, 0x0
	.amdhsa_kernel _ZL29rocblas_internal_gemmt_kernelIlLi16ELi32ELi8ELc78ELc84ELc76ELb0ELb0EffPKfPfEviT_T9_T10_S3_lS5_S3_lS4_T11_S3_li
		.amdhsa_group_segment_fixed_size 2048
		.amdhsa_private_segment_fixed_size 0
		.amdhsa_kernarg_size 108
		.amdhsa_user_sgpr_count 2
		.amdhsa_user_sgpr_dispatch_ptr 0
		.amdhsa_user_sgpr_queue_ptr 0
		.amdhsa_user_sgpr_kernarg_segment_ptr 1
		.amdhsa_user_sgpr_dispatch_id 0
		.amdhsa_user_sgpr_kernarg_preload_length 0
		.amdhsa_user_sgpr_kernarg_preload_offset 0
		.amdhsa_user_sgpr_private_segment_size 0
		.amdhsa_uses_dynamic_stack 0
		.amdhsa_enable_private_segment 0
		.amdhsa_system_sgpr_workgroup_id_x 1
		.amdhsa_system_sgpr_workgroup_id_y 1
		.amdhsa_system_sgpr_workgroup_id_z 1
		.amdhsa_system_sgpr_workgroup_info 0
		.amdhsa_system_vgpr_workitem_id 1
		.amdhsa_next_free_vgpr 50
		.amdhsa_next_free_sgpr 26
		.amdhsa_accum_offset 52
		.amdhsa_reserve_vcc 1
		.amdhsa_float_round_mode_32 0
		.amdhsa_float_round_mode_16_64 0
		.amdhsa_float_denorm_mode_32 3
		.amdhsa_float_denorm_mode_16_64 3
		.amdhsa_dx10_clamp 1
		.amdhsa_ieee_mode 1
		.amdhsa_fp16_overflow 0
		.amdhsa_tg_split 0
		.amdhsa_exception_fp_ieee_invalid_op 0
		.amdhsa_exception_fp_denorm_src 0
		.amdhsa_exception_fp_ieee_div_zero 0
		.amdhsa_exception_fp_ieee_overflow 0
		.amdhsa_exception_fp_ieee_underflow 0
		.amdhsa_exception_fp_ieee_inexact 0
		.amdhsa_exception_int_div_zero 0
	.end_amdhsa_kernel
	.section	.text._ZL29rocblas_internal_gemmt_kernelIlLi16ELi32ELi8ELc78ELc84ELc76ELb0ELb0EffPKfPfEviT_T9_T10_S3_lS5_S3_lS4_T11_S3_li,"axG",@progbits,_ZL29rocblas_internal_gemmt_kernelIlLi16ELi32ELi8ELc78ELc84ELc76ELb0ELb0EffPKfPfEviT_T9_T10_S3_lS5_S3_lS4_T11_S3_li,comdat
.Lfunc_end172:
	.size	_ZL29rocblas_internal_gemmt_kernelIlLi16ELi32ELi8ELc78ELc84ELc76ELb0ELb0EffPKfPfEviT_T9_T10_S3_lS5_S3_lS4_T11_S3_li, .Lfunc_end172-_ZL29rocblas_internal_gemmt_kernelIlLi16ELi32ELi8ELc78ELc84ELc76ELb0ELb0EffPKfPfEviT_T9_T10_S3_lS5_S3_lS4_T11_S3_li
                                        ; -- End function
	.set _ZL29rocblas_internal_gemmt_kernelIlLi16ELi32ELi8ELc78ELc84ELc76ELb0ELb0EffPKfPfEviT_T9_T10_S3_lS5_S3_lS4_T11_S3_li.num_vgpr, 50
	.set _ZL29rocblas_internal_gemmt_kernelIlLi16ELi32ELi8ELc78ELc84ELc76ELb0ELb0EffPKfPfEviT_T9_T10_S3_lS5_S3_lS4_T11_S3_li.num_agpr, 0
	.set _ZL29rocblas_internal_gemmt_kernelIlLi16ELi32ELi8ELc78ELc84ELc76ELb0ELb0EffPKfPfEviT_T9_T10_S3_lS5_S3_lS4_T11_S3_li.numbered_sgpr, 26
	.set _ZL29rocblas_internal_gemmt_kernelIlLi16ELi32ELi8ELc78ELc84ELc76ELb0ELb0EffPKfPfEviT_T9_T10_S3_lS5_S3_lS4_T11_S3_li.num_named_barrier, 0
	.set _ZL29rocblas_internal_gemmt_kernelIlLi16ELi32ELi8ELc78ELc84ELc76ELb0ELb0EffPKfPfEviT_T9_T10_S3_lS5_S3_lS4_T11_S3_li.private_seg_size, 0
	.set _ZL29rocblas_internal_gemmt_kernelIlLi16ELi32ELi8ELc78ELc84ELc76ELb0ELb0EffPKfPfEviT_T9_T10_S3_lS5_S3_lS4_T11_S3_li.uses_vcc, 1
	.set _ZL29rocblas_internal_gemmt_kernelIlLi16ELi32ELi8ELc78ELc84ELc76ELb0ELb0EffPKfPfEviT_T9_T10_S3_lS5_S3_lS4_T11_S3_li.uses_flat_scratch, 0
	.set _ZL29rocblas_internal_gemmt_kernelIlLi16ELi32ELi8ELc78ELc84ELc76ELb0ELb0EffPKfPfEviT_T9_T10_S3_lS5_S3_lS4_T11_S3_li.has_dyn_sized_stack, 0
	.set _ZL29rocblas_internal_gemmt_kernelIlLi16ELi32ELi8ELc78ELc84ELc76ELb0ELb0EffPKfPfEviT_T9_T10_S3_lS5_S3_lS4_T11_S3_li.has_recursion, 0
	.set _ZL29rocblas_internal_gemmt_kernelIlLi16ELi32ELi8ELc78ELc84ELc76ELb0ELb0EffPKfPfEviT_T9_T10_S3_lS5_S3_lS4_T11_S3_li.has_indirect_call, 0
	.section	.AMDGPU.csdata,"",@progbits
; Kernel info:
; codeLenInByte = 1308
; TotalNumSgprs: 32
; NumVgprs: 50
; NumAgprs: 0
; TotalNumVgprs: 50
; ScratchSize: 0
; MemoryBound: 0
; FloatMode: 240
; IeeeMode: 1
; LDSByteSize: 2048 bytes/workgroup (compile time only)
; SGPRBlocks: 3
; VGPRBlocks: 6
; NumSGPRsForWavesPerEU: 32
; NumVGPRsForWavesPerEU: 50
; AccumOffset: 52
; Occupancy: 8
; WaveLimiterHint : 0
; COMPUTE_PGM_RSRC2:SCRATCH_EN: 0
; COMPUTE_PGM_RSRC2:USER_SGPR: 2
; COMPUTE_PGM_RSRC2:TRAP_HANDLER: 0
; COMPUTE_PGM_RSRC2:TGID_X_EN: 1
; COMPUTE_PGM_RSRC2:TGID_Y_EN: 1
; COMPUTE_PGM_RSRC2:TGID_Z_EN: 1
; COMPUTE_PGM_RSRC2:TIDIG_COMP_CNT: 1
; COMPUTE_PGM_RSRC3_GFX90A:ACCUM_OFFSET: 12
; COMPUTE_PGM_RSRC3_GFX90A:TG_SPLIT: 0
	.section	.text._ZL29rocblas_internal_gemmt_kernelIlLi16ELi32ELi8ELc78ELc67ELc76ELb0ELb0EffPKfPfEviT_T9_T10_S3_lS5_S3_lS4_T11_S3_li,"axG",@progbits,_ZL29rocblas_internal_gemmt_kernelIlLi16ELi32ELi8ELc78ELc67ELc76ELb0ELb0EffPKfPfEviT_T9_T10_S3_lS5_S3_lS4_T11_S3_li,comdat
	.globl	_ZL29rocblas_internal_gemmt_kernelIlLi16ELi32ELi8ELc78ELc67ELc76ELb0ELb0EffPKfPfEviT_T9_T10_S3_lS5_S3_lS4_T11_S3_li ; -- Begin function _ZL29rocblas_internal_gemmt_kernelIlLi16ELi32ELi8ELc78ELc67ELc76ELb0ELb0EffPKfPfEviT_T9_T10_S3_lS5_S3_lS4_T11_S3_li
	.p2align	8
	.type	_ZL29rocblas_internal_gemmt_kernelIlLi16ELi32ELi8ELc78ELc67ELc76ELb0ELb0EffPKfPfEviT_T9_T10_S3_lS5_S3_lS4_T11_S3_li,@function
_ZL29rocblas_internal_gemmt_kernelIlLi16ELi32ELi8ELc78ELc67ELc76ELb0ELb0EffPKfPfEviT_T9_T10_S3_lS5_S3_lS4_T11_S3_li: ; @_ZL29rocblas_internal_gemmt_kernelIlLi16ELi32ELi8ELc78ELc67ELc76ELb0ELb0EffPKfPfEviT_T9_T10_S3_lS5_S3_lS4_T11_S3_li
; %bb.0:
	s_load_dword s22, s[0:1], 0x48
	s_load_dwordx2 s[20:21], s[0:1], 0x8
	s_load_dword s23, s[0:1], 0x10
	s_waitcnt lgkmcnt(0)
	v_cmp_neq_f32_e64 s[6:7], s22, 1.0
	s_and_b64 vcc, exec, s[6:7]
	s_cbranch_vccnz .LBB173_2
; %bb.1:
	s_cmp_lg_u64 s[20:21], 0
	s_cselect_b64 s[6:7], -1, 0
	v_cmp_neq_f32_e64 s[8:9], s23, 0
	s_and_b64 s[6:7], s[6:7], s[8:9]
.LBB173_2:
	s_andn2_b64 vcc, exec, s[6:7]
	s_cbranch_vccnz .LBB173_28
; %bb.3:
	s_load_dword s24, s[0:1], 0x0
	s_lshl_b32 s25, s2, 5
	s_lshl_b32 s5, s3, 5
	v_cmp_eq_f32_e64 s[2:3], s23, 0
	v_cmp_lt_i64_e64 s[6:7], s[20:21], 1
	v_mov_b32_e32 v3, 0
	s_or_b64 s[2:3], s[2:3], s[6:7]
	v_and_b32_e32 v7, 0x3ff, v0
	v_bfe_u32 v5, v0, 10, 10
	s_and_b64 vcc, exec, s[2:3]
	v_mov_b32_e32 v2, v3
	v_mov_b32_e32 v1, v3
	;; [unrolled: 1-line block ×3, first 2 shown]
	s_cbranch_vccnz .LBB173_12
; %bb.4:
	s_load_dwordx8 s[8:15], s[0:1], 0x18
	s_load_dwordx4 s[16:19], s[0:1], 0x38
	v_lshl_add_u32 v1, v5, 4, v7
	v_lshrrev_b32_e32 v6, 5, v1
	v_lshrrev_b32_e32 v10, 3, v1
	v_and_b32_e32 v1, 31, v1
	s_waitcnt lgkmcnt(0)
	s_mul_i32 s2, s19, s4
	s_mul_hi_u32 s3, s18, s4
	s_add_i32 s3, s3, s2
	s_mul_i32 s2, s18, s4
	s_lshl_b64 s[2:3], s[2:3], 2
	s_add_u32 s14, s14, s2
	s_addc_u32 s15, s15, s3
	s_mul_i32 s2, s13, s4
	s_mul_hi_u32 s3, s12, s4
	v_and_b32_e32 v4, 7, v7
	v_or_b32_e32 v2, s25, v1
	s_add_i32 s3, s3, s2
	s_mul_i32 s2, s12, s4
	v_lshlrev_b32_e32 v1, 2, v1
	s_lshl_b64 s[2:3], s[2:3], 2
	v_lshl_or_b32 v14, v6, 7, v1
	v_lshlrev_b32_e32 v1, 2, v4
	v_add_u32_e32 v0, s5, v10
	s_add_u32 s6, s8, s2
	v_lshl_or_b32 v1, v10, 5, v1
	s_addc_u32 s7, s9, s3
	v_ashrrev_i32_e32 v3, 31, v2
	v_add_u32_e32 v15, 0x400, v1
	v_ashrrev_i32_e32 v1, 31, v0
	v_lshl_add_u64 v[8:9], v[2:3], 2, s[6:7]
	v_cmp_gt_i32_e64 s[6:7], s24, v0
	v_lshl_add_u64 v[10:11], v[0:1], 2, s[14:15]
	v_mov_b32_e32 v0, 0x400
	v_mov_b32_e32 v13, 0
	v_cmp_gt_i32_e64 s[2:3], s24, v2
	v_lshlrev_b32_e32 v16, 2, v7
	v_lshl_add_u32 v17, v5, 5, v0
	s_mov_b64 s[8:9], 0
	v_mov_b32_e32 v0, v13
	v_mov_b32_e32 v1, v13
	;; [unrolled: 1-line block ×4, first 2 shown]
	s_branch .LBB173_6
.LBB173_5:                              ;   in Loop: Header=BB173_6 Depth=1
	s_or_b64 exec, exec, s[12:13]
	s_waitcnt vmcnt(0)
	ds_write_b32 v15, v18
	s_waitcnt lgkmcnt(0)
	s_barrier
	ds_read_b128 v[18:21], v17
	ds_read_b128 v[22:25], v17 offset:16
	ds_read2_b32 v[34:35], v16 offset1:16
	ds_read2_b32 v[36:37], v16 offset0:32 offset1:48
	ds_read2_b32 v[38:39], v16 offset0:64 offset1:80
	;; [unrolled: 1-line block ×4, first 2 shown]
	ds_read_b128 v[26:29], v17 offset:512
	ds_read_b128 v[30:33], v17 offset:528
	ds_read2_b32 v[44:45], v16 offset0:160 offset1:176
	ds_read2_b32 v[46:47], v16 offset0:192 offset1:208
	;; [unrolled: 1-line block ×3, first 2 shown]
	s_waitcnt lgkmcnt(9)
	v_pk_fma_f32 v[2:3], v[34:35], v[18:19], v[2:3] op_sel_hi:[1,0,1]
	v_mov_b32_e32 v12, v21
	s_waitcnt lgkmcnt(8)
	v_pk_fma_f32 v[2:3], v[36:37], v[18:19], v[2:3] op_sel:[0,1,0]
	s_waitcnt lgkmcnt(4)
	v_pk_fma_f32 v[0:1], v[34:35], v[26:27], v[0:1] op_sel_hi:[1,0,1]
	v_pk_fma_f32 v[2:3], v[38:39], v[20:21], v[2:3] op_sel_hi:[1,0,1]
	v_pk_fma_f32 v[0:1], v[36:37], v[26:27], v[0:1] op_sel:[0,1,0]
	v_pk_fma_f32 v[2:3], v[40:41], v[12:13], v[2:3] op_sel_hi:[1,0,1]
	v_mov_b32_e32 v12, v25
	v_pk_fma_f32 v[2:3], v[42:43], v[22:23], v[2:3] op_sel_hi:[1,0,1]
	v_pk_fma_f32 v[0:1], v[38:39], v[28:29], v[0:1] op_sel_hi:[1,0,1]
	s_waitcnt lgkmcnt(2)
	v_pk_fma_f32 v[2:3], v[44:45], v[22:23], v[2:3] op_sel:[0,1,0]
	s_add_u32 s8, s8, 8
	s_waitcnt lgkmcnt(1)
	v_pk_fma_f32 v[2:3], v[46:47], v[24:25], v[2:3] op_sel_hi:[1,0,1]
	s_addc_u32 s9, s9, 0
	s_waitcnt lgkmcnt(0)
	v_pk_fma_f32 v[2:3], v[48:49], v[12:13], v[2:3] op_sel_hi:[1,0,1]
	v_mov_b32_e32 v12, v29
	v_pk_fma_f32 v[0:1], v[40:41], v[12:13], v[0:1] op_sel_hi:[1,0,1]
	v_mov_b64_e32 v[18:19], s[8:9]
	v_pk_fma_f32 v[0:1], v[42:43], v[30:31], v[0:1] op_sel_hi:[1,0,1]
	v_mov_b32_e32 v12, v33
	v_pk_fma_f32 v[0:1], v[44:45], v[30:31], v[0:1] op_sel:[0,1,0]
	v_cmp_gt_i64_e32 vcc, s[20:21], v[18:19]
	v_pk_fma_f32 v[0:1], v[46:47], v[32:33], v[0:1] op_sel_hi:[1,0,1]
	s_nop 0
	v_pk_fma_f32 v[0:1], v[48:49], v[12:13], v[0:1] op_sel_hi:[1,0,1]
	s_barrier
	s_cbranch_vccz .LBB173_12
.LBB173_6:                              ; =>This Inner Loop Header: Depth=1
	v_mov_b32_e32 v18, 0
	s_and_saveexec_b64 s[12:13], s[2:3]
	s_cbranch_execz .LBB173_10
; %bb.7:                                ;   in Loop: Header=BB173_6 Depth=1
	v_add_u32_e32 v12, s8, v6
	v_cmp_gt_u64_e32 vcc, s[20:21], v[12:13]
	v_mov_b32_e32 v18, 0
	s_and_saveexec_b64 s[14:15], vcc
	s_cbranch_execz .LBB173_9
; %bb.8:                                ;   in Loop: Header=BB173_6 Depth=1
	v_mad_u64_u32 v[18:19], s[18:19], s10, v12, 0
	v_mov_b32_e32 v20, v19
	v_mad_u64_u32 v[20:21], s[18:19], s11, v12, v[20:21]
	v_mov_b32_e32 v19, v20
	v_lshl_add_u64 v[18:19], v[18:19], 2, v[8:9]
	global_load_dword v18, v[18:19], off
.LBB173_9:                              ;   in Loop: Header=BB173_6 Depth=1
	s_or_b64 exec, exec, s[14:15]
.LBB173_10:                             ;   in Loop: Header=BB173_6 Depth=1
	s_or_b64 exec, exec, s[12:13]
	v_add_u32_e32 v12, s8, v4
	v_cmp_gt_u64_e32 vcc, s[20:21], v[12:13]
	s_waitcnt vmcnt(0)
	ds_write_b32 v14, v18
	s_and_b64 s[14:15], vcc, s[6:7]
	v_mov_b32_e32 v18, 0
	s_and_saveexec_b64 s[12:13], s[14:15]
	s_cbranch_execz .LBB173_5
; %bb.11:                               ;   in Loop: Header=BB173_6 Depth=1
	v_mad_u64_u32 v[18:19], s[14:15], s16, v12, 0
	v_mov_b32_e32 v20, v19
	v_mad_u64_u32 v[20:21], s[14:15], s17, v12, v[20:21]
	v_mov_b32_e32 v19, v20
	v_lshl_add_u64 v[18:19], v[18:19], 2, v[10:11]
	global_load_dword v18, v[18:19], off
	s_branch .LBB173_5
.LBB173_12:
	s_load_dwordx2 s[2:3], s[0:1], 0x60
	s_load_dwordx4 s[8:11], s[0:1], 0x50
	v_add_u32_e32 v10, s5, v5
	v_ashrrev_i32_e32 v5, 31, v10
	v_add_u32_e32 v4, s25, v7
	s_waitcnt lgkmcnt(0)
	s_mul_i32 s1, s3, s4
	s_mul_hi_u32 s3, s2, s4
	s_mul_i32 s0, s2, s4
	s_add_i32 s1, s3, s1
	s_lshl_b64 s[0:1], s[0:1], 2
	s_add_u32 s6, s8, s0
	s_addc_u32 s7, s9, s1
	v_mul_lo_u32 v5, s10, v5
	v_mul_lo_u32 v8, s11, v10
	v_mad_u64_u32 v[6:7], s[0:1], s10, v10, 0
	v_add3_u32 v7, v7, v5, v8
	v_cmp_neq_f32_e64 s[0:1], s22, 0
	v_lshl_add_u64 v[8:9], v[6:7], 2, s[6:7]
	v_cmp_le_i32_e32 vcc, v10, v4
	v_cmp_gt_i32_e64 s[2:3], s24, v4
	v_cndmask_b32_e64 v6, 0, 1, s[0:1]
	s_and_b64 s[8:9], vcc, s[2:3]
	v_ashrrev_i32_e32 v5, 31, v4
	v_cmp_ne_u32_e64 s[0:1], 1, v6
	s_and_saveexec_b64 s[4:5], s[8:9]
	s_cbranch_execz .LBB173_16
; %bb.13:
	v_mul_f32_e32 v2, s23, v2
	s_and_b64 vcc, exec, s[0:1]
	v_lshl_add_u64 v[6:7], v[4:5], 2, v[8:9]
	s_cbranch_vccnz .LBB173_15
; %bb.14:
	global_load_dword v11, v[6:7], off
	s_waitcnt vmcnt(0)
	v_fmac_f32_e32 v2, s22, v11
.LBB173_15:
	global_store_dword v[6:7], v2, off
.LBB173_16:
	s_or_b64 exec, exec, s[4:5]
	v_add_u32_e32 v6, 16, v4
	v_cmp_le_i32_e32 vcc, v10, v6
	v_cmp_gt_i32_e64 s[4:5], s24, v6
	s_and_b64 s[12:13], vcc, s[4:5]
	v_ashrrev_i32_e32 v7, 31, v6
	s_and_saveexec_b64 s[8:9], s[12:13]
	s_cbranch_execz .LBB173_20
; %bb.17:
	v_mul_f32_e32 v11, s23, v3
	s_and_b64 vcc, exec, s[0:1]
	v_lshl_add_u64 v[2:3], v[6:7], 2, v[8:9]
	s_cbranch_vccnz .LBB173_19
; %bb.18:
	global_load_dword v8, v[2:3], off
	s_waitcnt vmcnt(0)
	v_fmac_f32_e32 v11, s22, v8
.LBB173_19:
	global_store_dword v[2:3], v11, off
.LBB173_20:
	s_or_b64 exec, exec, s[8:9]
	v_add_u32_e32 v8, 16, v10
	v_ashrrev_i32_e32 v2, 31, v8
	v_mul_lo_u32 v9, s10, v2
	v_mul_lo_u32 v10, s11, v8
	v_mad_u64_u32 v[2:3], s[8:9], s10, v8, 0
	v_add3_u32 v3, v3, v9, v10
	v_cmp_le_i32_e32 vcc, v8, v4
	v_lshl_add_u64 v[2:3], v[2:3], 2, s[6:7]
	s_and_b64 s[6:7], vcc, s[2:3]
	s_and_saveexec_b64 s[2:3], s[6:7]
	s_cbranch_execz .LBB173_24
; %bb.21:
	v_mul_f32_e32 v0, s23, v0
	s_and_b64 vcc, exec, s[0:1]
	v_lshl_add_u64 v[4:5], v[4:5], 2, v[2:3]
	s_cbranch_vccnz .LBB173_23
; %bb.22:
	global_load_dword v9, v[4:5], off
	s_waitcnt vmcnt(0)
	v_fmac_f32_e32 v0, s22, v9
.LBB173_23:
	global_store_dword v[4:5], v0, off
.LBB173_24:
	s_or_b64 exec, exec, s[2:3]
	v_cmp_le_i32_e32 vcc, v8, v6
	s_and_b64 s[2:3], vcc, s[4:5]
	s_and_saveexec_b64 s[4:5], s[2:3]
	s_cbranch_execz .LBB173_28
; %bb.25:
	v_mul_f32_e32 v4, s23, v1
	s_and_b64 vcc, exec, s[0:1]
	v_lshl_add_u64 v[0:1], v[6:7], 2, v[2:3]
	s_cbranch_vccnz .LBB173_27
; %bb.26:
	global_load_dword v2, v[0:1], off
	s_waitcnt vmcnt(0)
	v_fmac_f32_e32 v4, s22, v2
.LBB173_27:
	global_store_dword v[0:1], v4, off
.LBB173_28:
	s_endpgm
	.section	.rodata,"a",@progbits
	.p2align	6, 0x0
	.amdhsa_kernel _ZL29rocblas_internal_gemmt_kernelIlLi16ELi32ELi8ELc78ELc67ELc76ELb0ELb0EffPKfPfEviT_T9_T10_S3_lS5_S3_lS4_T11_S3_li
		.amdhsa_group_segment_fixed_size 2048
		.amdhsa_private_segment_fixed_size 0
		.amdhsa_kernarg_size 108
		.amdhsa_user_sgpr_count 2
		.amdhsa_user_sgpr_dispatch_ptr 0
		.amdhsa_user_sgpr_queue_ptr 0
		.amdhsa_user_sgpr_kernarg_segment_ptr 1
		.amdhsa_user_sgpr_dispatch_id 0
		.amdhsa_user_sgpr_kernarg_preload_length 0
		.amdhsa_user_sgpr_kernarg_preload_offset 0
		.amdhsa_user_sgpr_private_segment_size 0
		.amdhsa_uses_dynamic_stack 0
		.amdhsa_enable_private_segment 0
		.amdhsa_system_sgpr_workgroup_id_x 1
		.amdhsa_system_sgpr_workgroup_id_y 1
		.amdhsa_system_sgpr_workgroup_id_z 1
		.amdhsa_system_sgpr_workgroup_info 0
		.amdhsa_system_vgpr_workitem_id 1
		.amdhsa_next_free_vgpr 50
		.amdhsa_next_free_sgpr 26
		.amdhsa_accum_offset 52
		.amdhsa_reserve_vcc 1
		.amdhsa_float_round_mode_32 0
		.amdhsa_float_round_mode_16_64 0
		.amdhsa_float_denorm_mode_32 3
		.amdhsa_float_denorm_mode_16_64 3
		.amdhsa_dx10_clamp 1
		.amdhsa_ieee_mode 1
		.amdhsa_fp16_overflow 0
		.amdhsa_tg_split 0
		.amdhsa_exception_fp_ieee_invalid_op 0
		.amdhsa_exception_fp_denorm_src 0
		.amdhsa_exception_fp_ieee_div_zero 0
		.amdhsa_exception_fp_ieee_overflow 0
		.amdhsa_exception_fp_ieee_underflow 0
		.amdhsa_exception_fp_ieee_inexact 0
		.amdhsa_exception_int_div_zero 0
	.end_amdhsa_kernel
	.section	.text._ZL29rocblas_internal_gemmt_kernelIlLi16ELi32ELi8ELc78ELc67ELc76ELb0ELb0EffPKfPfEviT_T9_T10_S3_lS5_S3_lS4_T11_S3_li,"axG",@progbits,_ZL29rocblas_internal_gemmt_kernelIlLi16ELi32ELi8ELc78ELc67ELc76ELb0ELb0EffPKfPfEviT_T9_T10_S3_lS5_S3_lS4_T11_S3_li,comdat
.Lfunc_end173:
	.size	_ZL29rocblas_internal_gemmt_kernelIlLi16ELi32ELi8ELc78ELc67ELc76ELb0ELb0EffPKfPfEviT_T9_T10_S3_lS5_S3_lS4_T11_S3_li, .Lfunc_end173-_ZL29rocblas_internal_gemmt_kernelIlLi16ELi32ELi8ELc78ELc67ELc76ELb0ELb0EffPKfPfEviT_T9_T10_S3_lS5_S3_lS4_T11_S3_li
                                        ; -- End function
	.set _ZL29rocblas_internal_gemmt_kernelIlLi16ELi32ELi8ELc78ELc67ELc76ELb0ELb0EffPKfPfEviT_T9_T10_S3_lS5_S3_lS4_T11_S3_li.num_vgpr, 50
	.set _ZL29rocblas_internal_gemmt_kernelIlLi16ELi32ELi8ELc78ELc67ELc76ELb0ELb0EffPKfPfEviT_T9_T10_S3_lS5_S3_lS4_T11_S3_li.num_agpr, 0
	.set _ZL29rocblas_internal_gemmt_kernelIlLi16ELi32ELi8ELc78ELc67ELc76ELb0ELb0EffPKfPfEviT_T9_T10_S3_lS5_S3_lS4_T11_S3_li.numbered_sgpr, 26
	.set _ZL29rocblas_internal_gemmt_kernelIlLi16ELi32ELi8ELc78ELc67ELc76ELb0ELb0EffPKfPfEviT_T9_T10_S3_lS5_S3_lS4_T11_S3_li.num_named_barrier, 0
	.set _ZL29rocblas_internal_gemmt_kernelIlLi16ELi32ELi8ELc78ELc67ELc76ELb0ELb0EffPKfPfEviT_T9_T10_S3_lS5_S3_lS4_T11_S3_li.private_seg_size, 0
	.set _ZL29rocblas_internal_gemmt_kernelIlLi16ELi32ELi8ELc78ELc67ELc76ELb0ELb0EffPKfPfEviT_T9_T10_S3_lS5_S3_lS4_T11_S3_li.uses_vcc, 1
	.set _ZL29rocblas_internal_gemmt_kernelIlLi16ELi32ELi8ELc78ELc67ELc76ELb0ELb0EffPKfPfEviT_T9_T10_S3_lS5_S3_lS4_T11_S3_li.uses_flat_scratch, 0
	.set _ZL29rocblas_internal_gemmt_kernelIlLi16ELi32ELi8ELc78ELc67ELc76ELb0ELb0EffPKfPfEviT_T9_T10_S3_lS5_S3_lS4_T11_S3_li.has_dyn_sized_stack, 0
	.set _ZL29rocblas_internal_gemmt_kernelIlLi16ELi32ELi8ELc78ELc67ELc76ELb0ELb0EffPKfPfEviT_T9_T10_S3_lS5_S3_lS4_T11_S3_li.has_recursion, 0
	.set _ZL29rocblas_internal_gemmt_kernelIlLi16ELi32ELi8ELc78ELc67ELc76ELb0ELb0EffPKfPfEviT_T9_T10_S3_lS5_S3_lS4_T11_S3_li.has_indirect_call, 0
	.section	.AMDGPU.csdata,"",@progbits
; Kernel info:
; codeLenInByte = 1308
; TotalNumSgprs: 32
; NumVgprs: 50
; NumAgprs: 0
; TotalNumVgprs: 50
; ScratchSize: 0
; MemoryBound: 0
; FloatMode: 240
; IeeeMode: 1
; LDSByteSize: 2048 bytes/workgroup (compile time only)
; SGPRBlocks: 3
; VGPRBlocks: 6
; NumSGPRsForWavesPerEU: 32
; NumVGPRsForWavesPerEU: 50
; AccumOffset: 52
; Occupancy: 8
; WaveLimiterHint : 0
; COMPUTE_PGM_RSRC2:SCRATCH_EN: 0
; COMPUTE_PGM_RSRC2:USER_SGPR: 2
; COMPUTE_PGM_RSRC2:TRAP_HANDLER: 0
; COMPUTE_PGM_RSRC2:TGID_X_EN: 1
; COMPUTE_PGM_RSRC2:TGID_Y_EN: 1
; COMPUTE_PGM_RSRC2:TGID_Z_EN: 1
; COMPUTE_PGM_RSRC2:TIDIG_COMP_CNT: 1
; COMPUTE_PGM_RSRC3_GFX90A:ACCUM_OFFSET: 12
; COMPUTE_PGM_RSRC3_GFX90A:TG_SPLIT: 0
	.section	.text._ZL29rocblas_internal_gemmt_kernelIlLi16ELi32ELi8ELc84ELc78ELc76ELb0ELb0EffPKfPfEviT_T9_T10_S3_lS5_S3_lS4_T11_S3_li,"axG",@progbits,_ZL29rocblas_internal_gemmt_kernelIlLi16ELi32ELi8ELc84ELc78ELc76ELb0ELb0EffPKfPfEviT_T9_T10_S3_lS5_S3_lS4_T11_S3_li,comdat
	.globl	_ZL29rocblas_internal_gemmt_kernelIlLi16ELi32ELi8ELc84ELc78ELc76ELb0ELb0EffPKfPfEviT_T9_T10_S3_lS5_S3_lS4_T11_S3_li ; -- Begin function _ZL29rocblas_internal_gemmt_kernelIlLi16ELi32ELi8ELc84ELc78ELc76ELb0ELb0EffPKfPfEviT_T9_T10_S3_lS5_S3_lS4_T11_S3_li
	.p2align	8
	.type	_ZL29rocblas_internal_gemmt_kernelIlLi16ELi32ELi8ELc84ELc78ELc76ELb0ELb0EffPKfPfEviT_T9_T10_S3_lS5_S3_lS4_T11_S3_li,@function
_ZL29rocblas_internal_gemmt_kernelIlLi16ELi32ELi8ELc84ELc78ELc76ELb0ELb0EffPKfPfEviT_T9_T10_S3_lS5_S3_lS4_T11_S3_li: ; @_ZL29rocblas_internal_gemmt_kernelIlLi16ELi32ELi8ELc84ELc78ELc76ELb0ELb0EffPKfPfEviT_T9_T10_S3_lS5_S3_lS4_T11_S3_li
; %bb.0:
	s_load_dword s16, s[0:1], 0x48
	s_load_dwordx2 s[8:9], s[0:1], 0x8
	s_load_dword s17, s[0:1], 0x10
	s_waitcnt lgkmcnt(0)
	v_cmp_neq_f32_e64 s[6:7], s16, 1.0
	s_and_b64 vcc, exec, s[6:7]
	s_cbranch_vccnz .LBB174_2
; %bb.1:
	s_cmp_lg_u64 s[8:9], 0
	s_cselect_b64 s[6:7], -1, 0
	v_cmp_neq_f32_e64 s[10:11], s17, 0
	s_and_b64 s[6:7], s[6:7], s[10:11]
.LBB174_2:
	s_andn2_b64 vcc, exec, s[6:7]
	s_cbranch_vccnz .LBB174_28
; %bb.3:
	s_load_dword s18, s[0:1], 0x0
	s_lshl_b32 s19, s2, 5
	s_lshl_b32 s5, s3, 5
	v_cmp_eq_f32_e64 s[2:3], s17, 0
	v_cmp_lt_i64_e64 s[6:7], s[8:9], 1
	v_mov_b32_e32 v3, 0
	s_or_b64 s[2:3], s[2:3], s[6:7]
	v_and_b32_e32 v7, 0x3ff, v0
	v_bfe_u32 v5, v0, 10, 10
	s_and_b64 vcc, exec, s[2:3]
	v_mov_b32_e32 v2, v3
	v_mov_b32_e32 v1, v3
	;; [unrolled: 1-line block ×3, first 2 shown]
	s_cbranch_vccnz .LBB174_12
; %bb.4:
	s_load_dwordx8 s[20:27], s[0:1], 0x18
	s_load_dwordx4 s[12:15], s[0:1], 0x38
	v_lshl_add_u32 v0, v5, 4, v7
	v_lshrrev_b32_e32 v6, 5, v0
	v_lshrrev_b32_e32 v2, 3, v0
	v_and_b32_e32 v0, 31, v0
	s_waitcnt lgkmcnt(0)
	s_mul_i32 s2, s15, s4
	s_mul_hi_u32 s3, s14, s4
	s_add_i32 s3, s3, s2
	s_mul_i32 s2, s14, s4
	s_lshl_b64 s[2:3], s[2:3], 2
	s_add_u32 s10, s26, s2
	s_addc_u32 s11, s27, s3
	s_mul_i32 s2, s25, s4
	s_mul_hi_u32 s3, s24, s4
	s_add_i32 s3, s3, s2
	s_mul_i32 s2, s24, s4
	s_lshl_b64 s[2:3], s[2:3], 2
	v_or_b32_e32 v1, s19, v0
	s_add_u32 s6, s20, s2
	v_lshlrev_b32_e32 v0, 2, v0
	s_addc_u32 s7, s21, s3
	v_cmp_gt_i32_e64 s[2:3], s18, v1
	v_lshl_or_b32 v14, v6, 7, v0
	s_ashr_i32 s20, s19, 31
	v_mul_lo_u32 v8, s23, v1
	v_mad_u64_u32 v[0:1], s[14:15], s22, v1, 0
	s_mul_i32 s14, s22, s20
	v_and_b32_e32 v4, 7, v7
	v_add3_u32 v1, v1, s14, v8
	v_lshl_add_u64 v[8:9], v[0:1], 2, s[6:7]
	v_lshlrev_b32_e32 v0, 2, v4
	v_add_u32_e32 v3, s5, v2
	v_lshl_or_b32 v0, v2, 5, v0
	v_add_u32_e32 v15, 0x400, v0
	v_ashrrev_i32_e32 v0, 31, v3
	v_mul_lo_u32 v2, s12, v0
	v_mul_lo_u32 v10, s13, v3
	v_mad_u64_u32 v[0:1], s[12:13], s12, v3, 0
	v_add3_u32 v1, v1, v2, v10
	v_lshl_add_u64 v[10:11], v[0:1], 2, s[10:11]
	v_mov_b32_e32 v0, 0x400
	v_mov_b32_e32 v13, 0
	v_cmp_gt_i32_e64 s[6:7], s18, v3
	v_lshlrev_b32_e32 v16, 2, v7
	v_lshl_add_u32 v17, v5, 5, v0
	s_mov_b64 s[10:11], 0
	v_mov_b32_e32 v0, v13
	v_mov_b32_e32 v1, v13
	;; [unrolled: 1-line block ×4, first 2 shown]
	s_branch .LBB174_6
.LBB174_5:                              ;   in Loop: Header=BB174_6 Depth=1
	s_or_b64 exec, exec, s[12:13]
	s_waitcnt vmcnt(0)
	ds_write_b32 v15, v18
	s_waitcnt lgkmcnt(0)
	s_barrier
	ds_read_b128 v[18:21], v17
	ds_read_b128 v[22:25], v17 offset:16
	ds_read2_b32 v[34:35], v16 offset1:16
	ds_read2_b32 v[36:37], v16 offset0:32 offset1:48
	ds_read2_b32 v[38:39], v16 offset0:64 offset1:80
	;; [unrolled: 1-line block ×4, first 2 shown]
	ds_read_b128 v[26:29], v17 offset:512
	ds_read_b128 v[30:33], v17 offset:528
	ds_read2_b32 v[44:45], v16 offset0:160 offset1:176
	ds_read2_b32 v[46:47], v16 offset0:192 offset1:208
	;; [unrolled: 1-line block ×3, first 2 shown]
	s_waitcnt lgkmcnt(9)
	v_pk_fma_f32 v[2:3], v[34:35], v[18:19], v[2:3] op_sel_hi:[1,0,1]
	v_mov_b32_e32 v12, v21
	s_waitcnt lgkmcnt(8)
	v_pk_fma_f32 v[2:3], v[36:37], v[18:19], v[2:3] op_sel:[0,1,0]
	s_waitcnt lgkmcnt(4)
	v_pk_fma_f32 v[0:1], v[34:35], v[26:27], v[0:1] op_sel_hi:[1,0,1]
	v_pk_fma_f32 v[2:3], v[38:39], v[20:21], v[2:3] op_sel_hi:[1,0,1]
	v_pk_fma_f32 v[0:1], v[36:37], v[26:27], v[0:1] op_sel:[0,1,0]
	v_pk_fma_f32 v[2:3], v[40:41], v[12:13], v[2:3] op_sel_hi:[1,0,1]
	v_mov_b32_e32 v12, v25
	v_pk_fma_f32 v[2:3], v[42:43], v[22:23], v[2:3] op_sel_hi:[1,0,1]
	v_pk_fma_f32 v[0:1], v[38:39], v[28:29], v[0:1] op_sel_hi:[1,0,1]
	s_waitcnt lgkmcnt(2)
	v_pk_fma_f32 v[2:3], v[44:45], v[22:23], v[2:3] op_sel:[0,1,0]
	s_add_u32 s10, s10, 8
	s_waitcnt lgkmcnt(1)
	v_pk_fma_f32 v[2:3], v[46:47], v[24:25], v[2:3] op_sel_hi:[1,0,1]
	s_addc_u32 s11, s11, 0
	s_waitcnt lgkmcnt(0)
	v_pk_fma_f32 v[2:3], v[48:49], v[12:13], v[2:3] op_sel_hi:[1,0,1]
	v_mov_b32_e32 v12, v29
	v_pk_fma_f32 v[0:1], v[40:41], v[12:13], v[0:1] op_sel_hi:[1,0,1]
	v_mov_b64_e32 v[18:19], s[10:11]
	v_pk_fma_f32 v[0:1], v[42:43], v[30:31], v[0:1] op_sel_hi:[1,0,1]
	v_mov_b32_e32 v12, v33
	v_pk_fma_f32 v[0:1], v[44:45], v[30:31], v[0:1] op_sel:[0,1,0]
	v_cmp_gt_i64_e32 vcc, s[8:9], v[18:19]
	v_pk_fma_f32 v[0:1], v[46:47], v[32:33], v[0:1] op_sel_hi:[1,0,1]
	s_nop 0
	v_pk_fma_f32 v[0:1], v[48:49], v[12:13], v[0:1] op_sel_hi:[1,0,1]
	s_barrier
	s_cbranch_vccz .LBB174_12
.LBB174_6:                              ; =>This Inner Loop Header: Depth=1
	v_mov_b32_e32 v18, 0
	s_and_saveexec_b64 s[12:13], s[2:3]
	s_cbranch_execz .LBB174_10
; %bb.7:                                ;   in Loop: Header=BB174_6 Depth=1
	v_add_u32_e32 v12, s10, v6
	v_cmp_gt_u64_e32 vcc, s[8:9], v[12:13]
	v_mov_b32_e32 v18, 0
	s_and_saveexec_b64 s[14:15], vcc
	s_cbranch_execz .LBB174_9
; %bb.8:                                ;   in Loop: Header=BB174_6 Depth=1
	v_lshl_add_u64 v[18:19], v[12:13], 2, v[8:9]
	global_load_dword v18, v[18:19], off
.LBB174_9:                              ;   in Loop: Header=BB174_6 Depth=1
	s_or_b64 exec, exec, s[14:15]
.LBB174_10:                             ;   in Loop: Header=BB174_6 Depth=1
	s_or_b64 exec, exec, s[12:13]
	v_add_u32_e32 v12, s10, v4
	v_cmp_gt_u64_e32 vcc, s[8:9], v[12:13]
	s_waitcnt vmcnt(0)
	ds_write_b32 v14, v18
	s_and_b64 s[14:15], vcc, s[6:7]
	v_mov_b32_e32 v18, 0
	s_and_saveexec_b64 s[12:13], s[14:15]
	s_cbranch_execz .LBB174_5
; %bb.11:                               ;   in Loop: Header=BB174_6 Depth=1
	v_lshl_add_u64 v[18:19], v[12:13], 2, v[10:11]
	global_load_dword v18, v[18:19], off
	s_branch .LBB174_5
.LBB174_12:
	s_load_dwordx2 s[2:3], s[0:1], 0x60
	s_load_dwordx4 s[8:11], s[0:1], 0x50
	v_add_u32_e32 v10, s5, v5
	v_ashrrev_i32_e32 v5, 31, v10
	v_add_u32_e32 v4, s19, v7
	s_waitcnt lgkmcnt(0)
	s_mul_i32 s1, s3, s4
	s_mul_hi_u32 s3, s2, s4
	s_mul_i32 s0, s2, s4
	s_add_i32 s1, s3, s1
	s_lshl_b64 s[0:1], s[0:1], 2
	s_add_u32 s6, s8, s0
	s_addc_u32 s7, s9, s1
	v_mul_lo_u32 v5, s10, v5
	v_mul_lo_u32 v8, s11, v10
	v_mad_u64_u32 v[6:7], s[0:1], s10, v10, 0
	v_add3_u32 v7, v7, v5, v8
	v_cmp_neq_f32_e64 s[0:1], s16, 0
	v_lshl_add_u64 v[8:9], v[6:7], 2, s[6:7]
	v_cmp_le_i32_e32 vcc, v10, v4
	v_cmp_gt_i32_e64 s[2:3], s18, v4
	v_cndmask_b32_e64 v6, 0, 1, s[0:1]
	s_and_b64 s[8:9], vcc, s[2:3]
	v_ashrrev_i32_e32 v5, 31, v4
	v_cmp_ne_u32_e64 s[0:1], 1, v6
	s_and_saveexec_b64 s[4:5], s[8:9]
	s_cbranch_execz .LBB174_16
; %bb.13:
	v_mul_f32_e32 v2, s17, v2
	s_and_b64 vcc, exec, s[0:1]
	v_lshl_add_u64 v[6:7], v[4:5], 2, v[8:9]
	s_cbranch_vccnz .LBB174_15
; %bb.14:
	global_load_dword v11, v[6:7], off
	s_waitcnt vmcnt(0)
	v_fmac_f32_e32 v2, s16, v11
.LBB174_15:
	global_store_dword v[6:7], v2, off
.LBB174_16:
	s_or_b64 exec, exec, s[4:5]
	v_add_u32_e32 v6, 16, v4
	v_cmp_le_i32_e32 vcc, v10, v6
	v_cmp_gt_i32_e64 s[4:5], s18, v6
	s_and_b64 s[12:13], vcc, s[4:5]
	v_ashrrev_i32_e32 v7, 31, v6
	s_and_saveexec_b64 s[8:9], s[12:13]
	s_cbranch_execz .LBB174_20
; %bb.17:
	v_mul_f32_e32 v11, s17, v3
	s_and_b64 vcc, exec, s[0:1]
	v_lshl_add_u64 v[2:3], v[6:7], 2, v[8:9]
	s_cbranch_vccnz .LBB174_19
; %bb.18:
	global_load_dword v8, v[2:3], off
	s_waitcnt vmcnt(0)
	v_fmac_f32_e32 v11, s16, v8
.LBB174_19:
	global_store_dword v[2:3], v11, off
.LBB174_20:
	s_or_b64 exec, exec, s[8:9]
	v_add_u32_e32 v8, 16, v10
	v_ashrrev_i32_e32 v2, 31, v8
	v_mul_lo_u32 v9, s10, v2
	v_mul_lo_u32 v10, s11, v8
	v_mad_u64_u32 v[2:3], s[8:9], s10, v8, 0
	v_add3_u32 v3, v3, v9, v10
	v_cmp_le_i32_e32 vcc, v8, v4
	v_lshl_add_u64 v[2:3], v[2:3], 2, s[6:7]
	s_and_b64 s[6:7], vcc, s[2:3]
	s_and_saveexec_b64 s[2:3], s[6:7]
	s_cbranch_execz .LBB174_24
; %bb.21:
	v_mul_f32_e32 v0, s17, v0
	s_and_b64 vcc, exec, s[0:1]
	v_lshl_add_u64 v[4:5], v[4:5], 2, v[2:3]
	s_cbranch_vccnz .LBB174_23
; %bb.22:
	global_load_dword v9, v[4:5], off
	s_waitcnt vmcnt(0)
	v_fmac_f32_e32 v0, s16, v9
.LBB174_23:
	global_store_dword v[4:5], v0, off
.LBB174_24:
	s_or_b64 exec, exec, s[2:3]
	v_cmp_le_i32_e32 vcc, v8, v6
	s_and_b64 s[2:3], vcc, s[4:5]
	s_and_saveexec_b64 s[4:5], s[2:3]
	s_cbranch_execz .LBB174_28
; %bb.25:
	v_mul_f32_e32 v4, s17, v1
	s_and_b64 vcc, exec, s[0:1]
	v_lshl_add_u64 v[0:1], v[6:7], 2, v[2:3]
	s_cbranch_vccnz .LBB174_27
; %bb.26:
	global_load_dword v2, v[0:1], off
	s_waitcnt vmcnt(0)
	v_fmac_f32_e32 v4, s16, v2
.LBB174_27:
	global_store_dword v[0:1], v4, off
.LBB174_28:
	s_endpgm
	.section	.rodata,"a",@progbits
	.p2align	6, 0x0
	.amdhsa_kernel _ZL29rocblas_internal_gemmt_kernelIlLi16ELi32ELi8ELc84ELc78ELc76ELb0ELb0EffPKfPfEviT_T9_T10_S3_lS5_S3_lS4_T11_S3_li
		.amdhsa_group_segment_fixed_size 2048
		.amdhsa_private_segment_fixed_size 0
		.amdhsa_kernarg_size 108
		.amdhsa_user_sgpr_count 2
		.amdhsa_user_sgpr_dispatch_ptr 0
		.amdhsa_user_sgpr_queue_ptr 0
		.amdhsa_user_sgpr_kernarg_segment_ptr 1
		.amdhsa_user_sgpr_dispatch_id 0
		.amdhsa_user_sgpr_kernarg_preload_length 0
		.amdhsa_user_sgpr_kernarg_preload_offset 0
		.amdhsa_user_sgpr_private_segment_size 0
		.amdhsa_uses_dynamic_stack 0
		.amdhsa_enable_private_segment 0
		.amdhsa_system_sgpr_workgroup_id_x 1
		.amdhsa_system_sgpr_workgroup_id_y 1
		.amdhsa_system_sgpr_workgroup_id_z 1
		.amdhsa_system_sgpr_workgroup_info 0
		.amdhsa_system_vgpr_workitem_id 1
		.amdhsa_next_free_vgpr 50
		.amdhsa_next_free_sgpr 28
		.amdhsa_accum_offset 52
		.amdhsa_reserve_vcc 1
		.amdhsa_float_round_mode_32 0
		.amdhsa_float_round_mode_16_64 0
		.amdhsa_float_denorm_mode_32 3
		.amdhsa_float_denorm_mode_16_64 3
		.amdhsa_dx10_clamp 1
		.amdhsa_ieee_mode 1
		.amdhsa_fp16_overflow 0
		.amdhsa_tg_split 0
		.amdhsa_exception_fp_ieee_invalid_op 0
		.amdhsa_exception_fp_denorm_src 0
		.amdhsa_exception_fp_ieee_div_zero 0
		.amdhsa_exception_fp_ieee_overflow 0
		.amdhsa_exception_fp_ieee_underflow 0
		.amdhsa_exception_fp_ieee_inexact 0
		.amdhsa_exception_int_div_zero 0
	.end_amdhsa_kernel
	.section	.text._ZL29rocblas_internal_gemmt_kernelIlLi16ELi32ELi8ELc84ELc78ELc76ELb0ELb0EffPKfPfEviT_T9_T10_S3_lS5_S3_lS4_T11_S3_li,"axG",@progbits,_ZL29rocblas_internal_gemmt_kernelIlLi16ELi32ELi8ELc84ELc78ELc76ELb0ELb0EffPKfPfEviT_T9_T10_S3_lS5_S3_lS4_T11_S3_li,comdat
.Lfunc_end174:
	.size	_ZL29rocblas_internal_gemmt_kernelIlLi16ELi32ELi8ELc84ELc78ELc76ELb0ELb0EffPKfPfEviT_T9_T10_S3_lS5_S3_lS4_T11_S3_li, .Lfunc_end174-_ZL29rocblas_internal_gemmt_kernelIlLi16ELi32ELi8ELc84ELc78ELc76ELb0ELb0EffPKfPfEviT_T9_T10_S3_lS5_S3_lS4_T11_S3_li
                                        ; -- End function
	.set _ZL29rocblas_internal_gemmt_kernelIlLi16ELi32ELi8ELc84ELc78ELc76ELb0ELb0EffPKfPfEviT_T9_T10_S3_lS5_S3_lS4_T11_S3_li.num_vgpr, 50
	.set _ZL29rocblas_internal_gemmt_kernelIlLi16ELi32ELi8ELc84ELc78ELc76ELb0ELb0EffPKfPfEviT_T9_T10_S3_lS5_S3_lS4_T11_S3_li.num_agpr, 0
	.set _ZL29rocblas_internal_gemmt_kernelIlLi16ELi32ELi8ELc84ELc78ELc76ELb0ELb0EffPKfPfEviT_T9_T10_S3_lS5_S3_lS4_T11_S3_li.numbered_sgpr, 28
	.set _ZL29rocblas_internal_gemmt_kernelIlLi16ELi32ELi8ELc84ELc78ELc76ELb0ELb0EffPKfPfEviT_T9_T10_S3_lS5_S3_lS4_T11_S3_li.num_named_barrier, 0
	.set _ZL29rocblas_internal_gemmt_kernelIlLi16ELi32ELi8ELc84ELc78ELc76ELb0ELb0EffPKfPfEviT_T9_T10_S3_lS5_S3_lS4_T11_S3_li.private_seg_size, 0
	.set _ZL29rocblas_internal_gemmt_kernelIlLi16ELi32ELi8ELc84ELc78ELc76ELb0ELb0EffPKfPfEviT_T9_T10_S3_lS5_S3_lS4_T11_S3_li.uses_vcc, 1
	.set _ZL29rocblas_internal_gemmt_kernelIlLi16ELi32ELi8ELc84ELc78ELc76ELb0ELb0EffPKfPfEviT_T9_T10_S3_lS5_S3_lS4_T11_S3_li.uses_flat_scratch, 0
	.set _ZL29rocblas_internal_gemmt_kernelIlLi16ELi32ELi8ELc84ELc78ELc76ELb0ELb0EffPKfPfEviT_T9_T10_S3_lS5_S3_lS4_T11_S3_li.has_dyn_sized_stack, 0
	.set _ZL29rocblas_internal_gemmt_kernelIlLi16ELi32ELi8ELc84ELc78ELc76ELb0ELb0EffPKfPfEviT_T9_T10_S3_lS5_S3_lS4_T11_S3_li.has_recursion, 0
	.set _ZL29rocblas_internal_gemmt_kernelIlLi16ELi32ELi8ELc84ELc78ELc76ELb0ELb0EffPKfPfEviT_T9_T10_S3_lS5_S3_lS4_T11_S3_li.has_indirect_call, 0
	.section	.AMDGPU.csdata,"",@progbits
; Kernel info:
; codeLenInByte = 1320
; TotalNumSgprs: 34
; NumVgprs: 50
; NumAgprs: 0
; TotalNumVgprs: 50
; ScratchSize: 0
; MemoryBound: 0
; FloatMode: 240
; IeeeMode: 1
; LDSByteSize: 2048 bytes/workgroup (compile time only)
; SGPRBlocks: 4
; VGPRBlocks: 6
; NumSGPRsForWavesPerEU: 34
; NumVGPRsForWavesPerEU: 50
; AccumOffset: 52
; Occupancy: 8
; WaveLimiterHint : 0
; COMPUTE_PGM_RSRC2:SCRATCH_EN: 0
; COMPUTE_PGM_RSRC2:USER_SGPR: 2
; COMPUTE_PGM_RSRC2:TRAP_HANDLER: 0
; COMPUTE_PGM_RSRC2:TGID_X_EN: 1
; COMPUTE_PGM_RSRC2:TGID_Y_EN: 1
; COMPUTE_PGM_RSRC2:TGID_Z_EN: 1
; COMPUTE_PGM_RSRC2:TIDIG_COMP_CNT: 1
; COMPUTE_PGM_RSRC3_GFX90A:ACCUM_OFFSET: 12
; COMPUTE_PGM_RSRC3_GFX90A:TG_SPLIT: 0
	.section	.text._ZL29rocblas_internal_gemmt_kernelIlLi16ELi32ELi8ELc84ELc84ELc76ELb0ELb0EffPKfPfEviT_T9_T10_S3_lS5_S3_lS4_T11_S3_li,"axG",@progbits,_ZL29rocblas_internal_gemmt_kernelIlLi16ELi32ELi8ELc84ELc84ELc76ELb0ELb0EffPKfPfEviT_T9_T10_S3_lS5_S3_lS4_T11_S3_li,comdat
	.globl	_ZL29rocblas_internal_gemmt_kernelIlLi16ELi32ELi8ELc84ELc84ELc76ELb0ELb0EffPKfPfEviT_T9_T10_S3_lS5_S3_lS4_T11_S3_li ; -- Begin function _ZL29rocblas_internal_gemmt_kernelIlLi16ELi32ELi8ELc84ELc84ELc76ELb0ELb0EffPKfPfEviT_T9_T10_S3_lS5_S3_lS4_T11_S3_li
	.p2align	8
	.type	_ZL29rocblas_internal_gemmt_kernelIlLi16ELi32ELi8ELc84ELc84ELc76ELb0ELb0EffPKfPfEviT_T9_T10_S3_lS5_S3_lS4_T11_S3_li,@function
_ZL29rocblas_internal_gemmt_kernelIlLi16ELi32ELi8ELc84ELc84ELc76ELb0ELb0EffPKfPfEviT_T9_T10_S3_lS5_S3_lS4_T11_S3_li: ; @_ZL29rocblas_internal_gemmt_kernelIlLi16ELi32ELi8ELc84ELc84ELc76ELb0ELb0EffPKfPfEviT_T9_T10_S3_lS5_S3_lS4_T11_S3_li
; %bb.0:
	s_load_dword s18, s[0:1], 0x48
	s_load_dwordx2 s[12:13], s[0:1], 0x8
	s_load_dword s19, s[0:1], 0x10
	s_waitcnt lgkmcnt(0)
	v_cmp_neq_f32_e64 s[6:7], s18, 1.0
	s_and_b64 vcc, exec, s[6:7]
	s_cbranch_vccnz .LBB175_2
; %bb.1:
	s_cmp_lg_u64 s[12:13], 0
	s_cselect_b64 s[6:7], -1, 0
	v_cmp_neq_f32_e64 s[8:9], s19, 0
	s_and_b64 s[6:7], s[6:7], s[8:9]
.LBB175_2:
	s_andn2_b64 vcc, exec, s[6:7]
	s_cbranch_vccnz .LBB175_28
; %bb.3:
	s_load_dword s20, s[0:1], 0x0
	s_lshl_b32 s21, s2, 5
	s_lshl_b32 s5, s3, 5
	v_cmp_eq_f32_e64 s[2:3], s19, 0
	v_cmp_lt_i64_e64 s[6:7], s[12:13], 1
	v_mov_b32_e32 v3, 0
	s_or_b64 s[2:3], s[2:3], s[6:7]
	v_and_b32_e32 v7, 0x3ff, v0
	v_bfe_u32 v5, v0, 10, 10
	s_and_b64 vcc, exec, s[2:3]
	v_mov_b32_e32 v2, v3
	v_mov_b32_e32 v1, v3
	;; [unrolled: 1-line block ×3, first 2 shown]
	s_cbranch_vccnz .LBB175_12
; %bb.4:
	s_load_dwordx8 s[24:31], s[0:1], 0x18
	s_load_dwordx4 s[8:11], s[0:1], 0x38
	v_lshl_add_u32 v1, v5, 4, v7
	v_lshrrev_b32_e32 v6, 5, v1
	v_lshrrev_b32_e32 v10, 3, v1
	v_and_b32_e32 v1, 31, v1
	s_waitcnt lgkmcnt(0)
	s_mul_i32 s2, s11, s4
	s_mul_hi_u32 s3, s10, s4
	s_add_i32 s3, s3, s2
	s_mul_i32 s2, s10, s4
	s_lshl_b64 s[2:3], s[2:3], 2
	s_add_u32 s10, s30, s2
	s_addc_u32 s11, s31, s3
	s_mul_i32 s2, s29, s4
	s_mul_hi_u32 s3, s28, s4
	s_add_i32 s3, s3, s2
	s_mul_i32 s2, s28, s4
	s_lshl_b64 s[2:3], s[2:3], 2
	v_or_b32_e32 v2, s21, v1
	s_add_u32 s6, s24, s2
	v_lshlrev_b32_e32 v1, 2, v1
	s_addc_u32 s7, s25, s3
	v_cmp_gt_i32_e64 s[2:3], s20, v2
	v_lshl_or_b32 v14, v6, 7, v1
	s_ashr_i32 s16, s21, 31
	v_mul_lo_u32 v1, s27, v2
	v_mad_u64_u32 v[2:3], s[14:15], s26, v2, 0
	v_and_b32_e32 v4, 7, v7
	s_mul_i32 s14, s26, s16
	v_add3_u32 v3, v3, s14, v1
	v_lshlrev_b32_e32 v1, 2, v4
	v_add_u32_e32 v0, s5, v10
	v_lshl_or_b32 v1, v10, 5, v1
	v_add_u32_e32 v15, 0x400, v1
	v_ashrrev_i32_e32 v1, 31, v0
	v_lshl_add_u64 v[8:9], v[2:3], 2, s[6:7]
	v_cmp_gt_i32_e64 s[6:7], s20, v0
	v_lshl_add_u64 v[10:11], v[0:1], 2, s[10:11]
	v_mov_b32_e32 v0, 0x400
	v_mov_b32_e32 v13, 0
	v_lshlrev_b32_e32 v16, 2, v7
	v_lshl_add_u32 v17, v5, 5, v0
	s_mov_b64 s[10:11], 0
	v_mov_b32_e32 v0, v13
	v_mov_b32_e32 v1, v13
	;; [unrolled: 1-line block ×4, first 2 shown]
	s_branch .LBB175_6
.LBB175_5:                              ;   in Loop: Header=BB175_6 Depth=1
	s_or_b64 exec, exec, s[14:15]
	s_waitcnt vmcnt(0)
	ds_write_b32 v15, v18
	s_waitcnt lgkmcnt(0)
	s_barrier
	ds_read_b128 v[18:21], v17
	ds_read_b128 v[22:25], v17 offset:16
	ds_read2_b32 v[34:35], v16 offset1:16
	ds_read2_b32 v[36:37], v16 offset0:32 offset1:48
	ds_read2_b32 v[38:39], v16 offset0:64 offset1:80
	;; [unrolled: 1-line block ×4, first 2 shown]
	ds_read_b128 v[26:29], v17 offset:512
	ds_read_b128 v[30:33], v17 offset:528
	ds_read2_b32 v[44:45], v16 offset0:160 offset1:176
	ds_read2_b32 v[46:47], v16 offset0:192 offset1:208
	;; [unrolled: 1-line block ×3, first 2 shown]
	s_waitcnt lgkmcnt(9)
	v_pk_fma_f32 v[2:3], v[34:35], v[18:19], v[2:3] op_sel_hi:[1,0,1]
	v_mov_b32_e32 v12, v21
	s_waitcnt lgkmcnt(8)
	v_pk_fma_f32 v[2:3], v[36:37], v[18:19], v[2:3] op_sel:[0,1,0]
	s_waitcnt lgkmcnt(4)
	v_pk_fma_f32 v[0:1], v[34:35], v[26:27], v[0:1] op_sel_hi:[1,0,1]
	v_pk_fma_f32 v[2:3], v[38:39], v[20:21], v[2:3] op_sel_hi:[1,0,1]
	v_pk_fma_f32 v[0:1], v[36:37], v[26:27], v[0:1] op_sel:[0,1,0]
	v_pk_fma_f32 v[2:3], v[40:41], v[12:13], v[2:3] op_sel_hi:[1,0,1]
	v_mov_b32_e32 v12, v25
	v_pk_fma_f32 v[2:3], v[42:43], v[22:23], v[2:3] op_sel_hi:[1,0,1]
	v_pk_fma_f32 v[0:1], v[38:39], v[28:29], v[0:1] op_sel_hi:[1,0,1]
	s_waitcnt lgkmcnt(2)
	v_pk_fma_f32 v[2:3], v[44:45], v[22:23], v[2:3] op_sel:[0,1,0]
	s_add_u32 s10, s10, 8
	s_waitcnt lgkmcnt(1)
	v_pk_fma_f32 v[2:3], v[46:47], v[24:25], v[2:3] op_sel_hi:[1,0,1]
	s_addc_u32 s11, s11, 0
	s_waitcnt lgkmcnt(0)
	v_pk_fma_f32 v[2:3], v[48:49], v[12:13], v[2:3] op_sel_hi:[1,0,1]
	v_mov_b32_e32 v12, v29
	v_pk_fma_f32 v[0:1], v[40:41], v[12:13], v[0:1] op_sel_hi:[1,0,1]
	v_mov_b64_e32 v[18:19], s[10:11]
	v_pk_fma_f32 v[0:1], v[42:43], v[30:31], v[0:1] op_sel_hi:[1,0,1]
	v_mov_b32_e32 v12, v33
	v_pk_fma_f32 v[0:1], v[44:45], v[30:31], v[0:1] op_sel:[0,1,0]
	v_cmp_gt_i64_e32 vcc, s[12:13], v[18:19]
	v_pk_fma_f32 v[0:1], v[46:47], v[32:33], v[0:1] op_sel_hi:[1,0,1]
	s_nop 0
	v_pk_fma_f32 v[0:1], v[48:49], v[12:13], v[0:1] op_sel_hi:[1,0,1]
	s_barrier
	s_cbranch_vccz .LBB175_12
.LBB175_6:                              ; =>This Inner Loop Header: Depth=1
	v_mov_b32_e32 v18, 0
	s_and_saveexec_b64 s[14:15], s[2:3]
	s_cbranch_execz .LBB175_10
; %bb.7:                                ;   in Loop: Header=BB175_6 Depth=1
	v_add_u32_e32 v12, s10, v6
	v_cmp_gt_u64_e32 vcc, s[12:13], v[12:13]
	v_mov_b32_e32 v18, 0
	s_and_saveexec_b64 s[16:17], vcc
	s_cbranch_execz .LBB175_9
; %bb.8:                                ;   in Loop: Header=BB175_6 Depth=1
	v_lshl_add_u64 v[18:19], v[12:13], 2, v[8:9]
	global_load_dword v18, v[18:19], off
.LBB175_9:                              ;   in Loop: Header=BB175_6 Depth=1
	s_or_b64 exec, exec, s[16:17]
.LBB175_10:                             ;   in Loop: Header=BB175_6 Depth=1
	s_or_b64 exec, exec, s[14:15]
	v_add_u32_e32 v12, s10, v4
	v_cmp_gt_u64_e32 vcc, s[12:13], v[12:13]
	s_waitcnt vmcnt(0)
	ds_write_b32 v14, v18
	s_and_b64 s[16:17], vcc, s[6:7]
	v_mov_b32_e32 v18, 0
	s_and_saveexec_b64 s[14:15], s[16:17]
	s_cbranch_execz .LBB175_5
; %bb.11:                               ;   in Loop: Header=BB175_6 Depth=1
	v_mad_u64_u32 v[18:19], s[16:17], s8, v12, 0
	v_mov_b32_e32 v20, v19
	v_mad_u64_u32 v[20:21], s[16:17], s9, v12, v[20:21]
	v_mov_b32_e32 v19, v20
	v_lshl_add_u64 v[18:19], v[18:19], 2, v[10:11]
	global_load_dword v18, v[18:19], off
	s_branch .LBB175_5
.LBB175_12:
	s_load_dwordx2 s[2:3], s[0:1], 0x60
	s_load_dwordx4 s[8:11], s[0:1], 0x50
	v_add_u32_e32 v10, s5, v5
	v_ashrrev_i32_e32 v5, 31, v10
	v_add_u32_e32 v4, s21, v7
	s_waitcnt lgkmcnt(0)
	s_mul_i32 s1, s3, s4
	s_mul_hi_u32 s3, s2, s4
	s_mul_i32 s0, s2, s4
	s_add_i32 s1, s3, s1
	s_lshl_b64 s[0:1], s[0:1], 2
	s_add_u32 s6, s8, s0
	s_addc_u32 s7, s9, s1
	v_mul_lo_u32 v5, s10, v5
	v_mul_lo_u32 v8, s11, v10
	v_mad_u64_u32 v[6:7], s[0:1], s10, v10, 0
	v_add3_u32 v7, v7, v5, v8
	v_cmp_neq_f32_e64 s[0:1], s18, 0
	v_lshl_add_u64 v[8:9], v[6:7], 2, s[6:7]
	v_cmp_le_i32_e32 vcc, v10, v4
	v_cmp_gt_i32_e64 s[2:3], s20, v4
	v_cndmask_b32_e64 v6, 0, 1, s[0:1]
	s_and_b64 s[8:9], vcc, s[2:3]
	v_ashrrev_i32_e32 v5, 31, v4
	v_cmp_ne_u32_e64 s[0:1], 1, v6
	s_and_saveexec_b64 s[4:5], s[8:9]
	s_cbranch_execz .LBB175_16
; %bb.13:
	v_mul_f32_e32 v2, s19, v2
	s_and_b64 vcc, exec, s[0:1]
	v_lshl_add_u64 v[6:7], v[4:5], 2, v[8:9]
	s_cbranch_vccnz .LBB175_15
; %bb.14:
	global_load_dword v11, v[6:7], off
	s_waitcnt vmcnt(0)
	v_fmac_f32_e32 v2, s18, v11
.LBB175_15:
	global_store_dword v[6:7], v2, off
.LBB175_16:
	s_or_b64 exec, exec, s[4:5]
	v_add_u32_e32 v6, 16, v4
	v_cmp_le_i32_e32 vcc, v10, v6
	v_cmp_gt_i32_e64 s[4:5], s20, v6
	s_and_b64 s[12:13], vcc, s[4:5]
	v_ashrrev_i32_e32 v7, 31, v6
	s_and_saveexec_b64 s[8:9], s[12:13]
	s_cbranch_execz .LBB175_20
; %bb.17:
	v_mul_f32_e32 v11, s19, v3
	s_and_b64 vcc, exec, s[0:1]
	v_lshl_add_u64 v[2:3], v[6:7], 2, v[8:9]
	s_cbranch_vccnz .LBB175_19
; %bb.18:
	global_load_dword v8, v[2:3], off
	s_waitcnt vmcnt(0)
	v_fmac_f32_e32 v11, s18, v8
.LBB175_19:
	global_store_dword v[2:3], v11, off
.LBB175_20:
	s_or_b64 exec, exec, s[8:9]
	v_add_u32_e32 v8, 16, v10
	v_ashrrev_i32_e32 v2, 31, v8
	v_mul_lo_u32 v9, s10, v2
	v_mul_lo_u32 v10, s11, v8
	v_mad_u64_u32 v[2:3], s[8:9], s10, v8, 0
	v_add3_u32 v3, v3, v9, v10
	v_cmp_le_i32_e32 vcc, v8, v4
	v_lshl_add_u64 v[2:3], v[2:3], 2, s[6:7]
	s_and_b64 s[6:7], vcc, s[2:3]
	s_and_saveexec_b64 s[2:3], s[6:7]
	s_cbranch_execz .LBB175_24
; %bb.21:
	v_mul_f32_e32 v0, s19, v0
	s_and_b64 vcc, exec, s[0:1]
	v_lshl_add_u64 v[4:5], v[4:5], 2, v[2:3]
	s_cbranch_vccnz .LBB175_23
; %bb.22:
	global_load_dword v9, v[4:5], off
	s_waitcnt vmcnt(0)
	v_fmac_f32_e32 v0, s18, v9
.LBB175_23:
	global_store_dword v[4:5], v0, off
.LBB175_24:
	s_or_b64 exec, exec, s[2:3]
	v_cmp_le_i32_e32 vcc, v8, v6
	s_and_b64 s[2:3], vcc, s[4:5]
	s_and_saveexec_b64 s[4:5], s[2:3]
	s_cbranch_execz .LBB175_28
; %bb.25:
	v_mul_f32_e32 v4, s19, v1
	s_and_b64 vcc, exec, s[0:1]
	v_lshl_add_u64 v[0:1], v[6:7], 2, v[2:3]
	s_cbranch_vccnz .LBB175_27
; %bb.26:
	global_load_dword v2, v[0:1], off
	s_waitcnt vmcnt(0)
	v_fmac_f32_e32 v4, s18, v2
.LBB175_27:
	global_store_dword v[0:1], v4, off
.LBB175_28:
	s_endpgm
	.section	.rodata,"a",@progbits
	.p2align	6, 0x0
	.amdhsa_kernel _ZL29rocblas_internal_gemmt_kernelIlLi16ELi32ELi8ELc84ELc84ELc76ELb0ELb0EffPKfPfEviT_T9_T10_S3_lS5_S3_lS4_T11_S3_li
		.amdhsa_group_segment_fixed_size 2048
		.amdhsa_private_segment_fixed_size 0
		.amdhsa_kernarg_size 108
		.amdhsa_user_sgpr_count 2
		.amdhsa_user_sgpr_dispatch_ptr 0
		.amdhsa_user_sgpr_queue_ptr 0
		.amdhsa_user_sgpr_kernarg_segment_ptr 1
		.amdhsa_user_sgpr_dispatch_id 0
		.amdhsa_user_sgpr_kernarg_preload_length 0
		.amdhsa_user_sgpr_kernarg_preload_offset 0
		.amdhsa_user_sgpr_private_segment_size 0
		.amdhsa_uses_dynamic_stack 0
		.amdhsa_enable_private_segment 0
		.amdhsa_system_sgpr_workgroup_id_x 1
		.amdhsa_system_sgpr_workgroup_id_y 1
		.amdhsa_system_sgpr_workgroup_id_z 1
		.amdhsa_system_sgpr_workgroup_info 0
		.amdhsa_system_vgpr_workitem_id 1
		.amdhsa_next_free_vgpr 50
		.amdhsa_next_free_sgpr 32
		.amdhsa_accum_offset 52
		.amdhsa_reserve_vcc 1
		.amdhsa_float_round_mode_32 0
		.amdhsa_float_round_mode_16_64 0
		.amdhsa_float_denorm_mode_32 3
		.amdhsa_float_denorm_mode_16_64 3
		.amdhsa_dx10_clamp 1
		.amdhsa_ieee_mode 1
		.amdhsa_fp16_overflow 0
		.amdhsa_tg_split 0
		.amdhsa_exception_fp_ieee_invalid_op 0
		.amdhsa_exception_fp_denorm_src 0
		.amdhsa_exception_fp_ieee_div_zero 0
		.amdhsa_exception_fp_ieee_overflow 0
		.amdhsa_exception_fp_ieee_underflow 0
		.amdhsa_exception_fp_ieee_inexact 0
		.amdhsa_exception_int_div_zero 0
	.end_amdhsa_kernel
	.section	.text._ZL29rocblas_internal_gemmt_kernelIlLi16ELi32ELi8ELc84ELc84ELc76ELb0ELb0EffPKfPfEviT_T9_T10_S3_lS5_S3_lS4_T11_S3_li,"axG",@progbits,_ZL29rocblas_internal_gemmt_kernelIlLi16ELi32ELi8ELc84ELc84ELc76ELb0ELb0EffPKfPfEviT_T9_T10_S3_lS5_S3_lS4_T11_S3_li,comdat
.Lfunc_end175:
	.size	_ZL29rocblas_internal_gemmt_kernelIlLi16ELi32ELi8ELc84ELc84ELc76ELb0ELb0EffPKfPfEviT_T9_T10_S3_lS5_S3_lS4_T11_S3_li, .Lfunc_end175-_ZL29rocblas_internal_gemmt_kernelIlLi16ELi32ELi8ELc84ELc84ELc76ELb0ELb0EffPKfPfEviT_T9_T10_S3_lS5_S3_lS4_T11_S3_li
                                        ; -- End function
	.set _ZL29rocblas_internal_gemmt_kernelIlLi16ELi32ELi8ELc84ELc84ELc76ELb0ELb0EffPKfPfEviT_T9_T10_S3_lS5_S3_lS4_T11_S3_li.num_vgpr, 50
	.set _ZL29rocblas_internal_gemmt_kernelIlLi16ELi32ELi8ELc84ELc84ELc76ELb0ELb0EffPKfPfEviT_T9_T10_S3_lS5_S3_lS4_T11_S3_li.num_agpr, 0
	.set _ZL29rocblas_internal_gemmt_kernelIlLi16ELi32ELi8ELc84ELc84ELc76ELb0ELb0EffPKfPfEviT_T9_T10_S3_lS5_S3_lS4_T11_S3_li.numbered_sgpr, 32
	.set _ZL29rocblas_internal_gemmt_kernelIlLi16ELi32ELi8ELc84ELc84ELc76ELb0ELb0EffPKfPfEviT_T9_T10_S3_lS5_S3_lS4_T11_S3_li.num_named_barrier, 0
	.set _ZL29rocblas_internal_gemmt_kernelIlLi16ELi32ELi8ELc84ELc84ELc76ELb0ELb0EffPKfPfEviT_T9_T10_S3_lS5_S3_lS4_T11_S3_li.private_seg_size, 0
	.set _ZL29rocblas_internal_gemmt_kernelIlLi16ELi32ELi8ELc84ELc84ELc76ELb0ELb0EffPKfPfEviT_T9_T10_S3_lS5_S3_lS4_T11_S3_li.uses_vcc, 1
	.set _ZL29rocblas_internal_gemmt_kernelIlLi16ELi32ELi8ELc84ELc84ELc76ELb0ELb0EffPKfPfEviT_T9_T10_S3_lS5_S3_lS4_T11_S3_li.uses_flat_scratch, 0
	.set _ZL29rocblas_internal_gemmt_kernelIlLi16ELi32ELi8ELc84ELc84ELc76ELb0ELb0EffPKfPfEviT_T9_T10_S3_lS5_S3_lS4_T11_S3_li.has_dyn_sized_stack, 0
	.set _ZL29rocblas_internal_gemmt_kernelIlLi16ELi32ELi8ELc84ELc84ELc76ELb0ELb0EffPKfPfEviT_T9_T10_S3_lS5_S3_lS4_T11_S3_li.has_recursion, 0
	.set _ZL29rocblas_internal_gemmt_kernelIlLi16ELi32ELi8ELc84ELc84ELc76ELb0ELb0EffPKfPfEviT_T9_T10_S3_lS5_S3_lS4_T11_S3_li.has_indirect_call, 0
	.section	.AMDGPU.csdata,"",@progbits
; Kernel info:
; codeLenInByte = 1312
; TotalNumSgprs: 38
; NumVgprs: 50
; NumAgprs: 0
; TotalNumVgprs: 50
; ScratchSize: 0
; MemoryBound: 0
; FloatMode: 240
; IeeeMode: 1
; LDSByteSize: 2048 bytes/workgroup (compile time only)
; SGPRBlocks: 4
; VGPRBlocks: 6
; NumSGPRsForWavesPerEU: 38
; NumVGPRsForWavesPerEU: 50
; AccumOffset: 52
; Occupancy: 8
; WaveLimiterHint : 0
; COMPUTE_PGM_RSRC2:SCRATCH_EN: 0
; COMPUTE_PGM_RSRC2:USER_SGPR: 2
; COMPUTE_PGM_RSRC2:TRAP_HANDLER: 0
; COMPUTE_PGM_RSRC2:TGID_X_EN: 1
; COMPUTE_PGM_RSRC2:TGID_Y_EN: 1
; COMPUTE_PGM_RSRC2:TGID_Z_EN: 1
; COMPUTE_PGM_RSRC2:TIDIG_COMP_CNT: 1
; COMPUTE_PGM_RSRC3_GFX90A:ACCUM_OFFSET: 12
; COMPUTE_PGM_RSRC3_GFX90A:TG_SPLIT: 0
	.section	.text._ZL29rocblas_internal_gemmt_kernelIlLi16ELi32ELi8ELc84ELc67ELc76ELb0ELb0EffPKfPfEviT_T9_T10_S3_lS5_S3_lS4_T11_S3_li,"axG",@progbits,_ZL29rocblas_internal_gemmt_kernelIlLi16ELi32ELi8ELc84ELc67ELc76ELb0ELb0EffPKfPfEviT_T9_T10_S3_lS5_S3_lS4_T11_S3_li,comdat
	.globl	_ZL29rocblas_internal_gemmt_kernelIlLi16ELi32ELi8ELc84ELc67ELc76ELb0ELb0EffPKfPfEviT_T9_T10_S3_lS5_S3_lS4_T11_S3_li ; -- Begin function _ZL29rocblas_internal_gemmt_kernelIlLi16ELi32ELi8ELc84ELc67ELc76ELb0ELb0EffPKfPfEviT_T9_T10_S3_lS5_S3_lS4_T11_S3_li
	.p2align	8
	.type	_ZL29rocblas_internal_gemmt_kernelIlLi16ELi32ELi8ELc84ELc67ELc76ELb0ELb0EffPKfPfEviT_T9_T10_S3_lS5_S3_lS4_T11_S3_li,@function
_ZL29rocblas_internal_gemmt_kernelIlLi16ELi32ELi8ELc84ELc67ELc76ELb0ELb0EffPKfPfEviT_T9_T10_S3_lS5_S3_lS4_T11_S3_li: ; @_ZL29rocblas_internal_gemmt_kernelIlLi16ELi32ELi8ELc84ELc67ELc76ELb0ELb0EffPKfPfEviT_T9_T10_S3_lS5_S3_lS4_T11_S3_li
; %bb.0:
	s_load_dword s18, s[0:1], 0x48
	s_load_dwordx2 s[12:13], s[0:1], 0x8
	s_load_dword s19, s[0:1], 0x10
	s_waitcnt lgkmcnt(0)
	v_cmp_neq_f32_e64 s[6:7], s18, 1.0
	s_and_b64 vcc, exec, s[6:7]
	s_cbranch_vccnz .LBB176_2
; %bb.1:
	s_cmp_lg_u64 s[12:13], 0
	s_cselect_b64 s[6:7], -1, 0
	v_cmp_neq_f32_e64 s[8:9], s19, 0
	s_and_b64 s[6:7], s[6:7], s[8:9]
.LBB176_2:
	s_andn2_b64 vcc, exec, s[6:7]
	s_cbranch_vccnz .LBB176_28
; %bb.3:
	s_load_dword s20, s[0:1], 0x0
	s_lshl_b32 s21, s2, 5
	s_lshl_b32 s5, s3, 5
	v_cmp_eq_f32_e64 s[2:3], s19, 0
	v_cmp_lt_i64_e64 s[6:7], s[12:13], 1
	v_mov_b32_e32 v3, 0
	s_or_b64 s[2:3], s[2:3], s[6:7]
	v_and_b32_e32 v7, 0x3ff, v0
	v_bfe_u32 v5, v0, 10, 10
	s_and_b64 vcc, exec, s[2:3]
	v_mov_b32_e32 v2, v3
	v_mov_b32_e32 v1, v3
	v_mov_b32_e32 v0, v3
	s_cbranch_vccnz .LBB176_12
; %bb.4:
	s_load_dwordx8 s[24:31], s[0:1], 0x18
	s_load_dwordx4 s[8:11], s[0:1], 0x38
	v_lshl_add_u32 v1, v5, 4, v7
	v_lshrrev_b32_e32 v6, 5, v1
	v_lshrrev_b32_e32 v10, 3, v1
	v_and_b32_e32 v1, 31, v1
	s_waitcnt lgkmcnt(0)
	s_mul_i32 s2, s11, s4
	s_mul_hi_u32 s3, s10, s4
	s_add_i32 s3, s3, s2
	s_mul_i32 s2, s10, s4
	s_lshl_b64 s[2:3], s[2:3], 2
	s_add_u32 s10, s30, s2
	s_addc_u32 s11, s31, s3
	s_mul_i32 s2, s29, s4
	s_mul_hi_u32 s3, s28, s4
	s_add_i32 s3, s3, s2
	s_mul_i32 s2, s28, s4
	s_lshl_b64 s[2:3], s[2:3], 2
	v_or_b32_e32 v2, s21, v1
	s_add_u32 s6, s24, s2
	v_lshlrev_b32_e32 v1, 2, v1
	s_addc_u32 s7, s25, s3
	v_cmp_gt_i32_e64 s[2:3], s20, v2
	v_lshl_or_b32 v14, v6, 7, v1
	s_ashr_i32 s16, s21, 31
	v_mul_lo_u32 v1, s27, v2
	v_mad_u64_u32 v[2:3], s[14:15], s26, v2, 0
	v_and_b32_e32 v4, 7, v7
	s_mul_i32 s14, s26, s16
	v_add3_u32 v3, v3, s14, v1
	v_lshlrev_b32_e32 v1, 2, v4
	v_add_u32_e32 v0, s5, v10
	v_lshl_or_b32 v1, v10, 5, v1
	v_add_u32_e32 v15, 0x400, v1
	v_ashrrev_i32_e32 v1, 31, v0
	v_lshl_add_u64 v[8:9], v[2:3], 2, s[6:7]
	v_cmp_gt_i32_e64 s[6:7], s20, v0
	v_lshl_add_u64 v[10:11], v[0:1], 2, s[10:11]
	v_mov_b32_e32 v0, 0x400
	v_mov_b32_e32 v13, 0
	v_lshlrev_b32_e32 v16, 2, v7
	v_lshl_add_u32 v17, v5, 5, v0
	s_mov_b64 s[10:11], 0
	v_mov_b32_e32 v0, v13
	v_mov_b32_e32 v1, v13
	v_mov_b32_e32 v2, v13
	v_mov_b32_e32 v3, v13
	s_branch .LBB176_6
.LBB176_5:                              ;   in Loop: Header=BB176_6 Depth=1
	s_or_b64 exec, exec, s[14:15]
	s_waitcnt vmcnt(0)
	ds_write_b32 v15, v18
	s_waitcnt lgkmcnt(0)
	s_barrier
	ds_read_b128 v[18:21], v17
	ds_read_b128 v[22:25], v17 offset:16
	ds_read2_b32 v[34:35], v16 offset1:16
	ds_read2_b32 v[36:37], v16 offset0:32 offset1:48
	ds_read2_b32 v[38:39], v16 offset0:64 offset1:80
	;; [unrolled: 1-line block ×4, first 2 shown]
	ds_read_b128 v[26:29], v17 offset:512
	ds_read_b128 v[30:33], v17 offset:528
	ds_read2_b32 v[44:45], v16 offset0:160 offset1:176
	ds_read2_b32 v[46:47], v16 offset0:192 offset1:208
	;; [unrolled: 1-line block ×3, first 2 shown]
	s_waitcnt lgkmcnt(9)
	v_pk_fma_f32 v[2:3], v[34:35], v[18:19], v[2:3] op_sel_hi:[1,0,1]
	v_mov_b32_e32 v12, v21
	s_waitcnt lgkmcnt(8)
	v_pk_fma_f32 v[2:3], v[36:37], v[18:19], v[2:3] op_sel:[0,1,0]
	s_waitcnt lgkmcnt(4)
	v_pk_fma_f32 v[0:1], v[34:35], v[26:27], v[0:1] op_sel_hi:[1,0,1]
	v_pk_fma_f32 v[2:3], v[38:39], v[20:21], v[2:3] op_sel_hi:[1,0,1]
	v_pk_fma_f32 v[0:1], v[36:37], v[26:27], v[0:1] op_sel:[0,1,0]
	v_pk_fma_f32 v[2:3], v[40:41], v[12:13], v[2:3] op_sel_hi:[1,0,1]
	v_mov_b32_e32 v12, v25
	v_pk_fma_f32 v[2:3], v[42:43], v[22:23], v[2:3] op_sel_hi:[1,0,1]
	v_pk_fma_f32 v[0:1], v[38:39], v[28:29], v[0:1] op_sel_hi:[1,0,1]
	s_waitcnt lgkmcnt(2)
	v_pk_fma_f32 v[2:3], v[44:45], v[22:23], v[2:3] op_sel:[0,1,0]
	s_add_u32 s10, s10, 8
	s_waitcnt lgkmcnt(1)
	v_pk_fma_f32 v[2:3], v[46:47], v[24:25], v[2:3] op_sel_hi:[1,0,1]
	s_addc_u32 s11, s11, 0
	s_waitcnt lgkmcnt(0)
	v_pk_fma_f32 v[2:3], v[48:49], v[12:13], v[2:3] op_sel_hi:[1,0,1]
	v_mov_b32_e32 v12, v29
	v_pk_fma_f32 v[0:1], v[40:41], v[12:13], v[0:1] op_sel_hi:[1,0,1]
	v_mov_b64_e32 v[18:19], s[10:11]
	v_pk_fma_f32 v[0:1], v[42:43], v[30:31], v[0:1] op_sel_hi:[1,0,1]
	v_mov_b32_e32 v12, v33
	v_pk_fma_f32 v[0:1], v[44:45], v[30:31], v[0:1] op_sel:[0,1,0]
	v_cmp_gt_i64_e32 vcc, s[12:13], v[18:19]
	v_pk_fma_f32 v[0:1], v[46:47], v[32:33], v[0:1] op_sel_hi:[1,0,1]
	s_nop 0
	v_pk_fma_f32 v[0:1], v[48:49], v[12:13], v[0:1] op_sel_hi:[1,0,1]
	s_barrier
	s_cbranch_vccz .LBB176_12
.LBB176_6:                              ; =>This Inner Loop Header: Depth=1
	v_mov_b32_e32 v18, 0
	s_and_saveexec_b64 s[14:15], s[2:3]
	s_cbranch_execz .LBB176_10
; %bb.7:                                ;   in Loop: Header=BB176_6 Depth=1
	v_add_u32_e32 v12, s10, v6
	v_cmp_gt_u64_e32 vcc, s[12:13], v[12:13]
	v_mov_b32_e32 v18, 0
	s_and_saveexec_b64 s[16:17], vcc
	s_cbranch_execz .LBB176_9
; %bb.8:                                ;   in Loop: Header=BB176_6 Depth=1
	v_lshl_add_u64 v[18:19], v[12:13], 2, v[8:9]
	global_load_dword v18, v[18:19], off
.LBB176_9:                              ;   in Loop: Header=BB176_6 Depth=1
	s_or_b64 exec, exec, s[16:17]
.LBB176_10:                             ;   in Loop: Header=BB176_6 Depth=1
	s_or_b64 exec, exec, s[14:15]
	v_add_u32_e32 v12, s10, v4
	v_cmp_gt_u64_e32 vcc, s[12:13], v[12:13]
	s_waitcnt vmcnt(0)
	ds_write_b32 v14, v18
	s_and_b64 s[16:17], vcc, s[6:7]
	v_mov_b32_e32 v18, 0
	s_and_saveexec_b64 s[14:15], s[16:17]
	s_cbranch_execz .LBB176_5
; %bb.11:                               ;   in Loop: Header=BB176_6 Depth=1
	v_mad_u64_u32 v[18:19], s[16:17], s8, v12, 0
	v_mov_b32_e32 v20, v19
	v_mad_u64_u32 v[20:21], s[16:17], s9, v12, v[20:21]
	v_mov_b32_e32 v19, v20
	v_lshl_add_u64 v[18:19], v[18:19], 2, v[10:11]
	global_load_dword v18, v[18:19], off
	s_branch .LBB176_5
.LBB176_12:
	s_load_dwordx2 s[2:3], s[0:1], 0x60
	s_load_dwordx4 s[8:11], s[0:1], 0x50
	v_add_u32_e32 v10, s5, v5
	v_ashrrev_i32_e32 v5, 31, v10
	v_add_u32_e32 v4, s21, v7
	s_waitcnt lgkmcnt(0)
	s_mul_i32 s1, s3, s4
	s_mul_hi_u32 s3, s2, s4
	s_mul_i32 s0, s2, s4
	s_add_i32 s1, s3, s1
	s_lshl_b64 s[0:1], s[0:1], 2
	s_add_u32 s6, s8, s0
	s_addc_u32 s7, s9, s1
	v_mul_lo_u32 v5, s10, v5
	v_mul_lo_u32 v8, s11, v10
	v_mad_u64_u32 v[6:7], s[0:1], s10, v10, 0
	v_add3_u32 v7, v7, v5, v8
	v_cmp_neq_f32_e64 s[0:1], s18, 0
	v_lshl_add_u64 v[8:9], v[6:7], 2, s[6:7]
	v_cmp_le_i32_e32 vcc, v10, v4
	v_cmp_gt_i32_e64 s[2:3], s20, v4
	v_cndmask_b32_e64 v6, 0, 1, s[0:1]
	s_and_b64 s[8:9], vcc, s[2:3]
	v_ashrrev_i32_e32 v5, 31, v4
	v_cmp_ne_u32_e64 s[0:1], 1, v6
	s_and_saveexec_b64 s[4:5], s[8:9]
	s_cbranch_execz .LBB176_16
; %bb.13:
	v_mul_f32_e32 v2, s19, v2
	s_and_b64 vcc, exec, s[0:1]
	v_lshl_add_u64 v[6:7], v[4:5], 2, v[8:9]
	s_cbranch_vccnz .LBB176_15
; %bb.14:
	global_load_dword v11, v[6:7], off
	s_waitcnt vmcnt(0)
	v_fmac_f32_e32 v2, s18, v11
.LBB176_15:
	global_store_dword v[6:7], v2, off
.LBB176_16:
	s_or_b64 exec, exec, s[4:5]
	v_add_u32_e32 v6, 16, v4
	v_cmp_le_i32_e32 vcc, v10, v6
	v_cmp_gt_i32_e64 s[4:5], s20, v6
	s_and_b64 s[12:13], vcc, s[4:5]
	v_ashrrev_i32_e32 v7, 31, v6
	s_and_saveexec_b64 s[8:9], s[12:13]
	s_cbranch_execz .LBB176_20
; %bb.17:
	v_mul_f32_e32 v11, s19, v3
	s_and_b64 vcc, exec, s[0:1]
	v_lshl_add_u64 v[2:3], v[6:7], 2, v[8:9]
	s_cbranch_vccnz .LBB176_19
; %bb.18:
	global_load_dword v8, v[2:3], off
	s_waitcnt vmcnt(0)
	v_fmac_f32_e32 v11, s18, v8
.LBB176_19:
	global_store_dword v[2:3], v11, off
.LBB176_20:
	s_or_b64 exec, exec, s[8:9]
	v_add_u32_e32 v8, 16, v10
	v_ashrrev_i32_e32 v2, 31, v8
	v_mul_lo_u32 v9, s10, v2
	v_mul_lo_u32 v10, s11, v8
	v_mad_u64_u32 v[2:3], s[8:9], s10, v8, 0
	v_add3_u32 v3, v3, v9, v10
	v_cmp_le_i32_e32 vcc, v8, v4
	v_lshl_add_u64 v[2:3], v[2:3], 2, s[6:7]
	s_and_b64 s[6:7], vcc, s[2:3]
	s_and_saveexec_b64 s[2:3], s[6:7]
	s_cbranch_execz .LBB176_24
; %bb.21:
	v_mul_f32_e32 v0, s19, v0
	s_and_b64 vcc, exec, s[0:1]
	v_lshl_add_u64 v[4:5], v[4:5], 2, v[2:3]
	s_cbranch_vccnz .LBB176_23
; %bb.22:
	global_load_dword v9, v[4:5], off
	s_waitcnt vmcnt(0)
	v_fmac_f32_e32 v0, s18, v9
.LBB176_23:
	global_store_dword v[4:5], v0, off
.LBB176_24:
	s_or_b64 exec, exec, s[2:3]
	v_cmp_le_i32_e32 vcc, v8, v6
	s_and_b64 s[2:3], vcc, s[4:5]
	s_and_saveexec_b64 s[4:5], s[2:3]
	s_cbranch_execz .LBB176_28
; %bb.25:
	v_mul_f32_e32 v4, s19, v1
	s_and_b64 vcc, exec, s[0:1]
	v_lshl_add_u64 v[0:1], v[6:7], 2, v[2:3]
	s_cbranch_vccnz .LBB176_27
; %bb.26:
	global_load_dword v2, v[0:1], off
	s_waitcnt vmcnt(0)
	v_fmac_f32_e32 v4, s18, v2
.LBB176_27:
	global_store_dword v[0:1], v4, off
.LBB176_28:
	s_endpgm
	.section	.rodata,"a",@progbits
	.p2align	6, 0x0
	.amdhsa_kernel _ZL29rocblas_internal_gemmt_kernelIlLi16ELi32ELi8ELc84ELc67ELc76ELb0ELb0EffPKfPfEviT_T9_T10_S3_lS5_S3_lS4_T11_S3_li
		.amdhsa_group_segment_fixed_size 2048
		.amdhsa_private_segment_fixed_size 0
		.amdhsa_kernarg_size 108
		.amdhsa_user_sgpr_count 2
		.amdhsa_user_sgpr_dispatch_ptr 0
		.amdhsa_user_sgpr_queue_ptr 0
		.amdhsa_user_sgpr_kernarg_segment_ptr 1
		.amdhsa_user_sgpr_dispatch_id 0
		.amdhsa_user_sgpr_kernarg_preload_length 0
		.amdhsa_user_sgpr_kernarg_preload_offset 0
		.amdhsa_user_sgpr_private_segment_size 0
		.amdhsa_uses_dynamic_stack 0
		.amdhsa_enable_private_segment 0
		.amdhsa_system_sgpr_workgroup_id_x 1
		.amdhsa_system_sgpr_workgroup_id_y 1
		.amdhsa_system_sgpr_workgroup_id_z 1
		.amdhsa_system_sgpr_workgroup_info 0
		.amdhsa_system_vgpr_workitem_id 1
		.amdhsa_next_free_vgpr 50
		.amdhsa_next_free_sgpr 32
		.amdhsa_accum_offset 52
		.amdhsa_reserve_vcc 1
		.amdhsa_float_round_mode_32 0
		.amdhsa_float_round_mode_16_64 0
		.amdhsa_float_denorm_mode_32 3
		.amdhsa_float_denorm_mode_16_64 3
		.amdhsa_dx10_clamp 1
		.amdhsa_ieee_mode 1
		.amdhsa_fp16_overflow 0
		.amdhsa_tg_split 0
		.amdhsa_exception_fp_ieee_invalid_op 0
		.amdhsa_exception_fp_denorm_src 0
		.amdhsa_exception_fp_ieee_div_zero 0
		.amdhsa_exception_fp_ieee_overflow 0
		.amdhsa_exception_fp_ieee_underflow 0
		.amdhsa_exception_fp_ieee_inexact 0
		.amdhsa_exception_int_div_zero 0
	.end_amdhsa_kernel
	.section	.text._ZL29rocblas_internal_gemmt_kernelIlLi16ELi32ELi8ELc84ELc67ELc76ELb0ELb0EffPKfPfEviT_T9_T10_S3_lS5_S3_lS4_T11_S3_li,"axG",@progbits,_ZL29rocblas_internal_gemmt_kernelIlLi16ELi32ELi8ELc84ELc67ELc76ELb0ELb0EffPKfPfEviT_T9_T10_S3_lS5_S3_lS4_T11_S3_li,comdat
.Lfunc_end176:
	.size	_ZL29rocblas_internal_gemmt_kernelIlLi16ELi32ELi8ELc84ELc67ELc76ELb0ELb0EffPKfPfEviT_T9_T10_S3_lS5_S3_lS4_T11_S3_li, .Lfunc_end176-_ZL29rocblas_internal_gemmt_kernelIlLi16ELi32ELi8ELc84ELc67ELc76ELb0ELb0EffPKfPfEviT_T9_T10_S3_lS5_S3_lS4_T11_S3_li
                                        ; -- End function
	.set _ZL29rocblas_internal_gemmt_kernelIlLi16ELi32ELi8ELc84ELc67ELc76ELb0ELb0EffPKfPfEviT_T9_T10_S3_lS5_S3_lS4_T11_S3_li.num_vgpr, 50
	.set _ZL29rocblas_internal_gemmt_kernelIlLi16ELi32ELi8ELc84ELc67ELc76ELb0ELb0EffPKfPfEviT_T9_T10_S3_lS5_S3_lS4_T11_S3_li.num_agpr, 0
	.set _ZL29rocblas_internal_gemmt_kernelIlLi16ELi32ELi8ELc84ELc67ELc76ELb0ELb0EffPKfPfEviT_T9_T10_S3_lS5_S3_lS4_T11_S3_li.numbered_sgpr, 32
	.set _ZL29rocblas_internal_gemmt_kernelIlLi16ELi32ELi8ELc84ELc67ELc76ELb0ELb0EffPKfPfEviT_T9_T10_S3_lS5_S3_lS4_T11_S3_li.num_named_barrier, 0
	.set _ZL29rocblas_internal_gemmt_kernelIlLi16ELi32ELi8ELc84ELc67ELc76ELb0ELb0EffPKfPfEviT_T9_T10_S3_lS5_S3_lS4_T11_S3_li.private_seg_size, 0
	.set _ZL29rocblas_internal_gemmt_kernelIlLi16ELi32ELi8ELc84ELc67ELc76ELb0ELb0EffPKfPfEviT_T9_T10_S3_lS5_S3_lS4_T11_S3_li.uses_vcc, 1
	.set _ZL29rocblas_internal_gemmt_kernelIlLi16ELi32ELi8ELc84ELc67ELc76ELb0ELb0EffPKfPfEviT_T9_T10_S3_lS5_S3_lS4_T11_S3_li.uses_flat_scratch, 0
	.set _ZL29rocblas_internal_gemmt_kernelIlLi16ELi32ELi8ELc84ELc67ELc76ELb0ELb0EffPKfPfEviT_T9_T10_S3_lS5_S3_lS4_T11_S3_li.has_dyn_sized_stack, 0
	.set _ZL29rocblas_internal_gemmt_kernelIlLi16ELi32ELi8ELc84ELc67ELc76ELb0ELb0EffPKfPfEviT_T9_T10_S3_lS5_S3_lS4_T11_S3_li.has_recursion, 0
	.set _ZL29rocblas_internal_gemmt_kernelIlLi16ELi32ELi8ELc84ELc67ELc76ELb0ELb0EffPKfPfEviT_T9_T10_S3_lS5_S3_lS4_T11_S3_li.has_indirect_call, 0
	.section	.AMDGPU.csdata,"",@progbits
; Kernel info:
; codeLenInByte = 1312
; TotalNumSgprs: 38
; NumVgprs: 50
; NumAgprs: 0
; TotalNumVgprs: 50
; ScratchSize: 0
; MemoryBound: 0
; FloatMode: 240
; IeeeMode: 1
; LDSByteSize: 2048 bytes/workgroup (compile time only)
; SGPRBlocks: 4
; VGPRBlocks: 6
; NumSGPRsForWavesPerEU: 38
; NumVGPRsForWavesPerEU: 50
; AccumOffset: 52
; Occupancy: 8
; WaveLimiterHint : 0
; COMPUTE_PGM_RSRC2:SCRATCH_EN: 0
; COMPUTE_PGM_RSRC2:USER_SGPR: 2
; COMPUTE_PGM_RSRC2:TRAP_HANDLER: 0
; COMPUTE_PGM_RSRC2:TGID_X_EN: 1
; COMPUTE_PGM_RSRC2:TGID_Y_EN: 1
; COMPUTE_PGM_RSRC2:TGID_Z_EN: 1
; COMPUTE_PGM_RSRC2:TIDIG_COMP_CNT: 1
; COMPUTE_PGM_RSRC3_GFX90A:ACCUM_OFFSET: 12
; COMPUTE_PGM_RSRC3_GFX90A:TG_SPLIT: 0
	.section	.text._ZL29rocblas_internal_gemmt_kernelIlLi16ELi32ELi8ELc67ELc78ELc76ELb0ELb0EffPKfPfEviT_T9_T10_S3_lS5_S3_lS4_T11_S3_li,"axG",@progbits,_ZL29rocblas_internal_gemmt_kernelIlLi16ELi32ELi8ELc67ELc78ELc76ELb0ELb0EffPKfPfEviT_T9_T10_S3_lS5_S3_lS4_T11_S3_li,comdat
	.globl	_ZL29rocblas_internal_gemmt_kernelIlLi16ELi32ELi8ELc67ELc78ELc76ELb0ELb0EffPKfPfEviT_T9_T10_S3_lS5_S3_lS4_T11_S3_li ; -- Begin function _ZL29rocblas_internal_gemmt_kernelIlLi16ELi32ELi8ELc67ELc78ELc76ELb0ELb0EffPKfPfEviT_T9_T10_S3_lS5_S3_lS4_T11_S3_li
	.p2align	8
	.type	_ZL29rocblas_internal_gemmt_kernelIlLi16ELi32ELi8ELc67ELc78ELc76ELb0ELb0EffPKfPfEviT_T9_T10_S3_lS5_S3_lS4_T11_S3_li,@function
_ZL29rocblas_internal_gemmt_kernelIlLi16ELi32ELi8ELc67ELc78ELc76ELb0ELb0EffPKfPfEviT_T9_T10_S3_lS5_S3_lS4_T11_S3_li: ; @_ZL29rocblas_internal_gemmt_kernelIlLi16ELi32ELi8ELc67ELc78ELc76ELb0ELb0EffPKfPfEviT_T9_T10_S3_lS5_S3_lS4_T11_S3_li
; %bb.0:
	s_load_dword s16, s[0:1], 0x48
	s_load_dwordx2 s[8:9], s[0:1], 0x8
	s_load_dword s17, s[0:1], 0x10
	s_waitcnt lgkmcnt(0)
	v_cmp_neq_f32_e64 s[6:7], s16, 1.0
	s_and_b64 vcc, exec, s[6:7]
	s_cbranch_vccnz .LBB177_2
; %bb.1:
	s_cmp_lg_u64 s[8:9], 0
	s_cselect_b64 s[6:7], -1, 0
	v_cmp_neq_f32_e64 s[10:11], s17, 0
	s_and_b64 s[6:7], s[6:7], s[10:11]
.LBB177_2:
	s_andn2_b64 vcc, exec, s[6:7]
	s_cbranch_vccnz .LBB177_28
; %bb.3:
	s_load_dword s18, s[0:1], 0x0
	s_lshl_b32 s19, s2, 5
	s_lshl_b32 s5, s3, 5
	v_cmp_eq_f32_e64 s[2:3], s17, 0
	v_cmp_lt_i64_e64 s[6:7], s[8:9], 1
	v_mov_b32_e32 v3, 0
	s_or_b64 s[2:3], s[2:3], s[6:7]
	v_and_b32_e32 v7, 0x3ff, v0
	v_bfe_u32 v5, v0, 10, 10
	s_and_b64 vcc, exec, s[2:3]
	v_mov_b32_e32 v2, v3
	v_mov_b32_e32 v1, v3
	;; [unrolled: 1-line block ×3, first 2 shown]
	s_cbranch_vccnz .LBB177_12
; %bb.4:
	s_load_dwordx8 s[20:27], s[0:1], 0x18
	s_load_dwordx4 s[12:15], s[0:1], 0x38
	v_lshl_add_u32 v0, v5, 4, v7
	v_lshrrev_b32_e32 v6, 5, v0
	v_lshrrev_b32_e32 v2, 3, v0
	v_and_b32_e32 v0, 31, v0
	s_waitcnt lgkmcnt(0)
	s_mul_i32 s2, s15, s4
	s_mul_hi_u32 s3, s14, s4
	s_add_i32 s3, s3, s2
	s_mul_i32 s2, s14, s4
	s_lshl_b64 s[2:3], s[2:3], 2
	s_add_u32 s10, s26, s2
	s_addc_u32 s11, s27, s3
	s_mul_i32 s2, s25, s4
	s_mul_hi_u32 s3, s24, s4
	s_add_i32 s3, s3, s2
	s_mul_i32 s2, s24, s4
	s_lshl_b64 s[2:3], s[2:3], 2
	v_or_b32_e32 v1, s19, v0
	s_add_u32 s6, s20, s2
	v_lshlrev_b32_e32 v0, 2, v0
	s_addc_u32 s7, s21, s3
	v_cmp_gt_i32_e64 s[2:3], s18, v1
	v_lshl_or_b32 v14, v6, 7, v0
	s_ashr_i32 s20, s19, 31
	v_mul_lo_u32 v8, s23, v1
	v_mad_u64_u32 v[0:1], s[14:15], s22, v1, 0
	s_mul_i32 s14, s22, s20
	v_and_b32_e32 v4, 7, v7
	v_add3_u32 v1, v1, s14, v8
	v_lshl_add_u64 v[8:9], v[0:1], 2, s[6:7]
	v_lshlrev_b32_e32 v0, 2, v4
	v_add_u32_e32 v3, s5, v2
	v_lshl_or_b32 v0, v2, 5, v0
	v_add_u32_e32 v15, 0x400, v0
	v_ashrrev_i32_e32 v0, 31, v3
	v_mul_lo_u32 v2, s12, v0
	v_mul_lo_u32 v10, s13, v3
	v_mad_u64_u32 v[0:1], s[12:13], s12, v3, 0
	v_add3_u32 v1, v1, v2, v10
	v_lshl_add_u64 v[10:11], v[0:1], 2, s[10:11]
	v_mov_b32_e32 v0, 0x400
	v_mov_b32_e32 v13, 0
	v_cmp_gt_i32_e64 s[6:7], s18, v3
	v_lshlrev_b32_e32 v16, 2, v7
	v_lshl_add_u32 v17, v5, 5, v0
	s_mov_b64 s[10:11], 0
	v_mov_b32_e32 v0, v13
	v_mov_b32_e32 v1, v13
	;; [unrolled: 1-line block ×4, first 2 shown]
	s_branch .LBB177_6
.LBB177_5:                              ;   in Loop: Header=BB177_6 Depth=1
	s_or_b64 exec, exec, s[12:13]
	s_waitcnt vmcnt(0)
	ds_write_b32 v15, v18
	s_waitcnt lgkmcnt(0)
	s_barrier
	ds_read_b128 v[18:21], v17
	ds_read_b128 v[22:25], v17 offset:16
	ds_read2_b32 v[34:35], v16 offset1:16
	ds_read2_b32 v[36:37], v16 offset0:32 offset1:48
	ds_read2_b32 v[38:39], v16 offset0:64 offset1:80
	;; [unrolled: 1-line block ×4, first 2 shown]
	ds_read_b128 v[26:29], v17 offset:512
	ds_read_b128 v[30:33], v17 offset:528
	ds_read2_b32 v[44:45], v16 offset0:160 offset1:176
	ds_read2_b32 v[46:47], v16 offset0:192 offset1:208
	;; [unrolled: 1-line block ×3, first 2 shown]
	s_waitcnt lgkmcnt(9)
	v_pk_fma_f32 v[2:3], v[34:35], v[18:19], v[2:3] op_sel_hi:[1,0,1]
	v_mov_b32_e32 v12, v21
	s_waitcnt lgkmcnt(8)
	v_pk_fma_f32 v[2:3], v[36:37], v[18:19], v[2:3] op_sel:[0,1,0]
	s_waitcnt lgkmcnt(4)
	v_pk_fma_f32 v[0:1], v[34:35], v[26:27], v[0:1] op_sel_hi:[1,0,1]
	v_pk_fma_f32 v[2:3], v[38:39], v[20:21], v[2:3] op_sel_hi:[1,0,1]
	v_pk_fma_f32 v[0:1], v[36:37], v[26:27], v[0:1] op_sel:[0,1,0]
	v_pk_fma_f32 v[2:3], v[40:41], v[12:13], v[2:3] op_sel_hi:[1,0,1]
	v_mov_b32_e32 v12, v25
	v_pk_fma_f32 v[2:3], v[42:43], v[22:23], v[2:3] op_sel_hi:[1,0,1]
	v_pk_fma_f32 v[0:1], v[38:39], v[28:29], v[0:1] op_sel_hi:[1,0,1]
	s_waitcnt lgkmcnt(2)
	v_pk_fma_f32 v[2:3], v[44:45], v[22:23], v[2:3] op_sel:[0,1,0]
	s_add_u32 s10, s10, 8
	s_waitcnt lgkmcnt(1)
	v_pk_fma_f32 v[2:3], v[46:47], v[24:25], v[2:3] op_sel_hi:[1,0,1]
	s_addc_u32 s11, s11, 0
	s_waitcnt lgkmcnt(0)
	v_pk_fma_f32 v[2:3], v[48:49], v[12:13], v[2:3] op_sel_hi:[1,0,1]
	v_mov_b32_e32 v12, v29
	v_pk_fma_f32 v[0:1], v[40:41], v[12:13], v[0:1] op_sel_hi:[1,0,1]
	v_mov_b64_e32 v[18:19], s[10:11]
	v_pk_fma_f32 v[0:1], v[42:43], v[30:31], v[0:1] op_sel_hi:[1,0,1]
	v_mov_b32_e32 v12, v33
	v_pk_fma_f32 v[0:1], v[44:45], v[30:31], v[0:1] op_sel:[0,1,0]
	v_cmp_gt_i64_e32 vcc, s[8:9], v[18:19]
	v_pk_fma_f32 v[0:1], v[46:47], v[32:33], v[0:1] op_sel_hi:[1,0,1]
	s_nop 0
	v_pk_fma_f32 v[0:1], v[48:49], v[12:13], v[0:1] op_sel_hi:[1,0,1]
	s_barrier
	s_cbranch_vccz .LBB177_12
.LBB177_6:                              ; =>This Inner Loop Header: Depth=1
	v_mov_b32_e32 v18, 0
	s_and_saveexec_b64 s[12:13], s[2:3]
	s_cbranch_execz .LBB177_10
; %bb.7:                                ;   in Loop: Header=BB177_6 Depth=1
	v_add_u32_e32 v12, s10, v6
	v_cmp_gt_u64_e32 vcc, s[8:9], v[12:13]
	v_mov_b32_e32 v18, 0
	s_and_saveexec_b64 s[14:15], vcc
	s_cbranch_execz .LBB177_9
; %bb.8:                                ;   in Loop: Header=BB177_6 Depth=1
	v_lshl_add_u64 v[18:19], v[12:13], 2, v[8:9]
	global_load_dword v18, v[18:19], off
.LBB177_9:                              ;   in Loop: Header=BB177_6 Depth=1
	s_or_b64 exec, exec, s[14:15]
.LBB177_10:                             ;   in Loop: Header=BB177_6 Depth=1
	s_or_b64 exec, exec, s[12:13]
	v_add_u32_e32 v12, s10, v4
	v_cmp_gt_u64_e32 vcc, s[8:9], v[12:13]
	s_waitcnt vmcnt(0)
	ds_write_b32 v14, v18
	s_and_b64 s[14:15], vcc, s[6:7]
	v_mov_b32_e32 v18, 0
	s_and_saveexec_b64 s[12:13], s[14:15]
	s_cbranch_execz .LBB177_5
; %bb.11:                               ;   in Loop: Header=BB177_6 Depth=1
	v_lshl_add_u64 v[18:19], v[12:13], 2, v[10:11]
	global_load_dword v18, v[18:19], off
	s_branch .LBB177_5
.LBB177_12:
	s_load_dwordx2 s[2:3], s[0:1], 0x60
	s_load_dwordx4 s[8:11], s[0:1], 0x50
	v_add_u32_e32 v10, s5, v5
	v_ashrrev_i32_e32 v5, 31, v10
	v_add_u32_e32 v4, s19, v7
	s_waitcnt lgkmcnt(0)
	s_mul_i32 s1, s3, s4
	s_mul_hi_u32 s3, s2, s4
	s_mul_i32 s0, s2, s4
	s_add_i32 s1, s3, s1
	s_lshl_b64 s[0:1], s[0:1], 2
	s_add_u32 s6, s8, s0
	s_addc_u32 s7, s9, s1
	v_mul_lo_u32 v5, s10, v5
	v_mul_lo_u32 v8, s11, v10
	v_mad_u64_u32 v[6:7], s[0:1], s10, v10, 0
	v_add3_u32 v7, v7, v5, v8
	v_cmp_neq_f32_e64 s[0:1], s16, 0
	v_lshl_add_u64 v[8:9], v[6:7], 2, s[6:7]
	v_cmp_le_i32_e32 vcc, v10, v4
	v_cmp_gt_i32_e64 s[2:3], s18, v4
	v_cndmask_b32_e64 v6, 0, 1, s[0:1]
	s_and_b64 s[8:9], vcc, s[2:3]
	v_ashrrev_i32_e32 v5, 31, v4
	v_cmp_ne_u32_e64 s[0:1], 1, v6
	s_and_saveexec_b64 s[4:5], s[8:9]
	s_cbranch_execz .LBB177_16
; %bb.13:
	v_mul_f32_e32 v2, s17, v2
	s_and_b64 vcc, exec, s[0:1]
	v_lshl_add_u64 v[6:7], v[4:5], 2, v[8:9]
	s_cbranch_vccnz .LBB177_15
; %bb.14:
	global_load_dword v11, v[6:7], off
	s_waitcnt vmcnt(0)
	v_fmac_f32_e32 v2, s16, v11
.LBB177_15:
	global_store_dword v[6:7], v2, off
.LBB177_16:
	s_or_b64 exec, exec, s[4:5]
	v_add_u32_e32 v6, 16, v4
	v_cmp_le_i32_e32 vcc, v10, v6
	v_cmp_gt_i32_e64 s[4:5], s18, v6
	s_and_b64 s[12:13], vcc, s[4:5]
	v_ashrrev_i32_e32 v7, 31, v6
	s_and_saveexec_b64 s[8:9], s[12:13]
	s_cbranch_execz .LBB177_20
; %bb.17:
	v_mul_f32_e32 v11, s17, v3
	s_and_b64 vcc, exec, s[0:1]
	v_lshl_add_u64 v[2:3], v[6:7], 2, v[8:9]
	s_cbranch_vccnz .LBB177_19
; %bb.18:
	global_load_dword v8, v[2:3], off
	s_waitcnt vmcnt(0)
	v_fmac_f32_e32 v11, s16, v8
.LBB177_19:
	global_store_dword v[2:3], v11, off
.LBB177_20:
	s_or_b64 exec, exec, s[8:9]
	v_add_u32_e32 v8, 16, v10
	v_ashrrev_i32_e32 v2, 31, v8
	v_mul_lo_u32 v9, s10, v2
	v_mul_lo_u32 v10, s11, v8
	v_mad_u64_u32 v[2:3], s[8:9], s10, v8, 0
	v_add3_u32 v3, v3, v9, v10
	v_cmp_le_i32_e32 vcc, v8, v4
	v_lshl_add_u64 v[2:3], v[2:3], 2, s[6:7]
	s_and_b64 s[6:7], vcc, s[2:3]
	s_and_saveexec_b64 s[2:3], s[6:7]
	s_cbranch_execz .LBB177_24
; %bb.21:
	v_mul_f32_e32 v0, s17, v0
	s_and_b64 vcc, exec, s[0:1]
	v_lshl_add_u64 v[4:5], v[4:5], 2, v[2:3]
	s_cbranch_vccnz .LBB177_23
; %bb.22:
	global_load_dword v9, v[4:5], off
	s_waitcnt vmcnt(0)
	v_fmac_f32_e32 v0, s16, v9
.LBB177_23:
	global_store_dword v[4:5], v0, off
.LBB177_24:
	s_or_b64 exec, exec, s[2:3]
	v_cmp_le_i32_e32 vcc, v8, v6
	s_and_b64 s[2:3], vcc, s[4:5]
	s_and_saveexec_b64 s[4:5], s[2:3]
	s_cbranch_execz .LBB177_28
; %bb.25:
	v_mul_f32_e32 v4, s17, v1
	s_and_b64 vcc, exec, s[0:1]
	v_lshl_add_u64 v[0:1], v[6:7], 2, v[2:3]
	s_cbranch_vccnz .LBB177_27
; %bb.26:
	global_load_dword v2, v[0:1], off
	s_waitcnt vmcnt(0)
	v_fmac_f32_e32 v4, s16, v2
.LBB177_27:
	global_store_dword v[0:1], v4, off
.LBB177_28:
	s_endpgm
	.section	.rodata,"a",@progbits
	.p2align	6, 0x0
	.amdhsa_kernel _ZL29rocblas_internal_gemmt_kernelIlLi16ELi32ELi8ELc67ELc78ELc76ELb0ELb0EffPKfPfEviT_T9_T10_S3_lS5_S3_lS4_T11_S3_li
		.amdhsa_group_segment_fixed_size 2048
		.amdhsa_private_segment_fixed_size 0
		.amdhsa_kernarg_size 108
		.amdhsa_user_sgpr_count 2
		.amdhsa_user_sgpr_dispatch_ptr 0
		.amdhsa_user_sgpr_queue_ptr 0
		.amdhsa_user_sgpr_kernarg_segment_ptr 1
		.amdhsa_user_sgpr_dispatch_id 0
		.amdhsa_user_sgpr_kernarg_preload_length 0
		.amdhsa_user_sgpr_kernarg_preload_offset 0
		.amdhsa_user_sgpr_private_segment_size 0
		.amdhsa_uses_dynamic_stack 0
		.amdhsa_enable_private_segment 0
		.amdhsa_system_sgpr_workgroup_id_x 1
		.amdhsa_system_sgpr_workgroup_id_y 1
		.amdhsa_system_sgpr_workgroup_id_z 1
		.amdhsa_system_sgpr_workgroup_info 0
		.amdhsa_system_vgpr_workitem_id 1
		.amdhsa_next_free_vgpr 50
		.amdhsa_next_free_sgpr 28
		.amdhsa_accum_offset 52
		.amdhsa_reserve_vcc 1
		.amdhsa_float_round_mode_32 0
		.amdhsa_float_round_mode_16_64 0
		.amdhsa_float_denorm_mode_32 3
		.amdhsa_float_denorm_mode_16_64 3
		.amdhsa_dx10_clamp 1
		.amdhsa_ieee_mode 1
		.amdhsa_fp16_overflow 0
		.amdhsa_tg_split 0
		.amdhsa_exception_fp_ieee_invalid_op 0
		.amdhsa_exception_fp_denorm_src 0
		.amdhsa_exception_fp_ieee_div_zero 0
		.amdhsa_exception_fp_ieee_overflow 0
		.amdhsa_exception_fp_ieee_underflow 0
		.amdhsa_exception_fp_ieee_inexact 0
		.amdhsa_exception_int_div_zero 0
	.end_amdhsa_kernel
	.section	.text._ZL29rocblas_internal_gemmt_kernelIlLi16ELi32ELi8ELc67ELc78ELc76ELb0ELb0EffPKfPfEviT_T9_T10_S3_lS5_S3_lS4_T11_S3_li,"axG",@progbits,_ZL29rocblas_internal_gemmt_kernelIlLi16ELi32ELi8ELc67ELc78ELc76ELb0ELb0EffPKfPfEviT_T9_T10_S3_lS5_S3_lS4_T11_S3_li,comdat
.Lfunc_end177:
	.size	_ZL29rocblas_internal_gemmt_kernelIlLi16ELi32ELi8ELc67ELc78ELc76ELb0ELb0EffPKfPfEviT_T9_T10_S3_lS5_S3_lS4_T11_S3_li, .Lfunc_end177-_ZL29rocblas_internal_gemmt_kernelIlLi16ELi32ELi8ELc67ELc78ELc76ELb0ELb0EffPKfPfEviT_T9_T10_S3_lS5_S3_lS4_T11_S3_li
                                        ; -- End function
	.set _ZL29rocblas_internal_gemmt_kernelIlLi16ELi32ELi8ELc67ELc78ELc76ELb0ELb0EffPKfPfEviT_T9_T10_S3_lS5_S3_lS4_T11_S3_li.num_vgpr, 50
	.set _ZL29rocblas_internal_gemmt_kernelIlLi16ELi32ELi8ELc67ELc78ELc76ELb0ELb0EffPKfPfEviT_T9_T10_S3_lS5_S3_lS4_T11_S3_li.num_agpr, 0
	.set _ZL29rocblas_internal_gemmt_kernelIlLi16ELi32ELi8ELc67ELc78ELc76ELb0ELb0EffPKfPfEviT_T9_T10_S3_lS5_S3_lS4_T11_S3_li.numbered_sgpr, 28
	.set _ZL29rocblas_internal_gemmt_kernelIlLi16ELi32ELi8ELc67ELc78ELc76ELb0ELb0EffPKfPfEviT_T9_T10_S3_lS5_S3_lS4_T11_S3_li.num_named_barrier, 0
	.set _ZL29rocblas_internal_gemmt_kernelIlLi16ELi32ELi8ELc67ELc78ELc76ELb0ELb0EffPKfPfEviT_T9_T10_S3_lS5_S3_lS4_T11_S3_li.private_seg_size, 0
	.set _ZL29rocblas_internal_gemmt_kernelIlLi16ELi32ELi8ELc67ELc78ELc76ELb0ELb0EffPKfPfEviT_T9_T10_S3_lS5_S3_lS4_T11_S3_li.uses_vcc, 1
	.set _ZL29rocblas_internal_gemmt_kernelIlLi16ELi32ELi8ELc67ELc78ELc76ELb0ELb0EffPKfPfEviT_T9_T10_S3_lS5_S3_lS4_T11_S3_li.uses_flat_scratch, 0
	.set _ZL29rocblas_internal_gemmt_kernelIlLi16ELi32ELi8ELc67ELc78ELc76ELb0ELb0EffPKfPfEviT_T9_T10_S3_lS5_S3_lS4_T11_S3_li.has_dyn_sized_stack, 0
	.set _ZL29rocblas_internal_gemmt_kernelIlLi16ELi32ELi8ELc67ELc78ELc76ELb0ELb0EffPKfPfEviT_T9_T10_S3_lS5_S3_lS4_T11_S3_li.has_recursion, 0
	.set _ZL29rocblas_internal_gemmt_kernelIlLi16ELi32ELi8ELc67ELc78ELc76ELb0ELb0EffPKfPfEviT_T9_T10_S3_lS5_S3_lS4_T11_S3_li.has_indirect_call, 0
	.section	.AMDGPU.csdata,"",@progbits
; Kernel info:
; codeLenInByte = 1320
; TotalNumSgprs: 34
; NumVgprs: 50
; NumAgprs: 0
; TotalNumVgprs: 50
; ScratchSize: 0
; MemoryBound: 0
; FloatMode: 240
; IeeeMode: 1
; LDSByteSize: 2048 bytes/workgroup (compile time only)
; SGPRBlocks: 4
; VGPRBlocks: 6
; NumSGPRsForWavesPerEU: 34
; NumVGPRsForWavesPerEU: 50
; AccumOffset: 52
; Occupancy: 8
; WaveLimiterHint : 0
; COMPUTE_PGM_RSRC2:SCRATCH_EN: 0
; COMPUTE_PGM_RSRC2:USER_SGPR: 2
; COMPUTE_PGM_RSRC2:TRAP_HANDLER: 0
; COMPUTE_PGM_RSRC2:TGID_X_EN: 1
; COMPUTE_PGM_RSRC2:TGID_Y_EN: 1
; COMPUTE_PGM_RSRC2:TGID_Z_EN: 1
; COMPUTE_PGM_RSRC2:TIDIG_COMP_CNT: 1
; COMPUTE_PGM_RSRC3_GFX90A:ACCUM_OFFSET: 12
; COMPUTE_PGM_RSRC3_GFX90A:TG_SPLIT: 0
	.section	.text._ZL29rocblas_internal_gemmt_kernelIlLi16ELi32ELi8ELc67ELc84ELc76ELb0ELb0EffPKfPfEviT_T9_T10_S3_lS5_S3_lS4_T11_S3_li,"axG",@progbits,_ZL29rocblas_internal_gemmt_kernelIlLi16ELi32ELi8ELc67ELc84ELc76ELb0ELb0EffPKfPfEviT_T9_T10_S3_lS5_S3_lS4_T11_S3_li,comdat
	.globl	_ZL29rocblas_internal_gemmt_kernelIlLi16ELi32ELi8ELc67ELc84ELc76ELb0ELb0EffPKfPfEviT_T9_T10_S3_lS5_S3_lS4_T11_S3_li ; -- Begin function _ZL29rocblas_internal_gemmt_kernelIlLi16ELi32ELi8ELc67ELc84ELc76ELb0ELb0EffPKfPfEviT_T9_T10_S3_lS5_S3_lS4_T11_S3_li
	.p2align	8
	.type	_ZL29rocblas_internal_gemmt_kernelIlLi16ELi32ELi8ELc67ELc84ELc76ELb0ELb0EffPKfPfEviT_T9_T10_S3_lS5_S3_lS4_T11_S3_li,@function
_ZL29rocblas_internal_gemmt_kernelIlLi16ELi32ELi8ELc67ELc84ELc76ELb0ELb0EffPKfPfEviT_T9_T10_S3_lS5_S3_lS4_T11_S3_li: ; @_ZL29rocblas_internal_gemmt_kernelIlLi16ELi32ELi8ELc67ELc84ELc76ELb0ELb0EffPKfPfEviT_T9_T10_S3_lS5_S3_lS4_T11_S3_li
; %bb.0:
	s_load_dword s18, s[0:1], 0x48
	s_load_dwordx2 s[12:13], s[0:1], 0x8
	s_load_dword s19, s[0:1], 0x10
	s_waitcnt lgkmcnt(0)
	v_cmp_neq_f32_e64 s[6:7], s18, 1.0
	s_and_b64 vcc, exec, s[6:7]
	s_cbranch_vccnz .LBB178_2
; %bb.1:
	s_cmp_lg_u64 s[12:13], 0
	s_cselect_b64 s[6:7], -1, 0
	v_cmp_neq_f32_e64 s[8:9], s19, 0
	s_and_b64 s[6:7], s[6:7], s[8:9]
.LBB178_2:
	s_andn2_b64 vcc, exec, s[6:7]
	s_cbranch_vccnz .LBB178_28
; %bb.3:
	s_load_dword s20, s[0:1], 0x0
	s_lshl_b32 s21, s2, 5
	s_lshl_b32 s5, s3, 5
	v_cmp_eq_f32_e64 s[2:3], s19, 0
	v_cmp_lt_i64_e64 s[6:7], s[12:13], 1
	v_mov_b32_e32 v3, 0
	s_or_b64 s[2:3], s[2:3], s[6:7]
	v_and_b32_e32 v7, 0x3ff, v0
	v_bfe_u32 v5, v0, 10, 10
	s_and_b64 vcc, exec, s[2:3]
	v_mov_b32_e32 v2, v3
	v_mov_b32_e32 v1, v3
	;; [unrolled: 1-line block ×3, first 2 shown]
	s_cbranch_vccnz .LBB178_12
; %bb.4:
	s_load_dwordx8 s[24:31], s[0:1], 0x18
	s_load_dwordx4 s[8:11], s[0:1], 0x38
	v_lshl_add_u32 v1, v5, 4, v7
	v_lshrrev_b32_e32 v6, 5, v1
	v_lshrrev_b32_e32 v10, 3, v1
	v_and_b32_e32 v1, 31, v1
	s_waitcnt lgkmcnt(0)
	s_mul_i32 s2, s11, s4
	s_mul_hi_u32 s3, s10, s4
	s_add_i32 s3, s3, s2
	s_mul_i32 s2, s10, s4
	s_lshl_b64 s[2:3], s[2:3], 2
	s_add_u32 s10, s30, s2
	s_addc_u32 s11, s31, s3
	s_mul_i32 s2, s29, s4
	s_mul_hi_u32 s3, s28, s4
	s_add_i32 s3, s3, s2
	s_mul_i32 s2, s28, s4
	s_lshl_b64 s[2:3], s[2:3], 2
	v_or_b32_e32 v2, s21, v1
	s_add_u32 s6, s24, s2
	v_lshlrev_b32_e32 v1, 2, v1
	s_addc_u32 s7, s25, s3
	v_cmp_gt_i32_e64 s[2:3], s20, v2
	v_lshl_or_b32 v14, v6, 7, v1
	s_ashr_i32 s16, s21, 31
	v_mul_lo_u32 v1, s27, v2
	v_mad_u64_u32 v[2:3], s[14:15], s26, v2, 0
	v_and_b32_e32 v4, 7, v7
	s_mul_i32 s14, s26, s16
	v_add3_u32 v3, v3, s14, v1
	v_lshlrev_b32_e32 v1, 2, v4
	v_add_u32_e32 v0, s5, v10
	v_lshl_or_b32 v1, v10, 5, v1
	v_add_u32_e32 v15, 0x400, v1
	v_ashrrev_i32_e32 v1, 31, v0
	v_lshl_add_u64 v[8:9], v[2:3], 2, s[6:7]
	v_cmp_gt_i32_e64 s[6:7], s20, v0
	v_lshl_add_u64 v[10:11], v[0:1], 2, s[10:11]
	v_mov_b32_e32 v0, 0x400
	v_mov_b32_e32 v13, 0
	v_lshlrev_b32_e32 v16, 2, v7
	v_lshl_add_u32 v17, v5, 5, v0
	s_mov_b64 s[10:11], 0
	v_mov_b32_e32 v0, v13
	v_mov_b32_e32 v1, v13
	;; [unrolled: 1-line block ×4, first 2 shown]
	s_branch .LBB178_6
.LBB178_5:                              ;   in Loop: Header=BB178_6 Depth=1
	s_or_b64 exec, exec, s[14:15]
	s_waitcnt vmcnt(0)
	ds_write_b32 v15, v18
	s_waitcnt lgkmcnt(0)
	s_barrier
	ds_read_b128 v[18:21], v17
	ds_read_b128 v[22:25], v17 offset:16
	ds_read2_b32 v[34:35], v16 offset1:16
	ds_read2_b32 v[36:37], v16 offset0:32 offset1:48
	ds_read2_b32 v[38:39], v16 offset0:64 offset1:80
	;; [unrolled: 1-line block ×4, first 2 shown]
	ds_read_b128 v[26:29], v17 offset:512
	ds_read_b128 v[30:33], v17 offset:528
	ds_read2_b32 v[44:45], v16 offset0:160 offset1:176
	ds_read2_b32 v[46:47], v16 offset0:192 offset1:208
	;; [unrolled: 1-line block ×3, first 2 shown]
	s_waitcnt lgkmcnt(9)
	v_pk_fma_f32 v[2:3], v[34:35], v[18:19], v[2:3] op_sel_hi:[1,0,1]
	v_mov_b32_e32 v12, v21
	s_waitcnt lgkmcnt(8)
	v_pk_fma_f32 v[2:3], v[36:37], v[18:19], v[2:3] op_sel:[0,1,0]
	s_waitcnt lgkmcnt(4)
	v_pk_fma_f32 v[0:1], v[34:35], v[26:27], v[0:1] op_sel_hi:[1,0,1]
	v_pk_fma_f32 v[2:3], v[38:39], v[20:21], v[2:3] op_sel_hi:[1,0,1]
	v_pk_fma_f32 v[0:1], v[36:37], v[26:27], v[0:1] op_sel:[0,1,0]
	v_pk_fma_f32 v[2:3], v[40:41], v[12:13], v[2:3] op_sel_hi:[1,0,1]
	v_mov_b32_e32 v12, v25
	v_pk_fma_f32 v[2:3], v[42:43], v[22:23], v[2:3] op_sel_hi:[1,0,1]
	v_pk_fma_f32 v[0:1], v[38:39], v[28:29], v[0:1] op_sel_hi:[1,0,1]
	s_waitcnt lgkmcnt(2)
	v_pk_fma_f32 v[2:3], v[44:45], v[22:23], v[2:3] op_sel:[0,1,0]
	s_add_u32 s10, s10, 8
	s_waitcnt lgkmcnt(1)
	v_pk_fma_f32 v[2:3], v[46:47], v[24:25], v[2:3] op_sel_hi:[1,0,1]
	s_addc_u32 s11, s11, 0
	s_waitcnt lgkmcnt(0)
	v_pk_fma_f32 v[2:3], v[48:49], v[12:13], v[2:3] op_sel_hi:[1,0,1]
	v_mov_b32_e32 v12, v29
	v_pk_fma_f32 v[0:1], v[40:41], v[12:13], v[0:1] op_sel_hi:[1,0,1]
	v_mov_b64_e32 v[18:19], s[10:11]
	v_pk_fma_f32 v[0:1], v[42:43], v[30:31], v[0:1] op_sel_hi:[1,0,1]
	v_mov_b32_e32 v12, v33
	v_pk_fma_f32 v[0:1], v[44:45], v[30:31], v[0:1] op_sel:[0,1,0]
	v_cmp_gt_i64_e32 vcc, s[12:13], v[18:19]
	v_pk_fma_f32 v[0:1], v[46:47], v[32:33], v[0:1] op_sel_hi:[1,0,1]
	s_nop 0
	v_pk_fma_f32 v[0:1], v[48:49], v[12:13], v[0:1] op_sel_hi:[1,0,1]
	s_barrier
	s_cbranch_vccz .LBB178_12
.LBB178_6:                              ; =>This Inner Loop Header: Depth=1
	v_mov_b32_e32 v18, 0
	s_and_saveexec_b64 s[14:15], s[2:3]
	s_cbranch_execz .LBB178_10
; %bb.7:                                ;   in Loop: Header=BB178_6 Depth=1
	v_add_u32_e32 v12, s10, v6
	v_cmp_gt_u64_e32 vcc, s[12:13], v[12:13]
	v_mov_b32_e32 v18, 0
	s_and_saveexec_b64 s[16:17], vcc
	s_cbranch_execz .LBB178_9
; %bb.8:                                ;   in Loop: Header=BB178_6 Depth=1
	v_lshl_add_u64 v[18:19], v[12:13], 2, v[8:9]
	global_load_dword v18, v[18:19], off
.LBB178_9:                              ;   in Loop: Header=BB178_6 Depth=1
	s_or_b64 exec, exec, s[16:17]
.LBB178_10:                             ;   in Loop: Header=BB178_6 Depth=1
	s_or_b64 exec, exec, s[14:15]
	v_add_u32_e32 v12, s10, v4
	v_cmp_gt_u64_e32 vcc, s[12:13], v[12:13]
	s_waitcnt vmcnt(0)
	ds_write_b32 v14, v18
	s_and_b64 s[16:17], vcc, s[6:7]
	v_mov_b32_e32 v18, 0
	s_and_saveexec_b64 s[14:15], s[16:17]
	s_cbranch_execz .LBB178_5
; %bb.11:                               ;   in Loop: Header=BB178_6 Depth=1
	v_mad_u64_u32 v[18:19], s[16:17], s8, v12, 0
	v_mov_b32_e32 v20, v19
	v_mad_u64_u32 v[20:21], s[16:17], s9, v12, v[20:21]
	v_mov_b32_e32 v19, v20
	v_lshl_add_u64 v[18:19], v[18:19], 2, v[10:11]
	global_load_dword v18, v[18:19], off
	s_branch .LBB178_5
.LBB178_12:
	s_load_dwordx2 s[2:3], s[0:1], 0x60
	s_load_dwordx4 s[8:11], s[0:1], 0x50
	v_add_u32_e32 v10, s5, v5
	v_ashrrev_i32_e32 v5, 31, v10
	v_add_u32_e32 v4, s21, v7
	s_waitcnt lgkmcnt(0)
	s_mul_i32 s1, s3, s4
	s_mul_hi_u32 s3, s2, s4
	s_mul_i32 s0, s2, s4
	s_add_i32 s1, s3, s1
	s_lshl_b64 s[0:1], s[0:1], 2
	s_add_u32 s6, s8, s0
	s_addc_u32 s7, s9, s1
	v_mul_lo_u32 v5, s10, v5
	v_mul_lo_u32 v8, s11, v10
	v_mad_u64_u32 v[6:7], s[0:1], s10, v10, 0
	v_add3_u32 v7, v7, v5, v8
	v_cmp_neq_f32_e64 s[0:1], s18, 0
	v_lshl_add_u64 v[8:9], v[6:7], 2, s[6:7]
	v_cmp_le_i32_e32 vcc, v10, v4
	v_cmp_gt_i32_e64 s[2:3], s20, v4
	v_cndmask_b32_e64 v6, 0, 1, s[0:1]
	s_and_b64 s[8:9], vcc, s[2:3]
	v_ashrrev_i32_e32 v5, 31, v4
	v_cmp_ne_u32_e64 s[0:1], 1, v6
	s_and_saveexec_b64 s[4:5], s[8:9]
	s_cbranch_execz .LBB178_16
; %bb.13:
	v_mul_f32_e32 v2, s19, v2
	s_and_b64 vcc, exec, s[0:1]
	v_lshl_add_u64 v[6:7], v[4:5], 2, v[8:9]
	s_cbranch_vccnz .LBB178_15
; %bb.14:
	global_load_dword v11, v[6:7], off
	s_waitcnt vmcnt(0)
	v_fmac_f32_e32 v2, s18, v11
.LBB178_15:
	global_store_dword v[6:7], v2, off
.LBB178_16:
	s_or_b64 exec, exec, s[4:5]
	v_add_u32_e32 v6, 16, v4
	v_cmp_le_i32_e32 vcc, v10, v6
	v_cmp_gt_i32_e64 s[4:5], s20, v6
	s_and_b64 s[12:13], vcc, s[4:5]
	v_ashrrev_i32_e32 v7, 31, v6
	s_and_saveexec_b64 s[8:9], s[12:13]
	s_cbranch_execz .LBB178_20
; %bb.17:
	v_mul_f32_e32 v11, s19, v3
	s_and_b64 vcc, exec, s[0:1]
	v_lshl_add_u64 v[2:3], v[6:7], 2, v[8:9]
	s_cbranch_vccnz .LBB178_19
; %bb.18:
	global_load_dword v8, v[2:3], off
	s_waitcnt vmcnt(0)
	v_fmac_f32_e32 v11, s18, v8
.LBB178_19:
	global_store_dword v[2:3], v11, off
.LBB178_20:
	s_or_b64 exec, exec, s[8:9]
	v_add_u32_e32 v8, 16, v10
	v_ashrrev_i32_e32 v2, 31, v8
	v_mul_lo_u32 v9, s10, v2
	v_mul_lo_u32 v10, s11, v8
	v_mad_u64_u32 v[2:3], s[8:9], s10, v8, 0
	v_add3_u32 v3, v3, v9, v10
	v_cmp_le_i32_e32 vcc, v8, v4
	v_lshl_add_u64 v[2:3], v[2:3], 2, s[6:7]
	s_and_b64 s[6:7], vcc, s[2:3]
	s_and_saveexec_b64 s[2:3], s[6:7]
	s_cbranch_execz .LBB178_24
; %bb.21:
	v_mul_f32_e32 v0, s19, v0
	s_and_b64 vcc, exec, s[0:1]
	v_lshl_add_u64 v[4:5], v[4:5], 2, v[2:3]
	s_cbranch_vccnz .LBB178_23
; %bb.22:
	global_load_dword v9, v[4:5], off
	s_waitcnt vmcnt(0)
	v_fmac_f32_e32 v0, s18, v9
.LBB178_23:
	global_store_dword v[4:5], v0, off
.LBB178_24:
	s_or_b64 exec, exec, s[2:3]
	v_cmp_le_i32_e32 vcc, v8, v6
	s_and_b64 s[2:3], vcc, s[4:5]
	s_and_saveexec_b64 s[4:5], s[2:3]
	s_cbranch_execz .LBB178_28
; %bb.25:
	v_mul_f32_e32 v4, s19, v1
	s_and_b64 vcc, exec, s[0:1]
	v_lshl_add_u64 v[0:1], v[6:7], 2, v[2:3]
	s_cbranch_vccnz .LBB178_27
; %bb.26:
	global_load_dword v2, v[0:1], off
	s_waitcnt vmcnt(0)
	v_fmac_f32_e32 v4, s18, v2
.LBB178_27:
	global_store_dword v[0:1], v4, off
.LBB178_28:
	s_endpgm
	.section	.rodata,"a",@progbits
	.p2align	6, 0x0
	.amdhsa_kernel _ZL29rocblas_internal_gemmt_kernelIlLi16ELi32ELi8ELc67ELc84ELc76ELb0ELb0EffPKfPfEviT_T9_T10_S3_lS5_S3_lS4_T11_S3_li
		.amdhsa_group_segment_fixed_size 2048
		.amdhsa_private_segment_fixed_size 0
		.amdhsa_kernarg_size 108
		.amdhsa_user_sgpr_count 2
		.amdhsa_user_sgpr_dispatch_ptr 0
		.amdhsa_user_sgpr_queue_ptr 0
		.amdhsa_user_sgpr_kernarg_segment_ptr 1
		.amdhsa_user_sgpr_dispatch_id 0
		.amdhsa_user_sgpr_kernarg_preload_length 0
		.amdhsa_user_sgpr_kernarg_preload_offset 0
		.amdhsa_user_sgpr_private_segment_size 0
		.amdhsa_uses_dynamic_stack 0
		.amdhsa_enable_private_segment 0
		.amdhsa_system_sgpr_workgroup_id_x 1
		.amdhsa_system_sgpr_workgroup_id_y 1
		.amdhsa_system_sgpr_workgroup_id_z 1
		.amdhsa_system_sgpr_workgroup_info 0
		.amdhsa_system_vgpr_workitem_id 1
		.amdhsa_next_free_vgpr 50
		.amdhsa_next_free_sgpr 32
		.amdhsa_accum_offset 52
		.amdhsa_reserve_vcc 1
		.amdhsa_float_round_mode_32 0
		.amdhsa_float_round_mode_16_64 0
		.amdhsa_float_denorm_mode_32 3
		.amdhsa_float_denorm_mode_16_64 3
		.amdhsa_dx10_clamp 1
		.amdhsa_ieee_mode 1
		.amdhsa_fp16_overflow 0
		.amdhsa_tg_split 0
		.amdhsa_exception_fp_ieee_invalid_op 0
		.amdhsa_exception_fp_denorm_src 0
		.amdhsa_exception_fp_ieee_div_zero 0
		.amdhsa_exception_fp_ieee_overflow 0
		.amdhsa_exception_fp_ieee_underflow 0
		.amdhsa_exception_fp_ieee_inexact 0
		.amdhsa_exception_int_div_zero 0
	.end_amdhsa_kernel
	.section	.text._ZL29rocblas_internal_gemmt_kernelIlLi16ELi32ELi8ELc67ELc84ELc76ELb0ELb0EffPKfPfEviT_T9_T10_S3_lS5_S3_lS4_T11_S3_li,"axG",@progbits,_ZL29rocblas_internal_gemmt_kernelIlLi16ELi32ELi8ELc67ELc84ELc76ELb0ELb0EffPKfPfEviT_T9_T10_S3_lS5_S3_lS4_T11_S3_li,comdat
.Lfunc_end178:
	.size	_ZL29rocblas_internal_gemmt_kernelIlLi16ELi32ELi8ELc67ELc84ELc76ELb0ELb0EffPKfPfEviT_T9_T10_S3_lS5_S3_lS4_T11_S3_li, .Lfunc_end178-_ZL29rocblas_internal_gemmt_kernelIlLi16ELi32ELi8ELc67ELc84ELc76ELb0ELb0EffPKfPfEviT_T9_T10_S3_lS5_S3_lS4_T11_S3_li
                                        ; -- End function
	.set _ZL29rocblas_internal_gemmt_kernelIlLi16ELi32ELi8ELc67ELc84ELc76ELb0ELb0EffPKfPfEviT_T9_T10_S3_lS5_S3_lS4_T11_S3_li.num_vgpr, 50
	.set _ZL29rocblas_internal_gemmt_kernelIlLi16ELi32ELi8ELc67ELc84ELc76ELb0ELb0EffPKfPfEviT_T9_T10_S3_lS5_S3_lS4_T11_S3_li.num_agpr, 0
	.set _ZL29rocblas_internal_gemmt_kernelIlLi16ELi32ELi8ELc67ELc84ELc76ELb0ELb0EffPKfPfEviT_T9_T10_S3_lS5_S3_lS4_T11_S3_li.numbered_sgpr, 32
	.set _ZL29rocblas_internal_gemmt_kernelIlLi16ELi32ELi8ELc67ELc84ELc76ELb0ELb0EffPKfPfEviT_T9_T10_S3_lS5_S3_lS4_T11_S3_li.num_named_barrier, 0
	.set _ZL29rocblas_internal_gemmt_kernelIlLi16ELi32ELi8ELc67ELc84ELc76ELb0ELb0EffPKfPfEviT_T9_T10_S3_lS5_S3_lS4_T11_S3_li.private_seg_size, 0
	.set _ZL29rocblas_internal_gemmt_kernelIlLi16ELi32ELi8ELc67ELc84ELc76ELb0ELb0EffPKfPfEviT_T9_T10_S3_lS5_S3_lS4_T11_S3_li.uses_vcc, 1
	.set _ZL29rocblas_internal_gemmt_kernelIlLi16ELi32ELi8ELc67ELc84ELc76ELb0ELb0EffPKfPfEviT_T9_T10_S3_lS5_S3_lS4_T11_S3_li.uses_flat_scratch, 0
	.set _ZL29rocblas_internal_gemmt_kernelIlLi16ELi32ELi8ELc67ELc84ELc76ELb0ELb0EffPKfPfEviT_T9_T10_S3_lS5_S3_lS4_T11_S3_li.has_dyn_sized_stack, 0
	.set _ZL29rocblas_internal_gemmt_kernelIlLi16ELi32ELi8ELc67ELc84ELc76ELb0ELb0EffPKfPfEviT_T9_T10_S3_lS5_S3_lS4_T11_S3_li.has_recursion, 0
	.set _ZL29rocblas_internal_gemmt_kernelIlLi16ELi32ELi8ELc67ELc84ELc76ELb0ELb0EffPKfPfEviT_T9_T10_S3_lS5_S3_lS4_T11_S3_li.has_indirect_call, 0
	.section	.AMDGPU.csdata,"",@progbits
; Kernel info:
; codeLenInByte = 1312
; TotalNumSgprs: 38
; NumVgprs: 50
; NumAgprs: 0
; TotalNumVgprs: 50
; ScratchSize: 0
; MemoryBound: 0
; FloatMode: 240
; IeeeMode: 1
; LDSByteSize: 2048 bytes/workgroup (compile time only)
; SGPRBlocks: 4
; VGPRBlocks: 6
; NumSGPRsForWavesPerEU: 38
; NumVGPRsForWavesPerEU: 50
; AccumOffset: 52
; Occupancy: 8
; WaveLimiterHint : 0
; COMPUTE_PGM_RSRC2:SCRATCH_EN: 0
; COMPUTE_PGM_RSRC2:USER_SGPR: 2
; COMPUTE_PGM_RSRC2:TRAP_HANDLER: 0
; COMPUTE_PGM_RSRC2:TGID_X_EN: 1
; COMPUTE_PGM_RSRC2:TGID_Y_EN: 1
; COMPUTE_PGM_RSRC2:TGID_Z_EN: 1
; COMPUTE_PGM_RSRC2:TIDIG_COMP_CNT: 1
; COMPUTE_PGM_RSRC3_GFX90A:ACCUM_OFFSET: 12
; COMPUTE_PGM_RSRC3_GFX90A:TG_SPLIT: 0
	.section	.text._ZL29rocblas_internal_gemmt_kernelIlLi16ELi32ELi8ELc67ELc67ELc76ELb0ELb0EffPKfPfEviT_T9_T10_S3_lS5_S3_lS4_T11_S3_li,"axG",@progbits,_ZL29rocblas_internal_gemmt_kernelIlLi16ELi32ELi8ELc67ELc67ELc76ELb0ELb0EffPKfPfEviT_T9_T10_S3_lS5_S3_lS4_T11_S3_li,comdat
	.globl	_ZL29rocblas_internal_gemmt_kernelIlLi16ELi32ELi8ELc67ELc67ELc76ELb0ELb0EffPKfPfEviT_T9_T10_S3_lS5_S3_lS4_T11_S3_li ; -- Begin function _ZL29rocblas_internal_gemmt_kernelIlLi16ELi32ELi8ELc67ELc67ELc76ELb0ELb0EffPKfPfEviT_T9_T10_S3_lS5_S3_lS4_T11_S3_li
	.p2align	8
	.type	_ZL29rocblas_internal_gemmt_kernelIlLi16ELi32ELi8ELc67ELc67ELc76ELb0ELb0EffPKfPfEviT_T9_T10_S3_lS5_S3_lS4_T11_S3_li,@function
_ZL29rocblas_internal_gemmt_kernelIlLi16ELi32ELi8ELc67ELc67ELc76ELb0ELb0EffPKfPfEviT_T9_T10_S3_lS5_S3_lS4_T11_S3_li: ; @_ZL29rocblas_internal_gemmt_kernelIlLi16ELi32ELi8ELc67ELc67ELc76ELb0ELb0EffPKfPfEviT_T9_T10_S3_lS5_S3_lS4_T11_S3_li
; %bb.0:
	s_load_dword s18, s[0:1], 0x48
	s_load_dwordx2 s[12:13], s[0:1], 0x8
	s_load_dword s19, s[0:1], 0x10
	s_waitcnt lgkmcnt(0)
	v_cmp_neq_f32_e64 s[6:7], s18, 1.0
	s_and_b64 vcc, exec, s[6:7]
	s_cbranch_vccnz .LBB179_2
; %bb.1:
	s_cmp_lg_u64 s[12:13], 0
	s_cselect_b64 s[6:7], -1, 0
	v_cmp_neq_f32_e64 s[8:9], s19, 0
	s_and_b64 s[6:7], s[6:7], s[8:9]
.LBB179_2:
	s_andn2_b64 vcc, exec, s[6:7]
	s_cbranch_vccnz .LBB179_28
; %bb.3:
	s_load_dword s20, s[0:1], 0x0
	s_lshl_b32 s21, s2, 5
	s_lshl_b32 s5, s3, 5
	v_cmp_eq_f32_e64 s[2:3], s19, 0
	v_cmp_lt_i64_e64 s[6:7], s[12:13], 1
	v_mov_b32_e32 v3, 0
	s_or_b64 s[2:3], s[2:3], s[6:7]
	v_and_b32_e32 v7, 0x3ff, v0
	v_bfe_u32 v5, v0, 10, 10
	s_and_b64 vcc, exec, s[2:3]
	v_mov_b32_e32 v2, v3
	v_mov_b32_e32 v1, v3
	;; [unrolled: 1-line block ×3, first 2 shown]
	s_cbranch_vccnz .LBB179_12
; %bb.4:
	s_load_dwordx8 s[24:31], s[0:1], 0x18
	s_load_dwordx4 s[8:11], s[0:1], 0x38
	v_lshl_add_u32 v1, v5, 4, v7
	v_lshrrev_b32_e32 v6, 5, v1
	v_lshrrev_b32_e32 v10, 3, v1
	v_and_b32_e32 v1, 31, v1
	s_waitcnt lgkmcnt(0)
	s_mul_i32 s2, s11, s4
	s_mul_hi_u32 s3, s10, s4
	s_add_i32 s3, s3, s2
	s_mul_i32 s2, s10, s4
	s_lshl_b64 s[2:3], s[2:3], 2
	s_add_u32 s10, s30, s2
	s_addc_u32 s11, s31, s3
	s_mul_i32 s2, s29, s4
	s_mul_hi_u32 s3, s28, s4
	s_add_i32 s3, s3, s2
	s_mul_i32 s2, s28, s4
	s_lshl_b64 s[2:3], s[2:3], 2
	v_or_b32_e32 v2, s21, v1
	s_add_u32 s6, s24, s2
	v_lshlrev_b32_e32 v1, 2, v1
	s_addc_u32 s7, s25, s3
	v_cmp_gt_i32_e64 s[2:3], s20, v2
	v_lshl_or_b32 v14, v6, 7, v1
	s_ashr_i32 s16, s21, 31
	v_mul_lo_u32 v1, s27, v2
	v_mad_u64_u32 v[2:3], s[14:15], s26, v2, 0
	v_and_b32_e32 v4, 7, v7
	s_mul_i32 s14, s26, s16
	v_add3_u32 v3, v3, s14, v1
	v_lshlrev_b32_e32 v1, 2, v4
	v_add_u32_e32 v0, s5, v10
	v_lshl_or_b32 v1, v10, 5, v1
	v_add_u32_e32 v15, 0x400, v1
	v_ashrrev_i32_e32 v1, 31, v0
	v_lshl_add_u64 v[8:9], v[2:3], 2, s[6:7]
	v_cmp_gt_i32_e64 s[6:7], s20, v0
	v_lshl_add_u64 v[10:11], v[0:1], 2, s[10:11]
	v_mov_b32_e32 v0, 0x400
	v_mov_b32_e32 v13, 0
	v_lshlrev_b32_e32 v16, 2, v7
	v_lshl_add_u32 v17, v5, 5, v0
	s_mov_b64 s[10:11], 0
	v_mov_b32_e32 v0, v13
	v_mov_b32_e32 v1, v13
	;; [unrolled: 1-line block ×4, first 2 shown]
	s_branch .LBB179_6
.LBB179_5:                              ;   in Loop: Header=BB179_6 Depth=1
	s_or_b64 exec, exec, s[14:15]
	s_waitcnt vmcnt(0)
	ds_write_b32 v15, v18
	s_waitcnt lgkmcnt(0)
	s_barrier
	ds_read_b128 v[18:21], v17
	ds_read_b128 v[22:25], v17 offset:16
	ds_read2_b32 v[34:35], v16 offset1:16
	ds_read2_b32 v[36:37], v16 offset0:32 offset1:48
	ds_read2_b32 v[38:39], v16 offset0:64 offset1:80
	;; [unrolled: 1-line block ×4, first 2 shown]
	ds_read_b128 v[26:29], v17 offset:512
	ds_read_b128 v[30:33], v17 offset:528
	ds_read2_b32 v[44:45], v16 offset0:160 offset1:176
	ds_read2_b32 v[46:47], v16 offset0:192 offset1:208
	;; [unrolled: 1-line block ×3, first 2 shown]
	s_waitcnt lgkmcnt(9)
	v_pk_fma_f32 v[2:3], v[34:35], v[18:19], v[2:3] op_sel_hi:[1,0,1]
	v_mov_b32_e32 v12, v21
	s_waitcnt lgkmcnt(8)
	v_pk_fma_f32 v[2:3], v[36:37], v[18:19], v[2:3] op_sel:[0,1,0]
	s_waitcnt lgkmcnt(4)
	v_pk_fma_f32 v[0:1], v[34:35], v[26:27], v[0:1] op_sel_hi:[1,0,1]
	v_pk_fma_f32 v[2:3], v[38:39], v[20:21], v[2:3] op_sel_hi:[1,0,1]
	v_pk_fma_f32 v[0:1], v[36:37], v[26:27], v[0:1] op_sel:[0,1,0]
	v_pk_fma_f32 v[2:3], v[40:41], v[12:13], v[2:3] op_sel_hi:[1,0,1]
	v_mov_b32_e32 v12, v25
	v_pk_fma_f32 v[2:3], v[42:43], v[22:23], v[2:3] op_sel_hi:[1,0,1]
	v_pk_fma_f32 v[0:1], v[38:39], v[28:29], v[0:1] op_sel_hi:[1,0,1]
	s_waitcnt lgkmcnt(2)
	v_pk_fma_f32 v[2:3], v[44:45], v[22:23], v[2:3] op_sel:[0,1,0]
	s_add_u32 s10, s10, 8
	s_waitcnt lgkmcnt(1)
	v_pk_fma_f32 v[2:3], v[46:47], v[24:25], v[2:3] op_sel_hi:[1,0,1]
	s_addc_u32 s11, s11, 0
	s_waitcnt lgkmcnt(0)
	v_pk_fma_f32 v[2:3], v[48:49], v[12:13], v[2:3] op_sel_hi:[1,0,1]
	v_mov_b32_e32 v12, v29
	v_pk_fma_f32 v[0:1], v[40:41], v[12:13], v[0:1] op_sel_hi:[1,0,1]
	v_mov_b64_e32 v[18:19], s[10:11]
	v_pk_fma_f32 v[0:1], v[42:43], v[30:31], v[0:1] op_sel_hi:[1,0,1]
	v_mov_b32_e32 v12, v33
	v_pk_fma_f32 v[0:1], v[44:45], v[30:31], v[0:1] op_sel:[0,1,0]
	v_cmp_gt_i64_e32 vcc, s[12:13], v[18:19]
	v_pk_fma_f32 v[0:1], v[46:47], v[32:33], v[0:1] op_sel_hi:[1,0,1]
	s_nop 0
	v_pk_fma_f32 v[0:1], v[48:49], v[12:13], v[0:1] op_sel_hi:[1,0,1]
	s_barrier
	s_cbranch_vccz .LBB179_12
.LBB179_6:                              ; =>This Inner Loop Header: Depth=1
	v_mov_b32_e32 v18, 0
	s_and_saveexec_b64 s[14:15], s[2:3]
	s_cbranch_execz .LBB179_10
; %bb.7:                                ;   in Loop: Header=BB179_6 Depth=1
	v_add_u32_e32 v12, s10, v6
	v_cmp_gt_u64_e32 vcc, s[12:13], v[12:13]
	v_mov_b32_e32 v18, 0
	s_and_saveexec_b64 s[16:17], vcc
	s_cbranch_execz .LBB179_9
; %bb.8:                                ;   in Loop: Header=BB179_6 Depth=1
	v_lshl_add_u64 v[18:19], v[12:13], 2, v[8:9]
	global_load_dword v18, v[18:19], off
.LBB179_9:                              ;   in Loop: Header=BB179_6 Depth=1
	s_or_b64 exec, exec, s[16:17]
.LBB179_10:                             ;   in Loop: Header=BB179_6 Depth=1
	s_or_b64 exec, exec, s[14:15]
	v_add_u32_e32 v12, s10, v4
	v_cmp_gt_u64_e32 vcc, s[12:13], v[12:13]
	s_waitcnt vmcnt(0)
	ds_write_b32 v14, v18
	s_and_b64 s[16:17], vcc, s[6:7]
	v_mov_b32_e32 v18, 0
	s_and_saveexec_b64 s[14:15], s[16:17]
	s_cbranch_execz .LBB179_5
; %bb.11:                               ;   in Loop: Header=BB179_6 Depth=1
	v_mad_u64_u32 v[18:19], s[16:17], s8, v12, 0
	v_mov_b32_e32 v20, v19
	v_mad_u64_u32 v[20:21], s[16:17], s9, v12, v[20:21]
	v_mov_b32_e32 v19, v20
	v_lshl_add_u64 v[18:19], v[18:19], 2, v[10:11]
	global_load_dword v18, v[18:19], off
	s_branch .LBB179_5
.LBB179_12:
	s_load_dwordx2 s[2:3], s[0:1], 0x60
	s_load_dwordx4 s[8:11], s[0:1], 0x50
	v_add_u32_e32 v10, s5, v5
	v_ashrrev_i32_e32 v5, 31, v10
	v_add_u32_e32 v4, s21, v7
	s_waitcnt lgkmcnt(0)
	s_mul_i32 s1, s3, s4
	s_mul_hi_u32 s3, s2, s4
	s_mul_i32 s0, s2, s4
	s_add_i32 s1, s3, s1
	s_lshl_b64 s[0:1], s[0:1], 2
	s_add_u32 s6, s8, s0
	s_addc_u32 s7, s9, s1
	v_mul_lo_u32 v5, s10, v5
	v_mul_lo_u32 v8, s11, v10
	v_mad_u64_u32 v[6:7], s[0:1], s10, v10, 0
	v_add3_u32 v7, v7, v5, v8
	v_cmp_neq_f32_e64 s[0:1], s18, 0
	v_lshl_add_u64 v[8:9], v[6:7], 2, s[6:7]
	v_cmp_le_i32_e32 vcc, v10, v4
	v_cmp_gt_i32_e64 s[2:3], s20, v4
	v_cndmask_b32_e64 v6, 0, 1, s[0:1]
	s_and_b64 s[8:9], vcc, s[2:3]
	v_ashrrev_i32_e32 v5, 31, v4
	v_cmp_ne_u32_e64 s[0:1], 1, v6
	s_and_saveexec_b64 s[4:5], s[8:9]
	s_cbranch_execz .LBB179_16
; %bb.13:
	v_mul_f32_e32 v2, s19, v2
	s_and_b64 vcc, exec, s[0:1]
	v_lshl_add_u64 v[6:7], v[4:5], 2, v[8:9]
	s_cbranch_vccnz .LBB179_15
; %bb.14:
	global_load_dword v11, v[6:7], off
	s_waitcnt vmcnt(0)
	v_fmac_f32_e32 v2, s18, v11
.LBB179_15:
	global_store_dword v[6:7], v2, off
.LBB179_16:
	s_or_b64 exec, exec, s[4:5]
	v_add_u32_e32 v6, 16, v4
	v_cmp_le_i32_e32 vcc, v10, v6
	v_cmp_gt_i32_e64 s[4:5], s20, v6
	s_and_b64 s[12:13], vcc, s[4:5]
	v_ashrrev_i32_e32 v7, 31, v6
	s_and_saveexec_b64 s[8:9], s[12:13]
	s_cbranch_execz .LBB179_20
; %bb.17:
	v_mul_f32_e32 v11, s19, v3
	s_and_b64 vcc, exec, s[0:1]
	v_lshl_add_u64 v[2:3], v[6:7], 2, v[8:9]
	s_cbranch_vccnz .LBB179_19
; %bb.18:
	global_load_dword v8, v[2:3], off
	s_waitcnt vmcnt(0)
	v_fmac_f32_e32 v11, s18, v8
.LBB179_19:
	global_store_dword v[2:3], v11, off
.LBB179_20:
	s_or_b64 exec, exec, s[8:9]
	v_add_u32_e32 v8, 16, v10
	v_ashrrev_i32_e32 v2, 31, v8
	v_mul_lo_u32 v9, s10, v2
	v_mul_lo_u32 v10, s11, v8
	v_mad_u64_u32 v[2:3], s[8:9], s10, v8, 0
	v_add3_u32 v3, v3, v9, v10
	v_cmp_le_i32_e32 vcc, v8, v4
	v_lshl_add_u64 v[2:3], v[2:3], 2, s[6:7]
	s_and_b64 s[6:7], vcc, s[2:3]
	s_and_saveexec_b64 s[2:3], s[6:7]
	s_cbranch_execz .LBB179_24
; %bb.21:
	v_mul_f32_e32 v0, s19, v0
	s_and_b64 vcc, exec, s[0:1]
	v_lshl_add_u64 v[4:5], v[4:5], 2, v[2:3]
	s_cbranch_vccnz .LBB179_23
; %bb.22:
	global_load_dword v9, v[4:5], off
	s_waitcnt vmcnt(0)
	v_fmac_f32_e32 v0, s18, v9
.LBB179_23:
	global_store_dword v[4:5], v0, off
.LBB179_24:
	s_or_b64 exec, exec, s[2:3]
	v_cmp_le_i32_e32 vcc, v8, v6
	s_and_b64 s[2:3], vcc, s[4:5]
	s_and_saveexec_b64 s[4:5], s[2:3]
	s_cbranch_execz .LBB179_28
; %bb.25:
	v_mul_f32_e32 v4, s19, v1
	s_and_b64 vcc, exec, s[0:1]
	v_lshl_add_u64 v[0:1], v[6:7], 2, v[2:3]
	s_cbranch_vccnz .LBB179_27
; %bb.26:
	global_load_dword v2, v[0:1], off
	s_waitcnt vmcnt(0)
	v_fmac_f32_e32 v4, s18, v2
.LBB179_27:
	global_store_dword v[0:1], v4, off
.LBB179_28:
	s_endpgm
	.section	.rodata,"a",@progbits
	.p2align	6, 0x0
	.amdhsa_kernel _ZL29rocblas_internal_gemmt_kernelIlLi16ELi32ELi8ELc67ELc67ELc76ELb0ELb0EffPKfPfEviT_T9_T10_S3_lS5_S3_lS4_T11_S3_li
		.amdhsa_group_segment_fixed_size 2048
		.amdhsa_private_segment_fixed_size 0
		.amdhsa_kernarg_size 108
		.amdhsa_user_sgpr_count 2
		.amdhsa_user_sgpr_dispatch_ptr 0
		.amdhsa_user_sgpr_queue_ptr 0
		.amdhsa_user_sgpr_kernarg_segment_ptr 1
		.amdhsa_user_sgpr_dispatch_id 0
		.amdhsa_user_sgpr_kernarg_preload_length 0
		.amdhsa_user_sgpr_kernarg_preload_offset 0
		.amdhsa_user_sgpr_private_segment_size 0
		.amdhsa_uses_dynamic_stack 0
		.amdhsa_enable_private_segment 0
		.amdhsa_system_sgpr_workgroup_id_x 1
		.amdhsa_system_sgpr_workgroup_id_y 1
		.amdhsa_system_sgpr_workgroup_id_z 1
		.amdhsa_system_sgpr_workgroup_info 0
		.amdhsa_system_vgpr_workitem_id 1
		.amdhsa_next_free_vgpr 50
		.amdhsa_next_free_sgpr 32
		.amdhsa_accum_offset 52
		.amdhsa_reserve_vcc 1
		.amdhsa_float_round_mode_32 0
		.amdhsa_float_round_mode_16_64 0
		.amdhsa_float_denorm_mode_32 3
		.amdhsa_float_denorm_mode_16_64 3
		.amdhsa_dx10_clamp 1
		.amdhsa_ieee_mode 1
		.amdhsa_fp16_overflow 0
		.amdhsa_tg_split 0
		.amdhsa_exception_fp_ieee_invalid_op 0
		.amdhsa_exception_fp_denorm_src 0
		.amdhsa_exception_fp_ieee_div_zero 0
		.amdhsa_exception_fp_ieee_overflow 0
		.amdhsa_exception_fp_ieee_underflow 0
		.amdhsa_exception_fp_ieee_inexact 0
		.amdhsa_exception_int_div_zero 0
	.end_amdhsa_kernel
	.section	.text._ZL29rocblas_internal_gemmt_kernelIlLi16ELi32ELi8ELc67ELc67ELc76ELb0ELb0EffPKfPfEviT_T9_T10_S3_lS5_S3_lS4_T11_S3_li,"axG",@progbits,_ZL29rocblas_internal_gemmt_kernelIlLi16ELi32ELi8ELc67ELc67ELc76ELb0ELb0EffPKfPfEviT_T9_T10_S3_lS5_S3_lS4_T11_S3_li,comdat
.Lfunc_end179:
	.size	_ZL29rocblas_internal_gemmt_kernelIlLi16ELi32ELi8ELc67ELc67ELc76ELb0ELb0EffPKfPfEviT_T9_T10_S3_lS5_S3_lS4_T11_S3_li, .Lfunc_end179-_ZL29rocblas_internal_gemmt_kernelIlLi16ELi32ELi8ELc67ELc67ELc76ELb0ELb0EffPKfPfEviT_T9_T10_S3_lS5_S3_lS4_T11_S3_li
                                        ; -- End function
	.set _ZL29rocblas_internal_gemmt_kernelIlLi16ELi32ELi8ELc67ELc67ELc76ELb0ELb0EffPKfPfEviT_T9_T10_S3_lS5_S3_lS4_T11_S3_li.num_vgpr, 50
	.set _ZL29rocblas_internal_gemmt_kernelIlLi16ELi32ELi8ELc67ELc67ELc76ELb0ELb0EffPKfPfEviT_T9_T10_S3_lS5_S3_lS4_T11_S3_li.num_agpr, 0
	.set _ZL29rocblas_internal_gemmt_kernelIlLi16ELi32ELi8ELc67ELc67ELc76ELb0ELb0EffPKfPfEviT_T9_T10_S3_lS5_S3_lS4_T11_S3_li.numbered_sgpr, 32
	.set _ZL29rocblas_internal_gemmt_kernelIlLi16ELi32ELi8ELc67ELc67ELc76ELb0ELb0EffPKfPfEviT_T9_T10_S3_lS5_S3_lS4_T11_S3_li.num_named_barrier, 0
	.set _ZL29rocblas_internal_gemmt_kernelIlLi16ELi32ELi8ELc67ELc67ELc76ELb0ELb0EffPKfPfEviT_T9_T10_S3_lS5_S3_lS4_T11_S3_li.private_seg_size, 0
	.set _ZL29rocblas_internal_gemmt_kernelIlLi16ELi32ELi8ELc67ELc67ELc76ELb0ELb0EffPKfPfEviT_T9_T10_S3_lS5_S3_lS4_T11_S3_li.uses_vcc, 1
	.set _ZL29rocblas_internal_gemmt_kernelIlLi16ELi32ELi8ELc67ELc67ELc76ELb0ELb0EffPKfPfEviT_T9_T10_S3_lS5_S3_lS4_T11_S3_li.uses_flat_scratch, 0
	.set _ZL29rocblas_internal_gemmt_kernelIlLi16ELi32ELi8ELc67ELc67ELc76ELb0ELb0EffPKfPfEviT_T9_T10_S3_lS5_S3_lS4_T11_S3_li.has_dyn_sized_stack, 0
	.set _ZL29rocblas_internal_gemmt_kernelIlLi16ELi32ELi8ELc67ELc67ELc76ELb0ELb0EffPKfPfEviT_T9_T10_S3_lS5_S3_lS4_T11_S3_li.has_recursion, 0
	.set _ZL29rocblas_internal_gemmt_kernelIlLi16ELi32ELi8ELc67ELc67ELc76ELb0ELb0EffPKfPfEviT_T9_T10_S3_lS5_S3_lS4_T11_S3_li.has_indirect_call, 0
	.section	.AMDGPU.csdata,"",@progbits
; Kernel info:
; codeLenInByte = 1312
; TotalNumSgprs: 38
; NumVgprs: 50
; NumAgprs: 0
; TotalNumVgprs: 50
; ScratchSize: 0
; MemoryBound: 0
; FloatMode: 240
; IeeeMode: 1
; LDSByteSize: 2048 bytes/workgroup (compile time only)
; SGPRBlocks: 4
; VGPRBlocks: 6
; NumSGPRsForWavesPerEU: 38
; NumVGPRsForWavesPerEU: 50
; AccumOffset: 52
; Occupancy: 8
; WaveLimiterHint : 0
; COMPUTE_PGM_RSRC2:SCRATCH_EN: 0
; COMPUTE_PGM_RSRC2:USER_SGPR: 2
; COMPUTE_PGM_RSRC2:TRAP_HANDLER: 0
; COMPUTE_PGM_RSRC2:TGID_X_EN: 1
; COMPUTE_PGM_RSRC2:TGID_Y_EN: 1
; COMPUTE_PGM_RSRC2:TGID_Z_EN: 1
; COMPUTE_PGM_RSRC2:TIDIG_COMP_CNT: 1
; COMPUTE_PGM_RSRC3_GFX90A:ACCUM_OFFSET: 12
; COMPUTE_PGM_RSRC3_GFX90A:TG_SPLIT: 0
	.section	.text._ZL29rocblas_internal_gemmt_kernelIlLi16ELi32ELi8ELc78ELc78ELc85ELb0ELb0EdPKdS1_PdEviT_T9_T10_S3_lS5_S3_lS4_T11_S3_li,"axG",@progbits,_ZL29rocblas_internal_gemmt_kernelIlLi16ELi32ELi8ELc78ELc78ELc85ELb0ELb0EdPKdS1_PdEviT_T9_T10_S3_lS5_S3_lS4_T11_S3_li,comdat
	.globl	_ZL29rocblas_internal_gemmt_kernelIlLi16ELi32ELi8ELc78ELc78ELc85ELb0ELb0EdPKdS1_PdEviT_T9_T10_S3_lS5_S3_lS4_T11_S3_li ; -- Begin function _ZL29rocblas_internal_gemmt_kernelIlLi16ELi32ELi8ELc78ELc78ELc85ELb0ELb0EdPKdS1_PdEviT_T9_T10_S3_lS5_S3_lS4_T11_S3_li
	.p2align	8
	.type	_ZL29rocblas_internal_gemmt_kernelIlLi16ELi32ELi8ELc78ELc78ELc85ELb0ELb0EdPKdS1_PdEviT_T9_T10_S3_lS5_S3_lS4_T11_S3_li,@function
_ZL29rocblas_internal_gemmt_kernelIlLi16ELi32ELi8ELc78ELc78ELc85ELb0ELb0EdPKdS1_PdEviT_T9_T10_S3_lS5_S3_lS4_T11_S3_li: ; @_ZL29rocblas_internal_gemmt_kernelIlLi16ELi32ELi8ELc78ELc78ELc85ELb0ELb0EdPKdS1_PdEviT_T9_T10_S3_lS5_S3_lS4_T11_S3_li
; %bb.0:
	s_load_dwordx8 s[24:31], s[0:1], 0x48
	s_load_dwordx16 s[8:23], s[0:1], 0x8
	s_waitcnt lgkmcnt(0)
	s_load_dwordx2 s[6:7], s[24:25], 0x0
	s_load_dwordx2 s[34:35], s[10:11], 0x0
	s_waitcnt lgkmcnt(0)
	v_cmp_neq_f64_e64 s[10:11], s[6:7], 1.0
	s_and_b64 vcc, exec, s[10:11]
	s_cbranch_vccnz .LBB180_2
; %bb.1:
	s_cmp_lg_u64 s[8:9], 0
	s_cselect_b64 s[10:11], -1, 0
	v_cmp_neq_f64_e64 s[24:25], s[34:35], 0
	s_and_b64 s[10:11], s[10:11], s[24:25]
.LBB180_2:
	s_andn2_b64 vcc, exec, s[10:11]
	s_cbranch_vccnz .LBB180_28
; %bb.3:
	s_load_dword s24, s[0:1], 0x0
	s_lshl_b32 s25, s2, 5
	s_lshl_b32 s33, s3, 5
	v_cmp_eq_f64_e64 s[0:1], s[34:35], 0
	v_cmp_lt_i64_e64 s[2:3], s[8:9], 1
	s_or_b64 s[0:1], s[0:1], s[2:3]
	v_and_b32_e32 v7, 0x3ff, v0
	v_bfe_u32 v11, v0, 10, 10
	v_mov_b64_e32 v[8:9], 0
	s_and_b64 vcc, exec, s[0:1]
	v_mov_b64_e32 v[4:5], 0
	v_mov_b64_e32 v[2:3], 0
	;; [unrolled: 1-line block ×3, first 2 shown]
	s_cbranch_vccnz .LBB180_12
; %bb.4:
	s_mul_i32 s0, s23, s4
	s_mul_hi_u32 s1, s22, s4
	s_add_i32 s1, s1, s0
	s_mul_i32 s0, s22, s4
	s_lshl_b64 s[0:1], s[0:1], 3
	s_add_u32 s10, s18, s0
	s_addc_u32 s11, s19, s1
	s_mul_i32 s0, s17, s4
	s_mul_hi_u32 s1, s16, s4
	v_lshl_add_u32 v0, v11, 4, v7
	s_add_i32 s1, s1, s0
	s_mul_i32 s0, s16, s4
	v_and_b32_e32 v1, 31, v0
	s_lshl_b64 s[0:1], s[0:1], 3
	v_lshrrev_b32_e32 v10, 5, v0
	v_lshrrev_b32_e32 v2, 3, v0
	v_or_b32_e32 v0, s25, v1
	s_add_u32 s2, s12, s0
	v_lshlrev_b32_e32 v1, 3, v1
	v_and_b32_e32 v6, 7, v7
	s_addc_u32 s3, s13, s1
	v_lshl_or_b32 v18, v10, 8, v1
	v_ashrrev_i32_e32 v1, 31, v0
	s_waitcnt lgkmcnt(0)
	v_cmp_gt_i32_e64 s[0:1], s24, v0
	v_lshl_add_u64 v[12:13], v[0:1], 3, s[2:3]
	v_lshlrev_b32_e32 v0, 3, v6
	v_add_u32_e32 v3, s33, v2
	v_lshl_or_b32 v0, v2, 6, v0
	v_add_u32_e32 v19, 0x800, v0
	v_ashrrev_i32_e32 v0, 31, v3
	v_mul_lo_u32 v2, s20, v0
	v_mul_lo_u32 v4, s21, v3
	v_mad_u64_u32 v[0:1], s[12:13], s20, v3, 0
	v_add3_u32 v1, v1, v2, v4
	v_lshl_add_u64 v[14:15], v[0:1], 3, s[10:11]
	v_mov_b32_e32 v0, 0x800
	v_cmp_gt_i32_e64 s[2:3], s24, v3
	v_lshlrev_b32_e32 v20, 3, v7
	v_lshl_add_u32 v21, v11, 6, v0
	v_mov_b32_e32 v17, 0
	v_mov_b64_e32 v[0:1], 0
	s_mov_b64 s[10:11], 0
	v_mov_b64_e32 v[2:3], 0
	v_mov_b64_e32 v[4:5], 0
	;; [unrolled: 1-line block ×3, first 2 shown]
	s_branch .LBB180_6
.LBB180_5:                              ;   in Loop: Header=BB180_6 Depth=1
	s_or_b64 exec, exec, s[12:13]
	s_waitcnt vmcnt(0)
	ds_write_b64 v19, v[22:23]
	s_waitcnt lgkmcnt(0)
	s_barrier
	ds_read2_b64 v[22:25], v20 offset1:16
	ds_read_b128 v[26:29], v21
	ds_read_b128 v[30:33], v21 offset:16
	ds_read_b128 v[34:37], v21 offset:32
	;; [unrolled: 1-line block ×4, first 2 shown]
	ds_read2_b64 v[46:49], v20 offset0:32 offset1:48
	s_waitcnt lgkmcnt(5)
	v_fmac_f64_e32 v[8:9], v[22:23], v[26:27]
	v_fmac_f64_e32 v[4:5], v[24:25], v[26:27]
	ds_read_b128 v[50:53], v21 offset:1040
	s_waitcnt lgkmcnt(2)
	v_fmac_f64_e32 v[2:3], v[22:23], v[42:43]
	v_fmac_f64_e32 v[0:1], v[24:25], v[42:43]
	ds_read2_b64 v[22:25], v20 offset0:64 offset1:80
	s_waitcnt lgkmcnt(2)
	v_fmac_f64_e32 v[8:9], v[46:47], v[28:29]
	v_fmac_f64_e32 v[4:5], v[48:49], v[28:29]
	ds_read2_b64 v[26:29], v20 offset0:96 offset1:112
	v_fmac_f64_e32 v[2:3], v[46:47], v[44:45]
	v_fmac_f64_e32 v[0:1], v[48:49], v[44:45]
	s_waitcnt lgkmcnt(1)
	v_fmac_f64_e32 v[8:9], v[22:23], v[30:31]
	v_fmac_f64_e32 v[4:5], v[24:25], v[30:31]
	ds_read_b128 v[42:45], v21 offset:1072
	v_fmac_f64_e32 v[2:3], v[22:23], v[50:51]
	v_fmac_f64_e32 v[0:1], v[24:25], v[50:51]
	s_waitcnt lgkmcnt(1)
	v_fmac_f64_e32 v[8:9], v[26:27], v[32:33]
	ds_read2_b64 v[22:25], v20 offset0:128 offset1:144
	v_fmac_f64_e32 v[4:5], v[28:29], v[32:33]
	v_fmac_f64_e32 v[2:3], v[26:27], v[52:53]
	;; [unrolled: 1-line block ×3, first 2 shown]
	ds_read_b128 v[26:29], v21 offset:1056
	ds_read2_b64 v[30:33], v20 offset0:160 offset1:176
	s_waitcnt lgkmcnt(2)
	v_fmac_f64_e32 v[8:9], v[22:23], v[34:35]
	v_fmac_f64_e32 v[4:5], v[24:25], v[34:35]
	s_add_u32 s10, s10, 8
	s_waitcnt lgkmcnt(1)
	v_fmac_f64_e32 v[2:3], v[22:23], v[26:27]
	v_fmac_f64_e32 v[0:1], v[24:25], v[26:27]
	ds_read2_b64 v[22:25], v20 offset0:192 offset1:208
	s_waitcnt lgkmcnt(1)
	v_fmac_f64_e32 v[2:3], v[30:31], v[28:29]
	v_fmac_f64_e32 v[0:1], v[32:33], v[28:29]
	ds_read2_b64 v[26:29], v20 offset0:224 offset1:240
	v_fmac_f64_e32 v[8:9], v[30:31], v[36:37]
	s_addc_u32 s11, s11, 0
	v_fmac_f64_e32 v[4:5], v[32:33], v[36:37]
	s_waitcnt lgkmcnt(1)
	v_fmac_f64_e32 v[8:9], v[22:23], v[38:39]
	v_fmac_f64_e32 v[2:3], v[22:23], v[42:43]
	v_mov_b64_e32 v[22:23], s[10:11]
	v_fmac_f64_e32 v[4:5], v[24:25], v[38:39]
	v_fmac_f64_e32 v[0:1], v[24:25], v[42:43]
	v_cmp_gt_i64_e32 vcc, s[8:9], v[22:23]
	s_waitcnt lgkmcnt(0)
	v_fmac_f64_e32 v[8:9], v[26:27], v[40:41]
	v_fmac_f64_e32 v[4:5], v[28:29], v[40:41]
	;; [unrolled: 1-line block ×4, first 2 shown]
	s_barrier
	s_cbranch_vccz .LBB180_12
.LBB180_6:                              ; =>This Inner Loop Header: Depth=1
	v_mov_b64_e32 v[22:23], 0
	s_and_saveexec_b64 s[12:13], s[0:1]
	s_cbranch_execz .LBB180_10
; %bb.7:                                ;   in Loop: Header=BB180_6 Depth=1
	v_add_u32_e32 v16, s10, v10
	v_cmp_gt_u64_e32 vcc, s[8:9], v[16:17]
	v_mov_b64_e32 v[22:23], 0
	s_and_saveexec_b64 s[16:17], vcc
	s_cbranch_execz .LBB180_9
; %bb.8:                                ;   in Loop: Header=BB180_6 Depth=1
	v_mad_u64_u32 v[22:23], s[18:19], s14, v16, 0
	v_mov_b32_e32 v24, v23
	v_mad_u64_u32 v[24:25], s[18:19], s15, v16, v[24:25]
	v_mov_b32_e32 v23, v24
	v_lshl_add_u64 v[22:23], v[22:23], 3, v[12:13]
	global_load_dwordx2 v[22:23], v[22:23], off
.LBB180_9:                              ;   in Loop: Header=BB180_6 Depth=1
	s_or_b64 exec, exec, s[16:17]
.LBB180_10:                             ;   in Loop: Header=BB180_6 Depth=1
	s_or_b64 exec, exec, s[12:13]
	v_add_u32_e32 v16, s10, v6
	v_cmp_gt_u64_e32 vcc, s[8:9], v[16:17]
	s_waitcnt vmcnt(0)
	ds_write_b64 v18, v[22:23]
	s_and_b64 s[16:17], vcc, s[2:3]
	v_mov_b64_e32 v[22:23], 0
	s_and_saveexec_b64 s[12:13], s[16:17]
	s_cbranch_execz .LBB180_5
; %bb.11:                               ;   in Loop: Header=BB180_6 Depth=1
	v_lshl_add_u64 v[22:23], v[16:17], 3, v[14:15]
	global_load_dwordx2 v[22:23], v[22:23], off
	s_branch .LBB180_5
.LBB180_12:
	s_mul_i32 s0, s31, s4
	s_mul_hi_u32 s1, s30, s4
	s_add_i32 s1, s1, s0
	s_mul_i32 s0, s30, s4
	s_lshl_b64 s[0:1], s[0:1], 3
	s_add_u32 s4, s26, s0
	v_add_u32_e32 v14, s33, v11
	s_addc_u32 s5, s27, s1
	v_add_u32_e32 v6, s25, v7
	v_ashrrev_i32_e32 v7, 31, v14
	v_mad_u64_u32 v[10:11], s[0:1], s28, v14, 0
	v_mul_lo_u32 v7, s28, v7
	v_mul_lo_u32 v12, s29, v14
	v_cmp_neq_f64_e64 s[0:1], s[6:7], 0
	s_waitcnt lgkmcnt(0)
	v_cmp_gt_i32_e64 s[2:3], s24, v14
	v_add3_u32 v11, v11, v7, v12
	v_cmp_le_i32_e32 vcc, v6, v14
	v_cndmask_b32_e64 v12, 0, 1, s[0:1]
	v_lshl_add_u64 v[10:11], v[10:11], 3, s[4:5]
	s_and_b64 s[10:11], s[2:3], vcc
	v_ashrrev_i32_e32 v7, 31, v6
	v_cmp_ne_u32_e64 s[0:1], 1, v12
	s_and_saveexec_b64 s[8:9], s[10:11]
	s_cbranch_execz .LBB180_16
; %bb.13:
	v_mul_f64 v[8:9], s[34:35], v[8:9]
	s_and_b64 vcc, exec, s[0:1]
	v_lshl_add_u64 v[12:13], v[6:7], 3, v[10:11]
	s_cbranch_vccnz .LBB180_15
; %bb.14:
	global_load_dwordx2 v[16:17], v[12:13], off
	s_waitcnt vmcnt(0)
	v_fmac_f64_e32 v[8:9], s[6:7], v[16:17]
.LBB180_15:
	global_store_dwordx2 v[12:13], v[8:9], off
.LBB180_16:
	s_or_b64 exec, exec, s[8:9]
	v_add_u32_e32 v8, 16, v6
	v_cmp_le_i32_e32 vcc, v8, v14
	s_and_b64 s[8:9], s[2:3], vcc
	v_ashrrev_i32_e32 v9, 31, v8
	s_and_saveexec_b64 s[2:3], s[8:9]
	s_cbranch_execz .LBB180_20
; %bb.17:
	v_mul_f64 v[4:5], s[34:35], v[4:5]
	s_and_b64 vcc, exec, s[0:1]
	v_lshl_add_u64 v[10:11], v[8:9], 3, v[10:11]
	s_cbranch_vccnz .LBB180_19
; %bb.18:
	global_load_dwordx2 v[12:13], v[10:11], off
	s_waitcnt vmcnt(0)
	v_fmac_f64_e32 v[4:5], s[6:7], v[12:13]
.LBB180_19:
	global_store_dwordx2 v[10:11], v[4:5], off
.LBB180_20:
	s_or_b64 exec, exec, s[2:3]
	v_add_u32_e32 v10, 16, v14
	v_ashrrev_i32_e32 v4, 31, v10
	v_mul_lo_u32 v11, s28, v4
	v_mul_lo_u32 v12, s29, v10
	v_mad_u64_u32 v[4:5], s[8:9], s28, v10, 0
	v_cmp_gt_i32_e64 s[2:3], s24, v10
	v_add3_u32 v5, v5, v11, v12
	v_cmp_le_i32_e32 vcc, v6, v10
	v_lshl_add_u64 v[4:5], v[4:5], 3, s[4:5]
	s_and_b64 s[8:9], s[2:3], vcc
	s_and_saveexec_b64 s[4:5], s[8:9]
	s_cbranch_execz .LBB180_24
; %bb.21:
	v_mul_f64 v[2:3], s[34:35], v[2:3]
	s_and_b64 vcc, exec, s[0:1]
	v_lshl_add_u64 v[6:7], v[6:7], 3, v[4:5]
	s_cbranch_vccnz .LBB180_23
; %bb.22:
	global_load_dwordx2 v[12:13], v[6:7], off
	s_waitcnt vmcnt(0)
	v_fmac_f64_e32 v[2:3], s[6:7], v[12:13]
.LBB180_23:
	global_store_dwordx2 v[6:7], v[2:3], off
.LBB180_24:
	s_or_b64 exec, exec, s[4:5]
	v_cmp_le_i32_e32 vcc, v8, v10
	s_and_b64 s[2:3], s[2:3], vcc
	s_and_saveexec_b64 s[4:5], s[2:3]
	s_cbranch_execz .LBB180_28
; %bb.25:
	v_mul_f64 v[0:1], s[34:35], v[0:1]
	s_and_b64 vcc, exec, s[0:1]
	v_lshl_add_u64 v[2:3], v[8:9], 3, v[4:5]
	s_cbranch_vccnz .LBB180_27
; %bb.26:
	global_load_dwordx2 v[4:5], v[2:3], off
	s_waitcnt vmcnt(0)
	v_fmac_f64_e32 v[0:1], s[6:7], v[4:5]
.LBB180_27:
	global_store_dwordx2 v[2:3], v[0:1], off
.LBB180_28:
	s_endpgm
	.section	.rodata,"a",@progbits
	.p2align	6, 0x0
	.amdhsa_kernel _ZL29rocblas_internal_gemmt_kernelIlLi16ELi32ELi8ELc78ELc78ELc85ELb0ELb0EdPKdS1_PdEviT_T9_T10_S3_lS5_S3_lS4_T11_S3_li
		.amdhsa_group_segment_fixed_size 4096
		.amdhsa_private_segment_fixed_size 0
		.amdhsa_kernarg_size 108
		.amdhsa_user_sgpr_count 2
		.amdhsa_user_sgpr_dispatch_ptr 0
		.amdhsa_user_sgpr_queue_ptr 0
		.amdhsa_user_sgpr_kernarg_segment_ptr 1
		.amdhsa_user_sgpr_dispatch_id 0
		.amdhsa_user_sgpr_kernarg_preload_length 0
		.amdhsa_user_sgpr_kernarg_preload_offset 0
		.amdhsa_user_sgpr_private_segment_size 0
		.amdhsa_uses_dynamic_stack 0
		.amdhsa_enable_private_segment 0
		.amdhsa_system_sgpr_workgroup_id_x 1
		.amdhsa_system_sgpr_workgroup_id_y 1
		.amdhsa_system_sgpr_workgroup_id_z 1
		.amdhsa_system_sgpr_workgroup_info 0
		.amdhsa_system_vgpr_workitem_id 1
		.amdhsa_next_free_vgpr 54
		.amdhsa_next_free_sgpr 36
		.amdhsa_accum_offset 56
		.amdhsa_reserve_vcc 1
		.amdhsa_float_round_mode_32 0
		.amdhsa_float_round_mode_16_64 0
		.amdhsa_float_denorm_mode_32 3
		.amdhsa_float_denorm_mode_16_64 3
		.amdhsa_dx10_clamp 1
		.amdhsa_ieee_mode 1
		.amdhsa_fp16_overflow 0
		.amdhsa_tg_split 0
		.amdhsa_exception_fp_ieee_invalid_op 0
		.amdhsa_exception_fp_denorm_src 0
		.amdhsa_exception_fp_ieee_div_zero 0
		.amdhsa_exception_fp_ieee_overflow 0
		.amdhsa_exception_fp_ieee_underflow 0
		.amdhsa_exception_fp_ieee_inexact 0
		.amdhsa_exception_int_div_zero 0
	.end_amdhsa_kernel
	.section	.text._ZL29rocblas_internal_gemmt_kernelIlLi16ELi32ELi8ELc78ELc78ELc85ELb0ELb0EdPKdS1_PdEviT_T9_T10_S3_lS5_S3_lS4_T11_S3_li,"axG",@progbits,_ZL29rocblas_internal_gemmt_kernelIlLi16ELi32ELi8ELc78ELc78ELc85ELb0ELb0EdPKdS1_PdEviT_T9_T10_S3_lS5_S3_lS4_T11_S3_li,comdat
.Lfunc_end180:
	.size	_ZL29rocblas_internal_gemmt_kernelIlLi16ELi32ELi8ELc78ELc78ELc85ELb0ELb0EdPKdS1_PdEviT_T9_T10_S3_lS5_S3_lS4_T11_S3_li, .Lfunc_end180-_ZL29rocblas_internal_gemmt_kernelIlLi16ELi32ELi8ELc78ELc78ELc85ELb0ELb0EdPKdS1_PdEviT_T9_T10_S3_lS5_S3_lS4_T11_S3_li
                                        ; -- End function
	.set _ZL29rocblas_internal_gemmt_kernelIlLi16ELi32ELi8ELc78ELc78ELc85ELb0ELb0EdPKdS1_PdEviT_T9_T10_S3_lS5_S3_lS4_T11_S3_li.num_vgpr, 54
	.set _ZL29rocblas_internal_gemmt_kernelIlLi16ELi32ELi8ELc78ELc78ELc85ELb0ELb0EdPKdS1_PdEviT_T9_T10_S3_lS5_S3_lS4_T11_S3_li.num_agpr, 0
	.set _ZL29rocblas_internal_gemmt_kernelIlLi16ELi32ELi8ELc78ELc78ELc85ELb0ELb0EdPKdS1_PdEviT_T9_T10_S3_lS5_S3_lS4_T11_S3_li.numbered_sgpr, 36
	.set _ZL29rocblas_internal_gemmt_kernelIlLi16ELi32ELi8ELc78ELc78ELc85ELb0ELb0EdPKdS1_PdEviT_T9_T10_S3_lS5_S3_lS4_T11_S3_li.num_named_barrier, 0
	.set _ZL29rocblas_internal_gemmt_kernelIlLi16ELi32ELi8ELc78ELc78ELc85ELb0ELb0EdPKdS1_PdEviT_T9_T10_S3_lS5_S3_lS4_T11_S3_li.private_seg_size, 0
	.set _ZL29rocblas_internal_gemmt_kernelIlLi16ELi32ELi8ELc78ELc78ELc85ELb0ELb0EdPKdS1_PdEviT_T9_T10_S3_lS5_S3_lS4_T11_S3_li.uses_vcc, 1
	.set _ZL29rocblas_internal_gemmt_kernelIlLi16ELi32ELi8ELc78ELc78ELc85ELb0ELb0EdPKdS1_PdEviT_T9_T10_S3_lS5_S3_lS4_T11_S3_li.uses_flat_scratch, 0
	.set _ZL29rocblas_internal_gemmt_kernelIlLi16ELi32ELi8ELc78ELc78ELc85ELb0ELb0EdPKdS1_PdEviT_T9_T10_S3_lS5_S3_lS4_T11_S3_li.has_dyn_sized_stack, 0
	.set _ZL29rocblas_internal_gemmt_kernelIlLi16ELi32ELi8ELc78ELc78ELc85ELb0ELb0EdPKdS1_PdEviT_T9_T10_S3_lS5_S3_lS4_T11_S3_li.has_recursion, 0
	.set _ZL29rocblas_internal_gemmt_kernelIlLi16ELi32ELi8ELc78ELc78ELc85ELb0ELb0EdPKdS1_PdEviT_T9_T10_S3_lS5_S3_lS4_T11_S3_li.has_indirect_call, 0
	.section	.AMDGPU.csdata,"",@progbits
; Kernel info:
; codeLenInByte = 1340
; TotalNumSgprs: 42
; NumVgprs: 54
; NumAgprs: 0
; TotalNumVgprs: 54
; ScratchSize: 0
; MemoryBound: 0
; FloatMode: 240
; IeeeMode: 1
; LDSByteSize: 4096 bytes/workgroup (compile time only)
; SGPRBlocks: 5
; VGPRBlocks: 6
; NumSGPRsForWavesPerEU: 42
; NumVGPRsForWavesPerEU: 54
; AccumOffset: 56
; Occupancy: 8
; WaveLimiterHint : 0
; COMPUTE_PGM_RSRC2:SCRATCH_EN: 0
; COMPUTE_PGM_RSRC2:USER_SGPR: 2
; COMPUTE_PGM_RSRC2:TRAP_HANDLER: 0
; COMPUTE_PGM_RSRC2:TGID_X_EN: 1
; COMPUTE_PGM_RSRC2:TGID_Y_EN: 1
; COMPUTE_PGM_RSRC2:TGID_Z_EN: 1
; COMPUTE_PGM_RSRC2:TIDIG_COMP_CNT: 1
; COMPUTE_PGM_RSRC3_GFX90A:ACCUM_OFFSET: 13
; COMPUTE_PGM_RSRC3_GFX90A:TG_SPLIT: 0
	.section	.text._ZL29rocblas_internal_gemmt_kernelIlLi16ELi32ELi8ELc78ELc84ELc85ELb0ELb0EdPKdS1_PdEviT_T9_T10_S3_lS5_S3_lS4_T11_S3_li,"axG",@progbits,_ZL29rocblas_internal_gemmt_kernelIlLi16ELi32ELi8ELc78ELc84ELc85ELb0ELb0EdPKdS1_PdEviT_T9_T10_S3_lS5_S3_lS4_T11_S3_li,comdat
	.globl	_ZL29rocblas_internal_gemmt_kernelIlLi16ELi32ELi8ELc78ELc84ELc85ELb0ELb0EdPKdS1_PdEviT_T9_T10_S3_lS5_S3_lS4_T11_S3_li ; -- Begin function _ZL29rocblas_internal_gemmt_kernelIlLi16ELi32ELi8ELc78ELc84ELc85ELb0ELb0EdPKdS1_PdEviT_T9_T10_S3_lS5_S3_lS4_T11_S3_li
	.p2align	8
	.type	_ZL29rocblas_internal_gemmt_kernelIlLi16ELi32ELi8ELc78ELc84ELc85ELb0ELb0EdPKdS1_PdEviT_T9_T10_S3_lS5_S3_lS4_T11_S3_li,@function
_ZL29rocblas_internal_gemmt_kernelIlLi16ELi32ELi8ELc78ELc84ELc85ELb0ELb0EdPKdS1_PdEviT_T9_T10_S3_lS5_S3_lS4_T11_S3_li: ; @_ZL29rocblas_internal_gemmt_kernelIlLi16ELi32ELi8ELc78ELc84ELc85ELb0ELb0EdPKdS1_PdEviT_T9_T10_S3_lS5_S3_lS4_T11_S3_li
; %bb.0:
	s_load_dwordx8 s[24:31], s[0:1], 0x48
	s_load_dwordx16 s[8:23], s[0:1], 0x8
	s_waitcnt lgkmcnt(0)
	s_load_dwordx2 s[6:7], s[24:25], 0x0
	s_load_dwordx2 s[34:35], s[10:11], 0x0
	s_waitcnt lgkmcnt(0)
	v_cmp_neq_f64_e64 s[10:11], s[6:7], 1.0
	s_and_b64 vcc, exec, s[10:11]
	s_cbranch_vccnz .LBB181_2
; %bb.1:
	s_cmp_lg_u64 s[8:9], 0
	s_cselect_b64 s[10:11], -1, 0
	v_cmp_neq_f64_e64 s[24:25], s[34:35], 0
	s_and_b64 s[10:11], s[10:11], s[24:25]
.LBB181_2:
	s_andn2_b64 vcc, exec, s[10:11]
	s_cbranch_vccnz .LBB181_28
; %bb.3:
	s_load_dword s24, s[0:1], 0x0
	s_lshl_b32 s25, s2, 5
	s_lshl_b32 s33, s3, 5
	v_cmp_eq_f64_e64 s[0:1], s[34:35], 0
	v_cmp_lt_i64_e64 s[2:3], s[8:9], 1
	s_or_b64 s[0:1], s[0:1], s[2:3]
	v_and_b32_e32 v9, 0x3ff, v0
	v_bfe_u32 v11, v0, 10, 10
	v_mov_b64_e32 v[6:7], 0
	s_and_b64 vcc, exec, s[0:1]
	v_mov_b64_e32 v[4:5], 0
	v_mov_b64_e32 v[2:3], 0
	;; [unrolled: 1-line block ×3, first 2 shown]
	s_cbranch_vccnz .LBB181_12
; %bb.4:
	s_mul_i32 s0, s23, s4
	s_mul_hi_u32 s1, s22, s4
	s_add_i32 s1, s1, s0
	s_mul_i32 s0, s22, s4
	s_lshl_b64 s[0:1], s[0:1], 3
	v_lshl_add_u32 v1, v11, 4, v9
	s_add_u32 s10, s18, s0
	v_lshrrev_b32_e32 v10, 5, v1
	v_lshrrev_b32_e32 v4, 3, v1
	v_and_b32_e32 v1, 31, v1
	s_addc_u32 s11, s19, s1
	s_mul_i32 s0, s17, s4
	s_mul_hi_u32 s1, s16, s4
	v_and_b32_e32 v8, 7, v9
	v_or_b32_e32 v2, s25, v1
	s_add_i32 s1, s1, s0
	s_mul_i32 s0, s16, s4
	v_lshlrev_b32_e32 v1, 3, v1
	s_lshl_b64 s[0:1], s[0:1], 3
	v_lshl_or_b32 v18, v10, 8, v1
	v_lshlrev_b32_e32 v1, 3, v8
	v_add_u32_e32 v0, s33, v4
	s_add_u32 s2, s12, s0
	v_lshl_or_b32 v1, v4, 6, v1
	s_addc_u32 s3, s13, s1
	v_ashrrev_i32_e32 v3, 31, v2
	v_add_u32_e32 v19, 0x800, v1
	v_ashrrev_i32_e32 v1, 31, v0
	v_lshl_add_u64 v[12:13], v[2:3], 3, s[2:3]
	s_waitcnt lgkmcnt(0)
	v_cmp_gt_i32_e64 s[2:3], s24, v0
	v_lshl_add_u64 v[14:15], v[0:1], 3, s[10:11]
	v_mov_b32_e32 v0, 0x800
	v_cmp_gt_i32_e64 s[0:1], s24, v2
	v_lshlrev_b32_e32 v20, 3, v9
	v_lshl_add_u32 v21, v11, 6, v0
	v_mov_b32_e32 v17, 0
	v_mov_b64_e32 v[0:1], 0
	s_mov_b64 s[10:11], 0
	v_mov_b64_e32 v[2:3], 0
	v_mov_b64_e32 v[4:5], 0
	;; [unrolled: 1-line block ×3, first 2 shown]
	s_branch .LBB181_6
.LBB181_5:                              ;   in Loop: Header=BB181_6 Depth=1
	s_or_b64 exec, exec, s[12:13]
	s_waitcnt vmcnt(0)
	ds_write_b64 v19, v[22:23]
	s_waitcnt lgkmcnt(0)
	s_barrier
	ds_read2_b64 v[22:25], v20 offset1:16
	ds_read_b128 v[26:29], v21
	ds_read_b128 v[30:33], v21 offset:16
	ds_read_b128 v[34:37], v21 offset:32
	;; [unrolled: 1-line block ×4, first 2 shown]
	ds_read2_b64 v[46:49], v20 offset0:32 offset1:48
	s_waitcnt lgkmcnt(5)
	v_fmac_f64_e32 v[6:7], v[22:23], v[26:27]
	v_fmac_f64_e32 v[4:5], v[24:25], v[26:27]
	ds_read_b128 v[50:53], v21 offset:1040
	s_waitcnt lgkmcnt(2)
	v_fmac_f64_e32 v[2:3], v[22:23], v[42:43]
	v_fmac_f64_e32 v[0:1], v[24:25], v[42:43]
	ds_read2_b64 v[22:25], v20 offset0:64 offset1:80
	s_waitcnt lgkmcnt(2)
	v_fmac_f64_e32 v[6:7], v[46:47], v[28:29]
	v_fmac_f64_e32 v[4:5], v[48:49], v[28:29]
	ds_read2_b64 v[26:29], v20 offset0:96 offset1:112
	v_fmac_f64_e32 v[2:3], v[46:47], v[44:45]
	v_fmac_f64_e32 v[0:1], v[48:49], v[44:45]
	s_waitcnt lgkmcnt(1)
	v_fmac_f64_e32 v[6:7], v[22:23], v[30:31]
	v_fmac_f64_e32 v[4:5], v[24:25], v[30:31]
	ds_read_b128 v[42:45], v21 offset:1072
	v_fmac_f64_e32 v[2:3], v[22:23], v[50:51]
	v_fmac_f64_e32 v[0:1], v[24:25], v[50:51]
	s_waitcnt lgkmcnt(1)
	v_fmac_f64_e32 v[6:7], v[26:27], v[32:33]
	ds_read2_b64 v[22:25], v20 offset0:128 offset1:144
	v_fmac_f64_e32 v[4:5], v[28:29], v[32:33]
	v_fmac_f64_e32 v[2:3], v[26:27], v[52:53]
	v_fmac_f64_e32 v[0:1], v[28:29], v[52:53]
	ds_read_b128 v[26:29], v21 offset:1056
	ds_read2_b64 v[30:33], v20 offset0:160 offset1:176
	s_waitcnt lgkmcnt(2)
	v_fmac_f64_e32 v[6:7], v[22:23], v[34:35]
	v_fmac_f64_e32 v[4:5], v[24:25], v[34:35]
	s_add_u32 s10, s10, 8
	s_waitcnt lgkmcnt(1)
	v_fmac_f64_e32 v[2:3], v[22:23], v[26:27]
	v_fmac_f64_e32 v[0:1], v[24:25], v[26:27]
	ds_read2_b64 v[22:25], v20 offset0:192 offset1:208
	s_waitcnt lgkmcnt(1)
	v_fmac_f64_e32 v[2:3], v[30:31], v[28:29]
	v_fmac_f64_e32 v[0:1], v[32:33], v[28:29]
	ds_read2_b64 v[26:29], v20 offset0:224 offset1:240
	v_fmac_f64_e32 v[6:7], v[30:31], v[36:37]
	s_addc_u32 s11, s11, 0
	v_fmac_f64_e32 v[4:5], v[32:33], v[36:37]
	s_waitcnt lgkmcnt(1)
	v_fmac_f64_e32 v[6:7], v[22:23], v[38:39]
	v_fmac_f64_e32 v[2:3], v[22:23], v[42:43]
	v_mov_b64_e32 v[22:23], s[10:11]
	v_fmac_f64_e32 v[4:5], v[24:25], v[38:39]
	v_fmac_f64_e32 v[0:1], v[24:25], v[42:43]
	v_cmp_gt_i64_e32 vcc, s[8:9], v[22:23]
	s_waitcnt lgkmcnt(0)
	v_fmac_f64_e32 v[6:7], v[26:27], v[40:41]
	v_fmac_f64_e32 v[4:5], v[28:29], v[40:41]
	;; [unrolled: 1-line block ×4, first 2 shown]
	s_barrier
	s_cbranch_vccz .LBB181_12
.LBB181_6:                              ; =>This Inner Loop Header: Depth=1
	v_mov_b64_e32 v[22:23], 0
	s_and_saveexec_b64 s[12:13], s[0:1]
	s_cbranch_execz .LBB181_10
; %bb.7:                                ;   in Loop: Header=BB181_6 Depth=1
	v_add_u32_e32 v16, s10, v10
	v_cmp_gt_u64_e32 vcc, s[8:9], v[16:17]
	v_mov_b64_e32 v[22:23], 0
	s_and_saveexec_b64 s[16:17], vcc
	s_cbranch_execz .LBB181_9
; %bb.8:                                ;   in Loop: Header=BB181_6 Depth=1
	v_mad_u64_u32 v[22:23], s[18:19], s14, v16, 0
	v_mov_b32_e32 v24, v23
	v_mad_u64_u32 v[24:25], s[18:19], s15, v16, v[24:25]
	v_mov_b32_e32 v23, v24
	v_lshl_add_u64 v[22:23], v[22:23], 3, v[12:13]
	global_load_dwordx2 v[22:23], v[22:23], off
.LBB181_9:                              ;   in Loop: Header=BB181_6 Depth=1
	s_or_b64 exec, exec, s[16:17]
.LBB181_10:                             ;   in Loop: Header=BB181_6 Depth=1
	s_or_b64 exec, exec, s[12:13]
	v_add_u32_e32 v16, s10, v8
	v_cmp_gt_u64_e32 vcc, s[8:9], v[16:17]
	s_waitcnt vmcnt(0)
	ds_write_b64 v18, v[22:23]
	s_and_b64 s[16:17], vcc, s[2:3]
	v_mov_b64_e32 v[22:23], 0
	s_and_saveexec_b64 s[12:13], s[16:17]
	s_cbranch_execz .LBB181_5
; %bb.11:                               ;   in Loop: Header=BB181_6 Depth=1
	v_mad_u64_u32 v[22:23], s[16:17], s20, v16, 0
	v_mov_b32_e32 v24, v23
	v_mad_u64_u32 v[24:25], s[16:17], s21, v16, v[24:25]
	v_mov_b32_e32 v23, v24
	v_lshl_add_u64 v[22:23], v[22:23], 3, v[14:15]
	global_load_dwordx2 v[22:23], v[22:23], off
	s_branch .LBB181_5
.LBB181_12:
	s_mul_i32 s0, s31, s4
	s_mul_hi_u32 s1, s30, s4
	s_add_i32 s1, s1, s0
	s_mul_i32 s0, s30, s4
	s_lshl_b64 s[0:1], s[0:1], 3
	s_add_u32 s4, s26, s0
	v_add_u32_e32 v14, s33, v11
	s_addc_u32 s5, s27, s1
	v_add_u32_e32 v8, s25, v9
	v_ashrrev_i32_e32 v9, 31, v14
	v_mad_u64_u32 v[10:11], s[0:1], s28, v14, 0
	v_mul_lo_u32 v9, s28, v9
	v_mul_lo_u32 v12, s29, v14
	v_cmp_neq_f64_e64 s[0:1], s[6:7], 0
	s_waitcnt lgkmcnt(0)
	v_cmp_gt_i32_e64 s[2:3], s24, v14
	v_add3_u32 v11, v11, v9, v12
	v_cmp_le_i32_e32 vcc, v8, v14
	v_cndmask_b32_e64 v12, 0, 1, s[0:1]
	v_lshl_add_u64 v[10:11], v[10:11], 3, s[4:5]
	s_and_b64 s[10:11], s[2:3], vcc
	v_ashrrev_i32_e32 v9, 31, v8
	v_cmp_ne_u32_e64 s[0:1], 1, v12
	s_and_saveexec_b64 s[8:9], s[10:11]
	s_cbranch_execz .LBB181_16
; %bb.13:
	v_mul_f64 v[6:7], s[34:35], v[6:7]
	s_and_b64 vcc, exec, s[0:1]
	v_lshl_add_u64 v[12:13], v[8:9], 3, v[10:11]
	s_cbranch_vccnz .LBB181_15
; %bb.14:
	global_load_dwordx2 v[16:17], v[12:13], off
	s_waitcnt vmcnt(0)
	v_fmac_f64_e32 v[6:7], s[6:7], v[16:17]
.LBB181_15:
	global_store_dwordx2 v[12:13], v[6:7], off
.LBB181_16:
	s_or_b64 exec, exec, s[8:9]
	v_add_u32_e32 v6, 16, v8
	v_cmp_le_i32_e32 vcc, v6, v14
	s_and_b64 s[8:9], s[2:3], vcc
	v_ashrrev_i32_e32 v7, 31, v6
	s_and_saveexec_b64 s[2:3], s[8:9]
	s_cbranch_execz .LBB181_20
; %bb.17:
	v_mul_f64 v[4:5], s[34:35], v[4:5]
	s_and_b64 vcc, exec, s[0:1]
	v_lshl_add_u64 v[10:11], v[6:7], 3, v[10:11]
	s_cbranch_vccnz .LBB181_19
; %bb.18:
	global_load_dwordx2 v[12:13], v[10:11], off
	s_waitcnt vmcnt(0)
	v_fmac_f64_e32 v[4:5], s[6:7], v[12:13]
.LBB181_19:
	global_store_dwordx2 v[10:11], v[4:5], off
.LBB181_20:
	s_or_b64 exec, exec, s[2:3]
	v_add_u32_e32 v10, 16, v14
	v_ashrrev_i32_e32 v4, 31, v10
	v_mul_lo_u32 v11, s28, v4
	v_mul_lo_u32 v12, s29, v10
	v_mad_u64_u32 v[4:5], s[8:9], s28, v10, 0
	v_cmp_gt_i32_e64 s[2:3], s24, v10
	v_add3_u32 v5, v5, v11, v12
	v_cmp_le_i32_e32 vcc, v8, v10
	v_lshl_add_u64 v[4:5], v[4:5], 3, s[4:5]
	s_and_b64 s[8:9], s[2:3], vcc
	s_and_saveexec_b64 s[4:5], s[8:9]
	s_cbranch_execz .LBB181_24
; %bb.21:
	v_mul_f64 v[2:3], s[34:35], v[2:3]
	s_and_b64 vcc, exec, s[0:1]
	v_lshl_add_u64 v[8:9], v[8:9], 3, v[4:5]
	s_cbranch_vccnz .LBB181_23
; %bb.22:
	global_load_dwordx2 v[12:13], v[8:9], off
	s_waitcnt vmcnt(0)
	v_fmac_f64_e32 v[2:3], s[6:7], v[12:13]
.LBB181_23:
	global_store_dwordx2 v[8:9], v[2:3], off
.LBB181_24:
	s_or_b64 exec, exec, s[4:5]
	v_cmp_le_i32_e32 vcc, v6, v10
	s_and_b64 s[2:3], s[2:3], vcc
	s_and_saveexec_b64 s[4:5], s[2:3]
	s_cbranch_execz .LBB181_28
; %bb.25:
	v_mul_f64 v[0:1], s[34:35], v[0:1]
	s_and_b64 vcc, exec, s[0:1]
	v_lshl_add_u64 v[2:3], v[6:7], 3, v[4:5]
	s_cbranch_vccnz .LBB181_27
; %bb.26:
	global_load_dwordx2 v[4:5], v[2:3], off
	s_waitcnt vmcnt(0)
	v_fmac_f64_e32 v[0:1], s[6:7], v[4:5]
.LBB181_27:
	global_store_dwordx2 v[2:3], v[0:1], off
.LBB181_28:
	s_endpgm
	.section	.rodata,"a",@progbits
	.p2align	6, 0x0
	.amdhsa_kernel _ZL29rocblas_internal_gemmt_kernelIlLi16ELi32ELi8ELc78ELc84ELc85ELb0ELb0EdPKdS1_PdEviT_T9_T10_S3_lS5_S3_lS4_T11_S3_li
		.amdhsa_group_segment_fixed_size 4096
		.amdhsa_private_segment_fixed_size 0
		.amdhsa_kernarg_size 108
		.amdhsa_user_sgpr_count 2
		.amdhsa_user_sgpr_dispatch_ptr 0
		.amdhsa_user_sgpr_queue_ptr 0
		.amdhsa_user_sgpr_kernarg_segment_ptr 1
		.amdhsa_user_sgpr_dispatch_id 0
		.amdhsa_user_sgpr_kernarg_preload_length 0
		.amdhsa_user_sgpr_kernarg_preload_offset 0
		.amdhsa_user_sgpr_private_segment_size 0
		.amdhsa_uses_dynamic_stack 0
		.amdhsa_enable_private_segment 0
		.amdhsa_system_sgpr_workgroup_id_x 1
		.amdhsa_system_sgpr_workgroup_id_y 1
		.amdhsa_system_sgpr_workgroup_id_z 1
		.amdhsa_system_sgpr_workgroup_info 0
		.amdhsa_system_vgpr_workitem_id 1
		.amdhsa_next_free_vgpr 54
		.amdhsa_next_free_sgpr 36
		.amdhsa_accum_offset 56
		.amdhsa_reserve_vcc 1
		.amdhsa_float_round_mode_32 0
		.amdhsa_float_round_mode_16_64 0
		.amdhsa_float_denorm_mode_32 3
		.amdhsa_float_denorm_mode_16_64 3
		.amdhsa_dx10_clamp 1
		.amdhsa_ieee_mode 1
		.amdhsa_fp16_overflow 0
		.amdhsa_tg_split 0
		.amdhsa_exception_fp_ieee_invalid_op 0
		.amdhsa_exception_fp_denorm_src 0
		.amdhsa_exception_fp_ieee_div_zero 0
		.amdhsa_exception_fp_ieee_overflow 0
		.amdhsa_exception_fp_ieee_underflow 0
		.amdhsa_exception_fp_ieee_inexact 0
		.amdhsa_exception_int_div_zero 0
	.end_amdhsa_kernel
	.section	.text._ZL29rocblas_internal_gemmt_kernelIlLi16ELi32ELi8ELc78ELc84ELc85ELb0ELb0EdPKdS1_PdEviT_T9_T10_S3_lS5_S3_lS4_T11_S3_li,"axG",@progbits,_ZL29rocblas_internal_gemmt_kernelIlLi16ELi32ELi8ELc78ELc84ELc85ELb0ELb0EdPKdS1_PdEviT_T9_T10_S3_lS5_S3_lS4_T11_S3_li,comdat
.Lfunc_end181:
	.size	_ZL29rocblas_internal_gemmt_kernelIlLi16ELi32ELi8ELc78ELc84ELc85ELb0ELb0EdPKdS1_PdEviT_T9_T10_S3_lS5_S3_lS4_T11_S3_li, .Lfunc_end181-_ZL29rocblas_internal_gemmt_kernelIlLi16ELi32ELi8ELc78ELc84ELc85ELb0ELb0EdPKdS1_PdEviT_T9_T10_S3_lS5_S3_lS4_T11_S3_li
                                        ; -- End function
	.set _ZL29rocblas_internal_gemmt_kernelIlLi16ELi32ELi8ELc78ELc84ELc85ELb0ELb0EdPKdS1_PdEviT_T9_T10_S3_lS5_S3_lS4_T11_S3_li.num_vgpr, 54
	.set _ZL29rocblas_internal_gemmt_kernelIlLi16ELi32ELi8ELc78ELc84ELc85ELb0ELb0EdPKdS1_PdEviT_T9_T10_S3_lS5_S3_lS4_T11_S3_li.num_agpr, 0
	.set _ZL29rocblas_internal_gemmt_kernelIlLi16ELi32ELi8ELc78ELc84ELc85ELb0ELb0EdPKdS1_PdEviT_T9_T10_S3_lS5_S3_lS4_T11_S3_li.numbered_sgpr, 36
	.set _ZL29rocblas_internal_gemmt_kernelIlLi16ELi32ELi8ELc78ELc84ELc85ELb0ELb0EdPKdS1_PdEviT_T9_T10_S3_lS5_S3_lS4_T11_S3_li.num_named_barrier, 0
	.set _ZL29rocblas_internal_gemmt_kernelIlLi16ELi32ELi8ELc78ELc84ELc85ELb0ELb0EdPKdS1_PdEviT_T9_T10_S3_lS5_S3_lS4_T11_S3_li.private_seg_size, 0
	.set _ZL29rocblas_internal_gemmt_kernelIlLi16ELi32ELi8ELc78ELc84ELc85ELb0ELb0EdPKdS1_PdEviT_T9_T10_S3_lS5_S3_lS4_T11_S3_li.uses_vcc, 1
	.set _ZL29rocblas_internal_gemmt_kernelIlLi16ELi32ELi8ELc78ELc84ELc85ELb0ELb0EdPKdS1_PdEviT_T9_T10_S3_lS5_S3_lS4_T11_S3_li.uses_flat_scratch, 0
	.set _ZL29rocblas_internal_gemmt_kernelIlLi16ELi32ELi8ELc78ELc84ELc85ELb0ELb0EdPKdS1_PdEviT_T9_T10_S3_lS5_S3_lS4_T11_S3_li.has_dyn_sized_stack, 0
	.set _ZL29rocblas_internal_gemmt_kernelIlLi16ELi32ELi8ELc78ELc84ELc85ELb0ELb0EdPKdS1_PdEviT_T9_T10_S3_lS5_S3_lS4_T11_S3_li.has_recursion, 0
	.set _ZL29rocblas_internal_gemmt_kernelIlLi16ELi32ELi8ELc78ELc84ELc85ELb0ELb0EdPKdS1_PdEviT_T9_T10_S3_lS5_S3_lS4_T11_S3_li.has_indirect_call, 0
	.section	.AMDGPU.csdata,"",@progbits
; Kernel info:
; codeLenInByte = 1332
; TotalNumSgprs: 42
; NumVgprs: 54
; NumAgprs: 0
; TotalNumVgprs: 54
; ScratchSize: 0
; MemoryBound: 0
; FloatMode: 240
; IeeeMode: 1
; LDSByteSize: 4096 bytes/workgroup (compile time only)
; SGPRBlocks: 5
; VGPRBlocks: 6
; NumSGPRsForWavesPerEU: 42
; NumVGPRsForWavesPerEU: 54
; AccumOffset: 56
; Occupancy: 8
; WaveLimiterHint : 0
; COMPUTE_PGM_RSRC2:SCRATCH_EN: 0
; COMPUTE_PGM_RSRC2:USER_SGPR: 2
; COMPUTE_PGM_RSRC2:TRAP_HANDLER: 0
; COMPUTE_PGM_RSRC2:TGID_X_EN: 1
; COMPUTE_PGM_RSRC2:TGID_Y_EN: 1
; COMPUTE_PGM_RSRC2:TGID_Z_EN: 1
; COMPUTE_PGM_RSRC2:TIDIG_COMP_CNT: 1
; COMPUTE_PGM_RSRC3_GFX90A:ACCUM_OFFSET: 13
; COMPUTE_PGM_RSRC3_GFX90A:TG_SPLIT: 0
	.section	.text._ZL29rocblas_internal_gemmt_kernelIlLi16ELi32ELi8ELc78ELc67ELc85ELb0ELb0EdPKdS1_PdEviT_T9_T10_S3_lS5_S3_lS4_T11_S3_li,"axG",@progbits,_ZL29rocblas_internal_gemmt_kernelIlLi16ELi32ELi8ELc78ELc67ELc85ELb0ELb0EdPKdS1_PdEviT_T9_T10_S3_lS5_S3_lS4_T11_S3_li,comdat
	.globl	_ZL29rocblas_internal_gemmt_kernelIlLi16ELi32ELi8ELc78ELc67ELc85ELb0ELb0EdPKdS1_PdEviT_T9_T10_S3_lS5_S3_lS4_T11_S3_li ; -- Begin function _ZL29rocblas_internal_gemmt_kernelIlLi16ELi32ELi8ELc78ELc67ELc85ELb0ELb0EdPKdS1_PdEviT_T9_T10_S3_lS5_S3_lS4_T11_S3_li
	.p2align	8
	.type	_ZL29rocblas_internal_gemmt_kernelIlLi16ELi32ELi8ELc78ELc67ELc85ELb0ELb0EdPKdS1_PdEviT_T9_T10_S3_lS5_S3_lS4_T11_S3_li,@function
_ZL29rocblas_internal_gemmt_kernelIlLi16ELi32ELi8ELc78ELc67ELc85ELb0ELb0EdPKdS1_PdEviT_T9_T10_S3_lS5_S3_lS4_T11_S3_li: ; @_ZL29rocblas_internal_gemmt_kernelIlLi16ELi32ELi8ELc78ELc67ELc85ELb0ELb0EdPKdS1_PdEviT_T9_T10_S3_lS5_S3_lS4_T11_S3_li
; %bb.0:
	s_load_dwordx8 s[24:31], s[0:1], 0x48
	s_load_dwordx16 s[8:23], s[0:1], 0x8
	s_waitcnt lgkmcnt(0)
	s_load_dwordx2 s[6:7], s[24:25], 0x0
	s_load_dwordx2 s[34:35], s[10:11], 0x0
	s_waitcnt lgkmcnt(0)
	v_cmp_neq_f64_e64 s[10:11], s[6:7], 1.0
	s_and_b64 vcc, exec, s[10:11]
	s_cbranch_vccnz .LBB182_2
; %bb.1:
	s_cmp_lg_u64 s[8:9], 0
	s_cselect_b64 s[10:11], -1, 0
	v_cmp_neq_f64_e64 s[24:25], s[34:35], 0
	s_and_b64 s[10:11], s[10:11], s[24:25]
.LBB182_2:
	s_andn2_b64 vcc, exec, s[10:11]
	s_cbranch_vccnz .LBB182_28
; %bb.3:
	s_load_dword s24, s[0:1], 0x0
	s_lshl_b32 s25, s2, 5
	s_lshl_b32 s33, s3, 5
	v_cmp_eq_f64_e64 s[0:1], s[34:35], 0
	v_cmp_lt_i64_e64 s[2:3], s[8:9], 1
	s_or_b64 s[0:1], s[0:1], s[2:3]
	v_and_b32_e32 v9, 0x3ff, v0
	v_bfe_u32 v11, v0, 10, 10
	v_mov_b64_e32 v[6:7], 0
	s_and_b64 vcc, exec, s[0:1]
	v_mov_b64_e32 v[4:5], 0
	v_mov_b64_e32 v[2:3], 0
	v_mov_b64_e32 v[0:1], 0
	s_cbranch_vccnz .LBB182_12
; %bb.4:
	s_mul_i32 s0, s23, s4
	s_mul_hi_u32 s1, s22, s4
	s_add_i32 s1, s1, s0
	s_mul_i32 s0, s22, s4
	s_lshl_b64 s[0:1], s[0:1], 3
	v_lshl_add_u32 v1, v11, 4, v9
	s_add_u32 s10, s18, s0
	v_lshrrev_b32_e32 v10, 5, v1
	v_lshrrev_b32_e32 v4, 3, v1
	v_and_b32_e32 v1, 31, v1
	s_addc_u32 s11, s19, s1
	s_mul_i32 s0, s17, s4
	s_mul_hi_u32 s1, s16, s4
	v_and_b32_e32 v8, 7, v9
	v_or_b32_e32 v2, s25, v1
	s_add_i32 s1, s1, s0
	s_mul_i32 s0, s16, s4
	v_lshlrev_b32_e32 v1, 3, v1
	s_lshl_b64 s[0:1], s[0:1], 3
	v_lshl_or_b32 v18, v10, 8, v1
	v_lshlrev_b32_e32 v1, 3, v8
	v_add_u32_e32 v0, s33, v4
	s_add_u32 s2, s12, s0
	v_lshl_or_b32 v1, v4, 6, v1
	s_addc_u32 s3, s13, s1
	v_ashrrev_i32_e32 v3, 31, v2
	v_add_u32_e32 v19, 0x800, v1
	v_ashrrev_i32_e32 v1, 31, v0
	v_lshl_add_u64 v[12:13], v[2:3], 3, s[2:3]
	s_waitcnt lgkmcnt(0)
	v_cmp_gt_i32_e64 s[2:3], s24, v0
	v_lshl_add_u64 v[14:15], v[0:1], 3, s[10:11]
	v_mov_b32_e32 v0, 0x800
	v_cmp_gt_i32_e64 s[0:1], s24, v2
	v_lshlrev_b32_e32 v20, 3, v9
	v_lshl_add_u32 v21, v11, 6, v0
	v_mov_b32_e32 v17, 0
	v_mov_b64_e32 v[0:1], 0
	s_mov_b64 s[10:11], 0
	v_mov_b64_e32 v[2:3], 0
	v_mov_b64_e32 v[4:5], 0
	;; [unrolled: 1-line block ×3, first 2 shown]
	s_branch .LBB182_6
.LBB182_5:                              ;   in Loop: Header=BB182_6 Depth=1
	s_or_b64 exec, exec, s[12:13]
	s_waitcnt vmcnt(0)
	ds_write_b64 v19, v[22:23]
	s_waitcnt lgkmcnt(0)
	s_barrier
	ds_read2_b64 v[22:25], v20 offset1:16
	ds_read_b128 v[26:29], v21
	ds_read_b128 v[30:33], v21 offset:16
	ds_read_b128 v[34:37], v21 offset:32
	;; [unrolled: 1-line block ×4, first 2 shown]
	ds_read2_b64 v[46:49], v20 offset0:32 offset1:48
	s_waitcnt lgkmcnt(5)
	v_fmac_f64_e32 v[6:7], v[22:23], v[26:27]
	v_fmac_f64_e32 v[4:5], v[24:25], v[26:27]
	ds_read_b128 v[50:53], v21 offset:1040
	s_waitcnt lgkmcnt(2)
	v_fmac_f64_e32 v[2:3], v[22:23], v[42:43]
	v_fmac_f64_e32 v[0:1], v[24:25], v[42:43]
	ds_read2_b64 v[22:25], v20 offset0:64 offset1:80
	s_waitcnt lgkmcnt(2)
	v_fmac_f64_e32 v[6:7], v[46:47], v[28:29]
	v_fmac_f64_e32 v[4:5], v[48:49], v[28:29]
	ds_read2_b64 v[26:29], v20 offset0:96 offset1:112
	v_fmac_f64_e32 v[2:3], v[46:47], v[44:45]
	v_fmac_f64_e32 v[0:1], v[48:49], v[44:45]
	s_waitcnt lgkmcnt(1)
	v_fmac_f64_e32 v[6:7], v[22:23], v[30:31]
	v_fmac_f64_e32 v[4:5], v[24:25], v[30:31]
	ds_read_b128 v[42:45], v21 offset:1072
	v_fmac_f64_e32 v[2:3], v[22:23], v[50:51]
	v_fmac_f64_e32 v[0:1], v[24:25], v[50:51]
	s_waitcnt lgkmcnt(1)
	v_fmac_f64_e32 v[6:7], v[26:27], v[32:33]
	ds_read2_b64 v[22:25], v20 offset0:128 offset1:144
	v_fmac_f64_e32 v[4:5], v[28:29], v[32:33]
	v_fmac_f64_e32 v[2:3], v[26:27], v[52:53]
	;; [unrolled: 1-line block ×3, first 2 shown]
	ds_read_b128 v[26:29], v21 offset:1056
	ds_read2_b64 v[30:33], v20 offset0:160 offset1:176
	s_waitcnt lgkmcnt(2)
	v_fmac_f64_e32 v[6:7], v[22:23], v[34:35]
	v_fmac_f64_e32 v[4:5], v[24:25], v[34:35]
	s_add_u32 s10, s10, 8
	s_waitcnt lgkmcnt(1)
	v_fmac_f64_e32 v[2:3], v[22:23], v[26:27]
	v_fmac_f64_e32 v[0:1], v[24:25], v[26:27]
	ds_read2_b64 v[22:25], v20 offset0:192 offset1:208
	s_waitcnt lgkmcnt(1)
	v_fmac_f64_e32 v[2:3], v[30:31], v[28:29]
	v_fmac_f64_e32 v[0:1], v[32:33], v[28:29]
	ds_read2_b64 v[26:29], v20 offset0:224 offset1:240
	v_fmac_f64_e32 v[6:7], v[30:31], v[36:37]
	s_addc_u32 s11, s11, 0
	v_fmac_f64_e32 v[4:5], v[32:33], v[36:37]
	s_waitcnt lgkmcnt(1)
	v_fmac_f64_e32 v[6:7], v[22:23], v[38:39]
	v_fmac_f64_e32 v[2:3], v[22:23], v[42:43]
	v_mov_b64_e32 v[22:23], s[10:11]
	v_fmac_f64_e32 v[4:5], v[24:25], v[38:39]
	v_fmac_f64_e32 v[0:1], v[24:25], v[42:43]
	v_cmp_gt_i64_e32 vcc, s[8:9], v[22:23]
	s_waitcnt lgkmcnt(0)
	v_fmac_f64_e32 v[6:7], v[26:27], v[40:41]
	v_fmac_f64_e32 v[4:5], v[28:29], v[40:41]
	;; [unrolled: 1-line block ×4, first 2 shown]
	s_barrier
	s_cbranch_vccz .LBB182_12
.LBB182_6:                              ; =>This Inner Loop Header: Depth=1
	v_mov_b64_e32 v[22:23], 0
	s_and_saveexec_b64 s[12:13], s[0:1]
	s_cbranch_execz .LBB182_10
; %bb.7:                                ;   in Loop: Header=BB182_6 Depth=1
	v_add_u32_e32 v16, s10, v10
	v_cmp_gt_u64_e32 vcc, s[8:9], v[16:17]
	v_mov_b64_e32 v[22:23], 0
	s_and_saveexec_b64 s[16:17], vcc
	s_cbranch_execz .LBB182_9
; %bb.8:                                ;   in Loop: Header=BB182_6 Depth=1
	v_mad_u64_u32 v[22:23], s[18:19], s14, v16, 0
	v_mov_b32_e32 v24, v23
	v_mad_u64_u32 v[24:25], s[18:19], s15, v16, v[24:25]
	v_mov_b32_e32 v23, v24
	v_lshl_add_u64 v[22:23], v[22:23], 3, v[12:13]
	global_load_dwordx2 v[22:23], v[22:23], off
.LBB182_9:                              ;   in Loop: Header=BB182_6 Depth=1
	s_or_b64 exec, exec, s[16:17]
.LBB182_10:                             ;   in Loop: Header=BB182_6 Depth=1
	s_or_b64 exec, exec, s[12:13]
	v_add_u32_e32 v16, s10, v8
	v_cmp_gt_u64_e32 vcc, s[8:9], v[16:17]
	s_waitcnt vmcnt(0)
	ds_write_b64 v18, v[22:23]
	s_and_b64 s[16:17], vcc, s[2:3]
	v_mov_b64_e32 v[22:23], 0
	s_and_saveexec_b64 s[12:13], s[16:17]
	s_cbranch_execz .LBB182_5
; %bb.11:                               ;   in Loop: Header=BB182_6 Depth=1
	v_mad_u64_u32 v[22:23], s[16:17], s20, v16, 0
	v_mov_b32_e32 v24, v23
	v_mad_u64_u32 v[24:25], s[16:17], s21, v16, v[24:25]
	v_mov_b32_e32 v23, v24
	v_lshl_add_u64 v[22:23], v[22:23], 3, v[14:15]
	global_load_dwordx2 v[22:23], v[22:23], off
	s_branch .LBB182_5
.LBB182_12:
	s_mul_i32 s0, s31, s4
	s_mul_hi_u32 s1, s30, s4
	s_add_i32 s1, s1, s0
	s_mul_i32 s0, s30, s4
	s_lshl_b64 s[0:1], s[0:1], 3
	s_add_u32 s4, s26, s0
	v_add_u32_e32 v14, s33, v11
	s_addc_u32 s5, s27, s1
	v_add_u32_e32 v8, s25, v9
	v_ashrrev_i32_e32 v9, 31, v14
	v_mad_u64_u32 v[10:11], s[0:1], s28, v14, 0
	v_mul_lo_u32 v9, s28, v9
	v_mul_lo_u32 v12, s29, v14
	v_cmp_neq_f64_e64 s[0:1], s[6:7], 0
	s_waitcnt lgkmcnt(0)
	v_cmp_gt_i32_e64 s[2:3], s24, v14
	v_add3_u32 v11, v11, v9, v12
	v_cmp_le_i32_e32 vcc, v8, v14
	v_cndmask_b32_e64 v12, 0, 1, s[0:1]
	v_lshl_add_u64 v[10:11], v[10:11], 3, s[4:5]
	s_and_b64 s[10:11], s[2:3], vcc
	v_ashrrev_i32_e32 v9, 31, v8
	v_cmp_ne_u32_e64 s[0:1], 1, v12
	s_and_saveexec_b64 s[8:9], s[10:11]
	s_cbranch_execz .LBB182_16
; %bb.13:
	v_mul_f64 v[6:7], s[34:35], v[6:7]
	s_and_b64 vcc, exec, s[0:1]
	v_lshl_add_u64 v[12:13], v[8:9], 3, v[10:11]
	s_cbranch_vccnz .LBB182_15
; %bb.14:
	global_load_dwordx2 v[16:17], v[12:13], off
	s_waitcnt vmcnt(0)
	v_fmac_f64_e32 v[6:7], s[6:7], v[16:17]
.LBB182_15:
	global_store_dwordx2 v[12:13], v[6:7], off
.LBB182_16:
	s_or_b64 exec, exec, s[8:9]
	v_add_u32_e32 v6, 16, v8
	v_cmp_le_i32_e32 vcc, v6, v14
	s_and_b64 s[8:9], s[2:3], vcc
	v_ashrrev_i32_e32 v7, 31, v6
	s_and_saveexec_b64 s[2:3], s[8:9]
	s_cbranch_execz .LBB182_20
; %bb.17:
	v_mul_f64 v[4:5], s[34:35], v[4:5]
	s_and_b64 vcc, exec, s[0:1]
	v_lshl_add_u64 v[10:11], v[6:7], 3, v[10:11]
	s_cbranch_vccnz .LBB182_19
; %bb.18:
	global_load_dwordx2 v[12:13], v[10:11], off
	s_waitcnt vmcnt(0)
	v_fmac_f64_e32 v[4:5], s[6:7], v[12:13]
.LBB182_19:
	global_store_dwordx2 v[10:11], v[4:5], off
.LBB182_20:
	s_or_b64 exec, exec, s[2:3]
	v_add_u32_e32 v10, 16, v14
	v_ashrrev_i32_e32 v4, 31, v10
	v_mul_lo_u32 v11, s28, v4
	v_mul_lo_u32 v12, s29, v10
	v_mad_u64_u32 v[4:5], s[8:9], s28, v10, 0
	v_cmp_gt_i32_e64 s[2:3], s24, v10
	v_add3_u32 v5, v5, v11, v12
	v_cmp_le_i32_e32 vcc, v8, v10
	v_lshl_add_u64 v[4:5], v[4:5], 3, s[4:5]
	s_and_b64 s[8:9], s[2:3], vcc
	s_and_saveexec_b64 s[4:5], s[8:9]
	s_cbranch_execz .LBB182_24
; %bb.21:
	v_mul_f64 v[2:3], s[34:35], v[2:3]
	s_and_b64 vcc, exec, s[0:1]
	v_lshl_add_u64 v[8:9], v[8:9], 3, v[4:5]
	s_cbranch_vccnz .LBB182_23
; %bb.22:
	global_load_dwordx2 v[12:13], v[8:9], off
	s_waitcnt vmcnt(0)
	v_fmac_f64_e32 v[2:3], s[6:7], v[12:13]
.LBB182_23:
	global_store_dwordx2 v[8:9], v[2:3], off
.LBB182_24:
	s_or_b64 exec, exec, s[4:5]
	v_cmp_le_i32_e32 vcc, v6, v10
	s_and_b64 s[2:3], s[2:3], vcc
	s_and_saveexec_b64 s[4:5], s[2:3]
	s_cbranch_execz .LBB182_28
; %bb.25:
	v_mul_f64 v[0:1], s[34:35], v[0:1]
	s_and_b64 vcc, exec, s[0:1]
	v_lshl_add_u64 v[2:3], v[6:7], 3, v[4:5]
	s_cbranch_vccnz .LBB182_27
; %bb.26:
	global_load_dwordx2 v[4:5], v[2:3], off
	s_waitcnt vmcnt(0)
	v_fmac_f64_e32 v[0:1], s[6:7], v[4:5]
.LBB182_27:
	global_store_dwordx2 v[2:3], v[0:1], off
.LBB182_28:
	s_endpgm
	.section	.rodata,"a",@progbits
	.p2align	6, 0x0
	.amdhsa_kernel _ZL29rocblas_internal_gemmt_kernelIlLi16ELi32ELi8ELc78ELc67ELc85ELb0ELb0EdPKdS1_PdEviT_T9_T10_S3_lS5_S3_lS4_T11_S3_li
		.amdhsa_group_segment_fixed_size 4096
		.amdhsa_private_segment_fixed_size 0
		.amdhsa_kernarg_size 108
		.amdhsa_user_sgpr_count 2
		.amdhsa_user_sgpr_dispatch_ptr 0
		.amdhsa_user_sgpr_queue_ptr 0
		.amdhsa_user_sgpr_kernarg_segment_ptr 1
		.amdhsa_user_sgpr_dispatch_id 0
		.amdhsa_user_sgpr_kernarg_preload_length 0
		.amdhsa_user_sgpr_kernarg_preload_offset 0
		.amdhsa_user_sgpr_private_segment_size 0
		.amdhsa_uses_dynamic_stack 0
		.amdhsa_enable_private_segment 0
		.amdhsa_system_sgpr_workgroup_id_x 1
		.amdhsa_system_sgpr_workgroup_id_y 1
		.amdhsa_system_sgpr_workgroup_id_z 1
		.amdhsa_system_sgpr_workgroup_info 0
		.amdhsa_system_vgpr_workitem_id 1
		.amdhsa_next_free_vgpr 54
		.amdhsa_next_free_sgpr 36
		.amdhsa_accum_offset 56
		.amdhsa_reserve_vcc 1
		.amdhsa_float_round_mode_32 0
		.amdhsa_float_round_mode_16_64 0
		.amdhsa_float_denorm_mode_32 3
		.amdhsa_float_denorm_mode_16_64 3
		.amdhsa_dx10_clamp 1
		.amdhsa_ieee_mode 1
		.amdhsa_fp16_overflow 0
		.amdhsa_tg_split 0
		.amdhsa_exception_fp_ieee_invalid_op 0
		.amdhsa_exception_fp_denorm_src 0
		.amdhsa_exception_fp_ieee_div_zero 0
		.amdhsa_exception_fp_ieee_overflow 0
		.amdhsa_exception_fp_ieee_underflow 0
		.amdhsa_exception_fp_ieee_inexact 0
		.amdhsa_exception_int_div_zero 0
	.end_amdhsa_kernel
	.section	.text._ZL29rocblas_internal_gemmt_kernelIlLi16ELi32ELi8ELc78ELc67ELc85ELb0ELb0EdPKdS1_PdEviT_T9_T10_S3_lS5_S3_lS4_T11_S3_li,"axG",@progbits,_ZL29rocblas_internal_gemmt_kernelIlLi16ELi32ELi8ELc78ELc67ELc85ELb0ELb0EdPKdS1_PdEviT_T9_T10_S3_lS5_S3_lS4_T11_S3_li,comdat
.Lfunc_end182:
	.size	_ZL29rocblas_internal_gemmt_kernelIlLi16ELi32ELi8ELc78ELc67ELc85ELb0ELb0EdPKdS1_PdEviT_T9_T10_S3_lS5_S3_lS4_T11_S3_li, .Lfunc_end182-_ZL29rocblas_internal_gemmt_kernelIlLi16ELi32ELi8ELc78ELc67ELc85ELb0ELb0EdPKdS1_PdEviT_T9_T10_S3_lS5_S3_lS4_T11_S3_li
                                        ; -- End function
	.set _ZL29rocblas_internal_gemmt_kernelIlLi16ELi32ELi8ELc78ELc67ELc85ELb0ELb0EdPKdS1_PdEviT_T9_T10_S3_lS5_S3_lS4_T11_S3_li.num_vgpr, 54
	.set _ZL29rocblas_internal_gemmt_kernelIlLi16ELi32ELi8ELc78ELc67ELc85ELb0ELb0EdPKdS1_PdEviT_T9_T10_S3_lS5_S3_lS4_T11_S3_li.num_agpr, 0
	.set _ZL29rocblas_internal_gemmt_kernelIlLi16ELi32ELi8ELc78ELc67ELc85ELb0ELb0EdPKdS1_PdEviT_T9_T10_S3_lS5_S3_lS4_T11_S3_li.numbered_sgpr, 36
	.set _ZL29rocblas_internal_gemmt_kernelIlLi16ELi32ELi8ELc78ELc67ELc85ELb0ELb0EdPKdS1_PdEviT_T9_T10_S3_lS5_S3_lS4_T11_S3_li.num_named_barrier, 0
	.set _ZL29rocblas_internal_gemmt_kernelIlLi16ELi32ELi8ELc78ELc67ELc85ELb0ELb0EdPKdS1_PdEviT_T9_T10_S3_lS5_S3_lS4_T11_S3_li.private_seg_size, 0
	.set _ZL29rocblas_internal_gemmt_kernelIlLi16ELi32ELi8ELc78ELc67ELc85ELb0ELb0EdPKdS1_PdEviT_T9_T10_S3_lS5_S3_lS4_T11_S3_li.uses_vcc, 1
	.set _ZL29rocblas_internal_gemmt_kernelIlLi16ELi32ELi8ELc78ELc67ELc85ELb0ELb0EdPKdS1_PdEviT_T9_T10_S3_lS5_S3_lS4_T11_S3_li.uses_flat_scratch, 0
	.set _ZL29rocblas_internal_gemmt_kernelIlLi16ELi32ELi8ELc78ELc67ELc85ELb0ELb0EdPKdS1_PdEviT_T9_T10_S3_lS5_S3_lS4_T11_S3_li.has_dyn_sized_stack, 0
	.set _ZL29rocblas_internal_gemmt_kernelIlLi16ELi32ELi8ELc78ELc67ELc85ELb0ELb0EdPKdS1_PdEviT_T9_T10_S3_lS5_S3_lS4_T11_S3_li.has_recursion, 0
	.set _ZL29rocblas_internal_gemmt_kernelIlLi16ELi32ELi8ELc78ELc67ELc85ELb0ELb0EdPKdS1_PdEviT_T9_T10_S3_lS5_S3_lS4_T11_S3_li.has_indirect_call, 0
	.section	.AMDGPU.csdata,"",@progbits
; Kernel info:
; codeLenInByte = 1332
; TotalNumSgprs: 42
; NumVgprs: 54
; NumAgprs: 0
; TotalNumVgprs: 54
; ScratchSize: 0
; MemoryBound: 0
; FloatMode: 240
; IeeeMode: 1
; LDSByteSize: 4096 bytes/workgroup (compile time only)
; SGPRBlocks: 5
; VGPRBlocks: 6
; NumSGPRsForWavesPerEU: 42
; NumVGPRsForWavesPerEU: 54
; AccumOffset: 56
; Occupancy: 8
; WaveLimiterHint : 0
; COMPUTE_PGM_RSRC2:SCRATCH_EN: 0
; COMPUTE_PGM_RSRC2:USER_SGPR: 2
; COMPUTE_PGM_RSRC2:TRAP_HANDLER: 0
; COMPUTE_PGM_RSRC2:TGID_X_EN: 1
; COMPUTE_PGM_RSRC2:TGID_Y_EN: 1
; COMPUTE_PGM_RSRC2:TGID_Z_EN: 1
; COMPUTE_PGM_RSRC2:TIDIG_COMP_CNT: 1
; COMPUTE_PGM_RSRC3_GFX90A:ACCUM_OFFSET: 13
; COMPUTE_PGM_RSRC3_GFX90A:TG_SPLIT: 0
	.section	.text._ZL29rocblas_internal_gemmt_kernelIlLi16ELi32ELi8ELc84ELc78ELc85ELb0ELb0EdPKdS1_PdEviT_T9_T10_S3_lS5_S3_lS4_T11_S3_li,"axG",@progbits,_ZL29rocblas_internal_gemmt_kernelIlLi16ELi32ELi8ELc84ELc78ELc85ELb0ELb0EdPKdS1_PdEviT_T9_T10_S3_lS5_S3_lS4_T11_S3_li,comdat
	.globl	_ZL29rocblas_internal_gemmt_kernelIlLi16ELi32ELi8ELc84ELc78ELc85ELb0ELb0EdPKdS1_PdEviT_T9_T10_S3_lS5_S3_lS4_T11_S3_li ; -- Begin function _ZL29rocblas_internal_gemmt_kernelIlLi16ELi32ELi8ELc84ELc78ELc85ELb0ELb0EdPKdS1_PdEviT_T9_T10_S3_lS5_S3_lS4_T11_S3_li
	.p2align	8
	.type	_ZL29rocblas_internal_gemmt_kernelIlLi16ELi32ELi8ELc84ELc78ELc85ELb0ELb0EdPKdS1_PdEviT_T9_T10_S3_lS5_S3_lS4_T11_S3_li,@function
_ZL29rocblas_internal_gemmt_kernelIlLi16ELi32ELi8ELc84ELc78ELc85ELb0ELb0EdPKdS1_PdEviT_T9_T10_S3_lS5_S3_lS4_T11_S3_li: ; @_ZL29rocblas_internal_gemmt_kernelIlLi16ELi32ELi8ELc84ELc78ELc85ELb0ELb0EdPKdS1_PdEviT_T9_T10_S3_lS5_S3_lS4_T11_S3_li
; %bb.0:
	s_load_dwordx8 s[24:31], s[0:1], 0x48
	s_load_dwordx16 s[8:23], s[0:1], 0x8
	s_waitcnt lgkmcnt(0)
	s_load_dwordx2 s[6:7], s[24:25], 0x0
	s_load_dwordx2 s[34:35], s[10:11], 0x0
	s_waitcnt lgkmcnt(0)
	v_cmp_neq_f64_e64 s[10:11], s[6:7], 1.0
	s_and_b64 vcc, exec, s[10:11]
	s_cbranch_vccnz .LBB183_2
; %bb.1:
	s_cmp_lg_u64 s[8:9], 0
	s_cselect_b64 s[10:11], -1, 0
	v_cmp_neq_f64_e64 s[24:25], s[34:35], 0
	s_and_b64 s[10:11], s[10:11], s[24:25]
.LBB183_2:
	s_andn2_b64 vcc, exec, s[10:11]
	s_cbranch_vccnz .LBB183_28
; %bb.3:
	s_load_dword s24, s[0:1], 0x0
	s_lshl_b32 s25, s2, 5
	s_lshl_b32 s33, s3, 5
	v_cmp_eq_f64_e64 s[0:1], s[34:35], 0
	v_cmp_lt_i64_e64 s[2:3], s[8:9], 1
	s_or_b64 s[0:1], s[0:1], s[2:3]
	v_and_b32_e32 v7, 0x3ff, v0
	v_bfe_u32 v9, v0, 10, 10
	v_mov_b64_e32 v[10:11], 0
	s_and_b64 vcc, exec, s[0:1]
	v_mov_b64_e32 v[4:5], 0
	v_mov_b64_e32 v[2:3], 0
	;; [unrolled: 1-line block ×3, first 2 shown]
	s_cbranch_vccnz .LBB183_12
; %bb.4:
	s_mul_i32 s0, s23, s4
	s_mul_hi_u32 s1, s22, s4
	s_add_i32 s1, s1, s0
	s_mul_i32 s0, s22, s4
	s_lshl_b64 s[0:1], s[0:1], 3
	s_add_u32 s10, s18, s0
	s_addc_u32 s11, s19, s1
	s_mul_i32 s0, s17, s4
	s_mul_hi_u32 s1, s16, s4
	s_add_i32 s1, s1, s0
	s_mul_i32 s0, s16, s4
	v_lshl_add_u32 v0, v9, 4, v7
	s_lshl_b64 s[0:1], s[0:1], 3
	v_lshrrev_b32_e32 v8, 5, v0
	v_lshrrev_b32_e32 v2, 3, v0
	v_and_b32_e32 v0, 31, v0
	s_add_u32 s2, s12, s0
	v_or_b32_e32 v1, s25, v0
	s_addc_u32 s3, s13, s1
	v_lshlrev_b32_e32 v0, 3, v0
	s_ashr_i32 s5, s25, 31
	s_waitcnt lgkmcnt(0)
	v_cmp_gt_i32_e64 s[0:1], s24, v1
	v_lshl_or_b32 v18, v8, 8, v0
	v_mul_lo_u32 v4, s15, v1
	v_mad_u64_u32 v[0:1], s[12:13], s14, v1, 0
	s_mul_i32 s5, s14, s5
	v_and_b32_e32 v6, 7, v7
	v_add3_u32 v1, v1, s5, v4
	v_lshl_add_u64 v[12:13], v[0:1], 3, s[2:3]
	v_lshlrev_b32_e32 v0, 3, v6
	v_add_u32_e32 v3, s33, v2
	v_lshl_or_b32 v0, v2, 6, v0
	v_add_u32_e32 v19, 0x800, v0
	v_ashrrev_i32_e32 v0, 31, v3
	v_mul_lo_u32 v2, s20, v0
	v_mul_lo_u32 v4, s21, v3
	v_mad_u64_u32 v[0:1], s[12:13], s20, v3, 0
	v_add3_u32 v1, v1, v2, v4
	v_lshl_add_u64 v[14:15], v[0:1], 3, s[10:11]
	v_mov_b32_e32 v0, 0x800
	v_cmp_gt_i32_e64 s[2:3], s24, v3
	v_lshlrev_b32_e32 v20, 3, v7
	v_lshl_add_u32 v21, v9, 6, v0
	v_mov_b32_e32 v17, 0
	v_mov_b64_e32 v[0:1], 0
	s_mov_b64 s[10:11], 0
	v_mov_b64_e32 v[2:3], 0
	v_mov_b64_e32 v[4:5], 0
	;; [unrolled: 1-line block ×3, first 2 shown]
	s_branch .LBB183_6
.LBB183_5:                              ;   in Loop: Header=BB183_6 Depth=1
	s_or_b64 exec, exec, s[12:13]
	s_waitcnt vmcnt(0)
	ds_write_b64 v19, v[22:23]
	s_waitcnt lgkmcnt(0)
	s_barrier
	ds_read2_b64 v[22:25], v20 offset1:16
	ds_read_b128 v[26:29], v21
	ds_read_b128 v[30:33], v21 offset:16
	ds_read_b128 v[34:37], v21 offset:32
	;; [unrolled: 1-line block ×4, first 2 shown]
	ds_read2_b64 v[46:49], v20 offset0:32 offset1:48
	s_waitcnt lgkmcnt(5)
	v_fmac_f64_e32 v[10:11], v[22:23], v[26:27]
	v_fmac_f64_e32 v[4:5], v[24:25], v[26:27]
	ds_read_b128 v[50:53], v21 offset:1040
	s_waitcnt lgkmcnt(2)
	v_fmac_f64_e32 v[2:3], v[22:23], v[42:43]
	v_fmac_f64_e32 v[0:1], v[24:25], v[42:43]
	ds_read2_b64 v[22:25], v20 offset0:64 offset1:80
	s_waitcnt lgkmcnt(2)
	v_fmac_f64_e32 v[10:11], v[46:47], v[28:29]
	v_fmac_f64_e32 v[4:5], v[48:49], v[28:29]
	ds_read2_b64 v[26:29], v20 offset0:96 offset1:112
	v_fmac_f64_e32 v[2:3], v[46:47], v[44:45]
	v_fmac_f64_e32 v[0:1], v[48:49], v[44:45]
	s_waitcnt lgkmcnt(1)
	v_fmac_f64_e32 v[10:11], v[22:23], v[30:31]
	v_fmac_f64_e32 v[4:5], v[24:25], v[30:31]
	ds_read_b128 v[42:45], v21 offset:1072
	v_fmac_f64_e32 v[2:3], v[22:23], v[50:51]
	v_fmac_f64_e32 v[0:1], v[24:25], v[50:51]
	s_waitcnt lgkmcnt(1)
	v_fmac_f64_e32 v[10:11], v[26:27], v[32:33]
	ds_read2_b64 v[22:25], v20 offset0:128 offset1:144
	v_fmac_f64_e32 v[4:5], v[28:29], v[32:33]
	v_fmac_f64_e32 v[2:3], v[26:27], v[52:53]
	v_fmac_f64_e32 v[0:1], v[28:29], v[52:53]
	ds_read_b128 v[26:29], v21 offset:1056
	ds_read2_b64 v[30:33], v20 offset0:160 offset1:176
	s_waitcnt lgkmcnt(2)
	v_fmac_f64_e32 v[10:11], v[22:23], v[34:35]
	v_fmac_f64_e32 v[4:5], v[24:25], v[34:35]
	s_add_u32 s10, s10, 8
	s_waitcnt lgkmcnt(1)
	v_fmac_f64_e32 v[2:3], v[22:23], v[26:27]
	v_fmac_f64_e32 v[0:1], v[24:25], v[26:27]
	ds_read2_b64 v[22:25], v20 offset0:192 offset1:208
	s_waitcnt lgkmcnt(1)
	v_fmac_f64_e32 v[2:3], v[30:31], v[28:29]
	v_fmac_f64_e32 v[0:1], v[32:33], v[28:29]
	ds_read2_b64 v[26:29], v20 offset0:224 offset1:240
	v_fmac_f64_e32 v[10:11], v[30:31], v[36:37]
	s_addc_u32 s11, s11, 0
	v_fmac_f64_e32 v[4:5], v[32:33], v[36:37]
	s_waitcnt lgkmcnt(1)
	v_fmac_f64_e32 v[10:11], v[22:23], v[38:39]
	v_fmac_f64_e32 v[2:3], v[22:23], v[42:43]
	v_mov_b64_e32 v[22:23], s[10:11]
	v_fmac_f64_e32 v[4:5], v[24:25], v[38:39]
	v_fmac_f64_e32 v[0:1], v[24:25], v[42:43]
	v_cmp_gt_i64_e32 vcc, s[8:9], v[22:23]
	s_waitcnt lgkmcnt(0)
	v_fmac_f64_e32 v[10:11], v[26:27], v[40:41]
	v_fmac_f64_e32 v[4:5], v[28:29], v[40:41]
	;; [unrolled: 1-line block ×4, first 2 shown]
	s_barrier
	s_cbranch_vccz .LBB183_12
.LBB183_6:                              ; =>This Inner Loop Header: Depth=1
	v_mov_b64_e32 v[22:23], 0
	s_and_saveexec_b64 s[12:13], s[0:1]
	s_cbranch_execz .LBB183_10
; %bb.7:                                ;   in Loop: Header=BB183_6 Depth=1
	v_add_u32_e32 v16, s10, v8
	v_cmp_gt_u64_e32 vcc, s[8:9], v[16:17]
	v_mov_b64_e32 v[22:23], 0
	s_and_saveexec_b64 s[14:15], vcc
	s_cbranch_execz .LBB183_9
; %bb.8:                                ;   in Loop: Header=BB183_6 Depth=1
	v_lshl_add_u64 v[22:23], v[16:17], 3, v[12:13]
	global_load_dwordx2 v[22:23], v[22:23], off
.LBB183_9:                              ;   in Loop: Header=BB183_6 Depth=1
	s_or_b64 exec, exec, s[14:15]
.LBB183_10:                             ;   in Loop: Header=BB183_6 Depth=1
	s_or_b64 exec, exec, s[12:13]
	v_add_u32_e32 v16, s10, v6
	v_cmp_gt_u64_e32 vcc, s[8:9], v[16:17]
	s_waitcnt vmcnt(0)
	ds_write_b64 v18, v[22:23]
	s_and_b64 s[14:15], vcc, s[2:3]
	v_mov_b64_e32 v[22:23], 0
	s_and_saveexec_b64 s[12:13], s[14:15]
	s_cbranch_execz .LBB183_5
; %bb.11:                               ;   in Loop: Header=BB183_6 Depth=1
	v_lshl_add_u64 v[22:23], v[16:17], 3, v[14:15]
	global_load_dwordx2 v[22:23], v[22:23], off
	s_branch .LBB183_5
.LBB183_12:
	s_mul_i32 s0, s31, s4
	s_mul_hi_u32 s1, s30, s4
	s_add_i32 s1, s1, s0
	s_mul_i32 s0, s30, s4
	s_lshl_b64 s[0:1], s[0:1], 3
	v_add_u32_e32 v14, s33, v9
	s_add_u32 s4, s26, s0
	v_add_u32_e32 v6, s25, v7
	v_ashrrev_i32_e32 v7, 31, v14
	s_addc_u32 s5, s27, s1
	v_mul_lo_u32 v7, s28, v7
	v_mul_lo_u32 v12, s29, v14
	v_mad_u64_u32 v[8:9], s[0:1], s28, v14, 0
	v_add3_u32 v9, v9, v7, v12
	v_cmp_neq_f64_e64 s[0:1], s[6:7], 0
	s_waitcnt lgkmcnt(0)
	v_cmp_gt_i32_e64 s[2:3], s24, v14
	v_lshl_add_u64 v[12:13], v[8:9], 3, s[4:5]
	v_cmp_le_i32_e32 vcc, v6, v14
	v_cndmask_b32_e64 v8, 0, 1, s[0:1]
	s_and_b64 s[10:11], s[2:3], vcc
	v_ashrrev_i32_e32 v7, 31, v6
	v_cmp_ne_u32_e64 s[0:1], 1, v8
	s_and_saveexec_b64 s[8:9], s[10:11]
	s_cbranch_execz .LBB183_16
; %bb.13:
	v_mul_f64 v[8:9], s[34:35], v[10:11]
	s_and_b64 vcc, exec, s[0:1]
	v_lshl_add_u64 v[10:11], v[6:7], 3, v[12:13]
	s_cbranch_vccnz .LBB183_15
; %bb.14:
	global_load_dwordx2 v[16:17], v[10:11], off
	s_waitcnt vmcnt(0)
	v_fmac_f64_e32 v[8:9], s[6:7], v[16:17]
.LBB183_15:
	global_store_dwordx2 v[10:11], v[8:9], off
.LBB183_16:
	s_or_b64 exec, exec, s[8:9]
	v_add_u32_e32 v8, 16, v6
	v_cmp_le_i32_e32 vcc, v8, v14
	s_and_b64 s[8:9], s[2:3], vcc
	v_ashrrev_i32_e32 v9, 31, v8
	s_and_saveexec_b64 s[2:3], s[8:9]
	s_cbranch_execz .LBB183_20
; %bb.17:
	v_mul_f64 v[4:5], s[34:35], v[4:5]
	s_and_b64 vcc, exec, s[0:1]
	v_lshl_add_u64 v[10:11], v[8:9], 3, v[12:13]
	s_cbranch_vccnz .LBB183_19
; %bb.18:
	global_load_dwordx2 v[12:13], v[10:11], off
	s_waitcnt vmcnt(0)
	v_fmac_f64_e32 v[4:5], s[6:7], v[12:13]
.LBB183_19:
	global_store_dwordx2 v[10:11], v[4:5], off
.LBB183_20:
	s_or_b64 exec, exec, s[2:3]
	v_add_u32_e32 v10, 16, v14
	v_ashrrev_i32_e32 v4, 31, v10
	v_mul_lo_u32 v11, s28, v4
	v_mul_lo_u32 v12, s29, v10
	v_mad_u64_u32 v[4:5], s[8:9], s28, v10, 0
	v_cmp_gt_i32_e64 s[2:3], s24, v10
	v_add3_u32 v5, v5, v11, v12
	v_cmp_le_i32_e32 vcc, v6, v10
	v_lshl_add_u64 v[4:5], v[4:5], 3, s[4:5]
	s_and_b64 s[8:9], s[2:3], vcc
	s_and_saveexec_b64 s[4:5], s[8:9]
	s_cbranch_execz .LBB183_24
; %bb.21:
	v_mul_f64 v[2:3], s[34:35], v[2:3]
	s_and_b64 vcc, exec, s[0:1]
	v_lshl_add_u64 v[6:7], v[6:7], 3, v[4:5]
	s_cbranch_vccnz .LBB183_23
; %bb.22:
	global_load_dwordx2 v[12:13], v[6:7], off
	s_waitcnt vmcnt(0)
	v_fmac_f64_e32 v[2:3], s[6:7], v[12:13]
.LBB183_23:
	global_store_dwordx2 v[6:7], v[2:3], off
.LBB183_24:
	s_or_b64 exec, exec, s[4:5]
	v_cmp_le_i32_e32 vcc, v8, v10
	s_and_b64 s[2:3], s[2:3], vcc
	s_and_saveexec_b64 s[4:5], s[2:3]
	s_cbranch_execz .LBB183_28
; %bb.25:
	v_mul_f64 v[0:1], s[34:35], v[0:1]
	s_and_b64 vcc, exec, s[0:1]
	v_lshl_add_u64 v[2:3], v[8:9], 3, v[4:5]
	s_cbranch_vccnz .LBB183_27
; %bb.26:
	global_load_dwordx2 v[4:5], v[2:3], off
	s_waitcnt vmcnt(0)
	v_fmac_f64_e32 v[0:1], s[6:7], v[4:5]
.LBB183_27:
	global_store_dwordx2 v[2:3], v[0:1], off
.LBB183_28:
	s_endpgm
	.section	.rodata,"a",@progbits
	.p2align	6, 0x0
	.amdhsa_kernel _ZL29rocblas_internal_gemmt_kernelIlLi16ELi32ELi8ELc84ELc78ELc85ELb0ELb0EdPKdS1_PdEviT_T9_T10_S3_lS5_S3_lS4_T11_S3_li
		.amdhsa_group_segment_fixed_size 4096
		.amdhsa_private_segment_fixed_size 0
		.amdhsa_kernarg_size 108
		.amdhsa_user_sgpr_count 2
		.amdhsa_user_sgpr_dispatch_ptr 0
		.amdhsa_user_sgpr_queue_ptr 0
		.amdhsa_user_sgpr_kernarg_segment_ptr 1
		.amdhsa_user_sgpr_dispatch_id 0
		.amdhsa_user_sgpr_kernarg_preload_length 0
		.amdhsa_user_sgpr_kernarg_preload_offset 0
		.amdhsa_user_sgpr_private_segment_size 0
		.amdhsa_uses_dynamic_stack 0
		.amdhsa_enable_private_segment 0
		.amdhsa_system_sgpr_workgroup_id_x 1
		.amdhsa_system_sgpr_workgroup_id_y 1
		.amdhsa_system_sgpr_workgroup_id_z 1
		.amdhsa_system_sgpr_workgroup_info 0
		.amdhsa_system_vgpr_workitem_id 1
		.amdhsa_next_free_vgpr 54
		.amdhsa_next_free_sgpr 36
		.amdhsa_accum_offset 56
		.amdhsa_reserve_vcc 1
		.amdhsa_float_round_mode_32 0
		.amdhsa_float_round_mode_16_64 0
		.amdhsa_float_denorm_mode_32 3
		.amdhsa_float_denorm_mode_16_64 3
		.amdhsa_dx10_clamp 1
		.amdhsa_ieee_mode 1
		.amdhsa_fp16_overflow 0
		.amdhsa_tg_split 0
		.amdhsa_exception_fp_ieee_invalid_op 0
		.amdhsa_exception_fp_denorm_src 0
		.amdhsa_exception_fp_ieee_div_zero 0
		.amdhsa_exception_fp_ieee_overflow 0
		.amdhsa_exception_fp_ieee_underflow 0
		.amdhsa_exception_fp_ieee_inexact 0
		.amdhsa_exception_int_div_zero 0
	.end_amdhsa_kernel
	.section	.text._ZL29rocblas_internal_gemmt_kernelIlLi16ELi32ELi8ELc84ELc78ELc85ELb0ELb0EdPKdS1_PdEviT_T9_T10_S3_lS5_S3_lS4_T11_S3_li,"axG",@progbits,_ZL29rocblas_internal_gemmt_kernelIlLi16ELi32ELi8ELc84ELc78ELc85ELb0ELb0EdPKdS1_PdEviT_T9_T10_S3_lS5_S3_lS4_T11_S3_li,comdat
.Lfunc_end183:
	.size	_ZL29rocblas_internal_gemmt_kernelIlLi16ELi32ELi8ELc84ELc78ELc85ELb0ELb0EdPKdS1_PdEviT_T9_T10_S3_lS5_S3_lS4_T11_S3_li, .Lfunc_end183-_ZL29rocblas_internal_gemmt_kernelIlLi16ELi32ELi8ELc84ELc78ELc85ELb0ELb0EdPKdS1_PdEviT_T9_T10_S3_lS5_S3_lS4_T11_S3_li
                                        ; -- End function
	.set _ZL29rocblas_internal_gemmt_kernelIlLi16ELi32ELi8ELc84ELc78ELc85ELb0ELb0EdPKdS1_PdEviT_T9_T10_S3_lS5_S3_lS4_T11_S3_li.num_vgpr, 54
	.set _ZL29rocblas_internal_gemmt_kernelIlLi16ELi32ELi8ELc84ELc78ELc85ELb0ELb0EdPKdS1_PdEviT_T9_T10_S3_lS5_S3_lS4_T11_S3_li.num_agpr, 0
	.set _ZL29rocblas_internal_gemmt_kernelIlLi16ELi32ELi8ELc84ELc78ELc85ELb0ELb0EdPKdS1_PdEviT_T9_T10_S3_lS5_S3_lS4_T11_S3_li.numbered_sgpr, 36
	.set _ZL29rocblas_internal_gemmt_kernelIlLi16ELi32ELi8ELc84ELc78ELc85ELb0ELb0EdPKdS1_PdEviT_T9_T10_S3_lS5_S3_lS4_T11_S3_li.num_named_barrier, 0
	.set _ZL29rocblas_internal_gemmt_kernelIlLi16ELi32ELi8ELc84ELc78ELc85ELb0ELb0EdPKdS1_PdEviT_T9_T10_S3_lS5_S3_lS4_T11_S3_li.private_seg_size, 0
	.set _ZL29rocblas_internal_gemmt_kernelIlLi16ELi32ELi8ELc84ELc78ELc85ELb0ELb0EdPKdS1_PdEviT_T9_T10_S3_lS5_S3_lS4_T11_S3_li.uses_vcc, 1
	.set _ZL29rocblas_internal_gemmt_kernelIlLi16ELi32ELi8ELc84ELc78ELc85ELb0ELb0EdPKdS1_PdEviT_T9_T10_S3_lS5_S3_lS4_T11_S3_li.uses_flat_scratch, 0
	.set _ZL29rocblas_internal_gemmt_kernelIlLi16ELi32ELi8ELc84ELc78ELc85ELb0ELb0EdPKdS1_PdEviT_T9_T10_S3_lS5_S3_lS4_T11_S3_li.has_dyn_sized_stack, 0
	.set _ZL29rocblas_internal_gemmt_kernelIlLi16ELi32ELi8ELc84ELc78ELc85ELb0ELb0EdPKdS1_PdEviT_T9_T10_S3_lS5_S3_lS4_T11_S3_li.has_recursion, 0
	.set _ZL29rocblas_internal_gemmt_kernelIlLi16ELi32ELi8ELc84ELc78ELc85ELb0ELb0EdPKdS1_PdEviT_T9_T10_S3_lS5_S3_lS4_T11_S3_li.has_indirect_call, 0
	.section	.AMDGPU.csdata,"",@progbits
; Kernel info:
; codeLenInByte = 1344
; TotalNumSgprs: 42
; NumVgprs: 54
; NumAgprs: 0
; TotalNumVgprs: 54
; ScratchSize: 0
; MemoryBound: 0
; FloatMode: 240
; IeeeMode: 1
; LDSByteSize: 4096 bytes/workgroup (compile time only)
; SGPRBlocks: 5
; VGPRBlocks: 6
; NumSGPRsForWavesPerEU: 42
; NumVGPRsForWavesPerEU: 54
; AccumOffset: 56
; Occupancy: 8
; WaveLimiterHint : 0
; COMPUTE_PGM_RSRC2:SCRATCH_EN: 0
; COMPUTE_PGM_RSRC2:USER_SGPR: 2
; COMPUTE_PGM_RSRC2:TRAP_HANDLER: 0
; COMPUTE_PGM_RSRC2:TGID_X_EN: 1
; COMPUTE_PGM_RSRC2:TGID_Y_EN: 1
; COMPUTE_PGM_RSRC2:TGID_Z_EN: 1
; COMPUTE_PGM_RSRC2:TIDIG_COMP_CNT: 1
; COMPUTE_PGM_RSRC3_GFX90A:ACCUM_OFFSET: 13
; COMPUTE_PGM_RSRC3_GFX90A:TG_SPLIT: 0
	.section	.text._ZL29rocblas_internal_gemmt_kernelIlLi16ELi32ELi8ELc84ELc84ELc85ELb0ELb0EdPKdS1_PdEviT_T9_T10_S3_lS5_S3_lS4_T11_S3_li,"axG",@progbits,_ZL29rocblas_internal_gemmt_kernelIlLi16ELi32ELi8ELc84ELc84ELc85ELb0ELb0EdPKdS1_PdEviT_T9_T10_S3_lS5_S3_lS4_T11_S3_li,comdat
	.globl	_ZL29rocblas_internal_gemmt_kernelIlLi16ELi32ELi8ELc84ELc84ELc85ELb0ELb0EdPKdS1_PdEviT_T9_T10_S3_lS5_S3_lS4_T11_S3_li ; -- Begin function _ZL29rocblas_internal_gemmt_kernelIlLi16ELi32ELi8ELc84ELc84ELc85ELb0ELb0EdPKdS1_PdEviT_T9_T10_S3_lS5_S3_lS4_T11_S3_li
	.p2align	8
	.type	_ZL29rocblas_internal_gemmt_kernelIlLi16ELi32ELi8ELc84ELc84ELc85ELb0ELb0EdPKdS1_PdEviT_T9_T10_S3_lS5_S3_lS4_T11_S3_li,@function
_ZL29rocblas_internal_gemmt_kernelIlLi16ELi32ELi8ELc84ELc84ELc85ELb0ELb0EdPKdS1_PdEviT_T9_T10_S3_lS5_S3_lS4_T11_S3_li: ; @_ZL29rocblas_internal_gemmt_kernelIlLi16ELi32ELi8ELc84ELc84ELc85ELb0ELb0EdPKdS1_PdEviT_T9_T10_S3_lS5_S3_lS4_T11_S3_li
; %bb.0:
	s_load_dwordx8 s[24:31], s[0:1], 0x48
	s_load_dwordx16 s[8:23], s[0:1], 0x8
	s_waitcnt lgkmcnt(0)
	s_load_dwordx2 s[6:7], s[24:25], 0x0
	s_load_dwordx2 s[34:35], s[10:11], 0x0
	s_waitcnt lgkmcnt(0)
	v_cmp_neq_f64_e64 s[10:11], s[6:7], 1.0
	s_and_b64 vcc, exec, s[10:11]
	s_cbranch_vccnz .LBB184_2
; %bb.1:
	s_cmp_lg_u64 s[8:9], 0
	s_cselect_b64 s[10:11], -1, 0
	v_cmp_neq_f64_e64 s[24:25], s[34:35], 0
	s_and_b64 s[10:11], s[10:11], s[24:25]
.LBB184_2:
	s_andn2_b64 vcc, exec, s[10:11]
	s_cbranch_vccnz .LBB184_28
; %bb.3:
	s_load_dword s24, s[0:1], 0x0
	s_lshl_b32 s25, s2, 5
	s_lshl_b32 s33, s3, 5
	v_cmp_eq_f64_e64 s[0:1], s[34:35], 0
	v_cmp_lt_i64_e64 s[2:3], s[8:9], 1
	s_or_b64 s[0:1], s[0:1], s[2:3]
	v_and_b32_e32 v7, 0x3ff, v0
	v_bfe_u32 v11, v0, 10, 10
	v_mov_b64_e32 v[8:9], 0
	s_and_b64 vcc, exec, s[0:1]
	v_mov_b64_e32 v[4:5], 0
	v_mov_b64_e32 v[2:3], 0
	;; [unrolled: 1-line block ×3, first 2 shown]
	s_cbranch_vccnz .LBB184_12
; %bb.4:
	s_mul_i32 s0, s23, s4
	s_mul_hi_u32 s1, s22, s4
	s_add_i32 s1, s1, s0
	s_mul_i32 s0, s22, s4
	s_lshl_b64 s[0:1], s[0:1], 3
	s_add_u32 s10, s18, s0
	s_addc_u32 s11, s19, s1
	s_mul_i32 s0, s17, s4
	s_mul_hi_u32 s1, s16, s4
	s_add_i32 s1, s1, s0
	s_mul_i32 s0, s16, s4
	v_lshl_add_u32 v1, v11, 4, v7
	s_lshl_b64 s[0:1], s[0:1], 3
	v_lshrrev_b32_e32 v10, 5, v1
	v_lshrrev_b32_e32 v4, 3, v1
	v_and_b32_e32 v1, 31, v1
	s_add_u32 s2, s12, s0
	v_or_b32_e32 v2, s25, v1
	s_addc_u32 s3, s13, s1
	v_lshlrev_b32_e32 v1, 3, v1
	s_ashr_i32 s5, s25, 31
	v_and_b32_e32 v6, 7, v7
	s_waitcnt lgkmcnt(0)
	v_cmp_gt_i32_e64 s[0:1], s24, v2
	v_lshl_or_b32 v18, v10, 8, v1
	v_mul_lo_u32 v1, s15, v2
	v_mad_u64_u32 v[2:3], s[12:13], s14, v2, 0
	s_mul_i32 s5, s14, s5
	v_add3_u32 v3, v3, s5, v1
	v_lshlrev_b32_e32 v1, 3, v6
	v_add_u32_e32 v0, s33, v4
	v_lshl_or_b32 v1, v4, 6, v1
	v_add_u32_e32 v19, 0x800, v1
	v_ashrrev_i32_e32 v1, 31, v0
	v_lshl_add_u64 v[12:13], v[2:3], 3, s[2:3]
	v_cmp_gt_i32_e64 s[2:3], s24, v0
	v_lshl_add_u64 v[14:15], v[0:1], 3, s[10:11]
	v_mov_b32_e32 v0, 0x800
	v_lshlrev_b32_e32 v20, 3, v7
	v_lshl_add_u32 v21, v11, 6, v0
	v_mov_b32_e32 v17, 0
	v_mov_b64_e32 v[0:1], 0
	s_mov_b64 s[10:11], 0
	v_mov_b64_e32 v[2:3], 0
	v_mov_b64_e32 v[4:5], 0
	;; [unrolled: 1-line block ×3, first 2 shown]
	s_branch .LBB184_6
.LBB184_5:                              ;   in Loop: Header=BB184_6 Depth=1
	s_or_b64 exec, exec, s[12:13]
	s_waitcnt vmcnt(0)
	ds_write_b64 v19, v[22:23]
	s_waitcnt lgkmcnt(0)
	s_barrier
	ds_read2_b64 v[22:25], v20 offset1:16
	ds_read_b128 v[26:29], v21
	ds_read_b128 v[30:33], v21 offset:16
	ds_read_b128 v[34:37], v21 offset:32
	;; [unrolled: 1-line block ×4, first 2 shown]
	ds_read2_b64 v[46:49], v20 offset0:32 offset1:48
	s_waitcnt lgkmcnt(5)
	v_fmac_f64_e32 v[8:9], v[22:23], v[26:27]
	v_fmac_f64_e32 v[4:5], v[24:25], v[26:27]
	ds_read_b128 v[50:53], v21 offset:1040
	s_waitcnt lgkmcnt(2)
	v_fmac_f64_e32 v[2:3], v[22:23], v[42:43]
	v_fmac_f64_e32 v[0:1], v[24:25], v[42:43]
	ds_read2_b64 v[22:25], v20 offset0:64 offset1:80
	s_waitcnt lgkmcnt(2)
	v_fmac_f64_e32 v[8:9], v[46:47], v[28:29]
	v_fmac_f64_e32 v[4:5], v[48:49], v[28:29]
	ds_read2_b64 v[26:29], v20 offset0:96 offset1:112
	v_fmac_f64_e32 v[2:3], v[46:47], v[44:45]
	v_fmac_f64_e32 v[0:1], v[48:49], v[44:45]
	s_waitcnt lgkmcnt(1)
	v_fmac_f64_e32 v[8:9], v[22:23], v[30:31]
	v_fmac_f64_e32 v[4:5], v[24:25], v[30:31]
	ds_read_b128 v[42:45], v21 offset:1072
	v_fmac_f64_e32 v[2:3], v[22:23], v[50:51]
	v_fmac_f64_e32 v[0:1], v[24:25], v[50:51]
	s_waitcnt lgkmcnt(1)
	v_fmac_f64_e32 v[8:9], v[26:27], v[32:33]
	ds_read2_b64 v[22:25], v20 offset0:128 offset1:144
	v_fmac_f64_e32 v[4:5], v[28:29], v[32:33]
	v_fmac_f64_e32 v[2:3], v[26:27], v[52:53]
	;; [unrolled: 1-line block ×3, first 2 shown]
	ds_read_b128 v[26:29], v21 offset:1056
	ds_read2_b64 v[30:33], v20 offset0:160 offset1:176
	s_waitcnt lgkmcnt(2)
	v_fmac_f64_e32 v[8:9], v[22:23], v[34:35]
	v_fmac_f64_e32 v[4:5], v[24:25], v[34:35]
	s_add_u32 s10, s10, 8
	s_waitcnt lgkmcnt(1)
	v_fmac_f64_e32 v[2:3], v[22:23], v[26:27]
	v_fmac_f64_e32 v[0:1], v[24:25], v[26:27]
	ds_read2_b64 v[22:25], v20 offset0:192 offset1:208
	s_waitcnt lgkmcnt(1)
	v_fmac_f64_e32 v[2:3], v[30:31], v[28:29]
	v_fmac_f64_e32 v[0:1], v[32:33], v[28:29]
	ds_read2_b64 v[26:29], v20 offset0:224 offset1:240
	v_fmac_f64_e32 v[8:9], v[30:31], v[36:37]
	s_addc_u32 s11, s11, 0
	v_fmac_f64_e32 v[4:5], v[32:33], v[36:37]
	s_waitcnt lgkmcnt(1)
	v_fmac_f64_e32 v[8:9], v[22:23], v[38:39]
	v_fmac_f64_e32 v[2:3], v[22:23], v[42:43]
	v_mov_b64_e32 v[22:23], s[10:11]
	v_fmac_f64_e32 v[4:5], v[24:25], v[38:39]
	v_fmac_f64_e32 v[0:1], v[24:25], v[42:43]
	v_cmp_gt_i64_e32 vcc, s[8:9], v[22:23]
	s_waitcnt lgkmcnt(0)
	v_fmac_f64_e32 v[8:9], v[26:27], v[40:41]
	v_fmac_f64_e32 v[4:5], v[28:29], v[40:41]
	;; [unrolled: 1-line block ×4, first 2 shown]
	s_barrier
	s_cbranch_vccz .LBB184_12
.LBB184_6:                              ; =>This Inner Loop Header: Depth=1
	v_mov_b64_e32 v[22:23], 0
	s_and_saveexec_b64 s[12:13], s[0:1]
	s_cbranch_execz .LBB184_10
; %bb.7:                                ;   in Loop: Header=BB184_6 Depth=1
	v_add_u32_e32 v16, s10, v10
	v_cmp_gt_u64_e32 vcc, s[8:9], v[16:17]
	v_mov_b64_e32 v[22:23], 0
	s_and_saveexec_b64 s[14:15], vcc
	s_cbranch_execz .LBB184_9
; %bb.8:                                ;   in Loop: Header=BB184_6 Depth=1
	v_lshl_add_u64 v[22:23], v[16:17], 3, v[12:13]
	global_load_dwordx2 v[22:23], v[22:23], off
.LBB184_9:                              ;   in Loop: Header=BB184_6 Depth=1
	s_or_b64 exec, exec, s[14:15]
.LBB184_10:                             ;   in Loop: Header=BB184_6 Depth=1
	s_or_b64 exec, exec, s[12:13]
	v_add_u32_e32 v16, s10, v6
	v_cmp_gt_u64_e32 vcc, s[8:9], v[16:17]
	s_waitcnt vmcnt(0)
	ds_write_b64 v18, v[22:23]
	s_and_b64 s[14:15], vcc, s[2:3]
	v_mov_b64_e32 v[22:23], 0
	s_and_saveexec_b64 s[12:13], s[14:15]
	s_cbranch_execz .LBB184_5
; %bb.11:                               ;   in Loop: Header=BB184_6 Depth=1
	v_mad_u64_u32 v[22:23], s[14:15], s20, v16, 0
	v_mov_b32_e32 v24, v23
	v_mad_u64_u32 v[24:25], s[14:15], s21, v16, v[24:25]
	v_mov_b32_e32 v23, v24
	v_lshl_add_u64 v[22:23], v[22:23], 3, v[14:15]
	global_load_dwordx2 v[22:23], v[22:23], off
	s_branch .LBB184_5
.LBB184_12:
	s_mul_i32 s0, s31, s4
	s_mul_hi_u32 s1, s30, s4
	s_add_i32 s1, s1, s0
	s_mul_i32 s0, s30, s4
	s_lshl_b64 s[0:1], s[0:1], 3
	s_add_u32 s4, s26, s0
	v_add_u32_e32 v14, s33, v11
	s_addc_u32 s5, s27, s1
	v_add_u32_e32 v6, s25, v7
	v_ashrrev_i32_e32 v7, 31, v14
	v_mad_u64_u32 v[10:11], s[0:1], s28, v14, 0
	v_mul_lo_u32 v7, s28, v7
	v_mul_lo_u32 v12, s29, v14
	v_cmp_neq_f64_e64 s[0:1], s[6:7], 0
	s_waitcnt lgkmcnt(0)
	v_cmp_gt_i32_e64 s[2:3], s24, v14
	v_add3_u32 v11, v11, v7, v12
	v_cmp_le_i32_e32 vcc, v6, v14
	v_cndmask_b32_e64 v12, 0, 1, s[0:1]
	v_lshl_add_u64 v[10:11], v[10:11], 3, s[4:5]
	s_and_b64 s[10:11], s[2:3], vcc
	v_ashrrev_i32_e32 v7, 31, v6
	v_cmp_ne_u32_e64 s[0:1], 1, v12
	s_and_saveexec_b64 s[8:9], s[10:11]
	s_cbranch_execz .LBB184_16
; %bb.13:
	v_mul_f64 v[8:9], s[34:35], v[8:9]
	s_and_b64 vcc, exec, s[0:1]
	v_lshl_add_u64 v[12:13], v[6:7], 3, v[10:11]
	s_cbranch_vccnz .LBB184_15
; %bb.14:
	global_load_dwordx2 v[16:17], v[12:13], off
	s_waitcnt vmcnt(0)
	v_fmac_f64_e32 v[8:9], s[6:7], v[16:17]
.LBB184_15:
	global_store_dwordx2 v[12:13], v[8:9], off
.LBB184_16:
	s_or_b64 exec, exec, s[8:9]
	v_add_u32_e32 v8, 16, v6
	v_cmp_le_i32_e32 vcc, v8, v14
	s_and_b64 s[8:9], s[2:3], vcc
	v_ashrrev_i32_e32 v9, 31, v8
	s_and_saveexec_b64 s[2:3], s[8:9]
	s_cbranch_execz .LBB184_20
; %bb.17:
	v_mul_f64 v[4:5], s[34:35], v[4:5]
	s_and_b64 vcc, exec, s[0:1]
	v_lshl_add_u64 v[10:11], v[8:9], 3, v[10:11]
	s_cbranch_vccnz .LBB184_19
; %bb.18:
	global_load_dwordx2 v[12:13], v[10:11], off
	s_waitcnt vmcnt(0)
	v_fmac_f64_e32 v[4:5], s[6:7], v[12:13]
.LBB184_19:
	global_store_dwordx2 v[10:11], v[4:5], off
.LBB184_20:
	s_or_b64 exec, exec, s[2:3]
	v_add_u32_e32 v10, 16, v14
	v_ashrrev_i32_e32 v4, 31, v10
	v_mul_lo_u32 v11, s28, v4
	v_mul_lo_u32 v12, s29, v10
	v_mad_u64_u32 v[4:5], s[8:9], s28, v10, 0
	v_cmp_gt_i32_e64 s[2:3], s24, v10
	v_add3_u32 v5, v5, v11, v12
	v_cmp_le_i32_e32 vcc, v6, v10
	v_lshl_add_u64 v[4:5], v[4:5], 3, s[4:5]
	s_and_b64 s[8:9], s[2:3], vcc
	s_and_saveexec_b64 s[4:5], s[8:9]
	s_cbranch_execz .LBB184_24
; %bb.21:
	v_mul_f64 v[2:3], s[34:35], v[2:3]
	s_and_b64 vcc, exec, s[0:1]
	v_lshl_add_u64 v[6:7], v[6:7], 3, v[4:5]
	s_cbranch_vccnz .LBB184_23
; %bb.22:
	global_load_dwordx2 v[12:13], v[6:7], off
	s_waitcnt vmcnt(0)
	v_fmac_f64_e32 v[2:3], s[6:7], v[12:13]
.LBB184_23:
	global_store_dwordx2 v[6:7], v[2:3], off
.LBB184_24:
	s_or_b64 exec, exec, s[4:5]
	v_cmp_le_i32_e32 vcc, v8, v10
	s_and_b64 s[2:3], s[2:3], vcc
	s_and_saveexec_b64 s[4:5], s[2:3]
	s_cbranch_execz .LBB184_28
; %bb.25:
	v_mul_f64 v[0:1], s[34:35], v[0:1]
	s_and_b64 vcc, exec, s[0:1]
	v_lshl_add_u64 v[2:3], v[8:9], 3, v[4:5]
	s_cbranch_vccnz .LBB184_27
; %bb.26:
	global_load_dwordx2 v[4:5], v[2:3], off
	s_waitcnt vmcnt(0)
	v_fmac_f64_e32 v[0:1], s[6:7], v[4:5]
.LBB184_27:
	global_store_dwordx2 v[2:3], v[0:1], off
.LBB184_28:
	s_endpgm
	.section	.rodata,"a",@progbits
	.p2align	6, 0x0
	.amdhsa_kernel _ZL29rocblas_internal_gemmt_kernelIlLi16ELi32ELi8ELc84ELc84ELc85ELb0ELb0EdPKdS1_PdEviT_T9_T10_S3_lS5_S3_lS4_T11_S3_li
		.amdhsa_group_segment_fixed_size 4096
		.amdhsa_private_segment_fixed_size 0
		.amdhsa_kernarg_size 108
		.amdhsa_user_sgpr_count 2
		.amdhsa_user_sgpr_dispatch_ptr 0
		.amdhsa_user_sgpr_queue_ptr 0
		.amdhsa_user_sgpr_kernarg_segment_ptr 1
		.amdhsa_user_sgpr_dispatch_id 0
		.amdhsa_user_sgpr_kernarg_preload_length 0
		.amdhsa_user_sgpr_kernarg_preload_offset 0
		.amdhsa_user_sgpr_private_segment_size 0
		.amdhsa_uses_dynamic_stack 0
		.amdhsa_enable_private_segment 0
		.amdhsa_system_sgpr_workgroup_id_x 1
		.amdhsa_system_sgpr_workgroup_id_y 1
		.amdhsa_system_sgpr_workgroup_id_z 1
		.amdhsa_system_sgpr_workgroup_info 0
		.amdhsa_system_vgpr_workitem_id 1
		.amdhsa_next_free_vgpr 54
		.amdhsa_next_free_sgpr 36
		.amdhsa_accum_offset 56
		.amdhsa_reserve_vcc 1
		.amdhsa_float_round_mode_32 0
		.amdhsa_float_round_mode_16_64 0
		.amdhsa_float_denorm_mode_32 3
		.amdhsa_float_denorm_mode_16_64 3
		.amdhsa_dx10_clamp 1
		.amdhsa_ieee_mode 1
		.amdhsa_fp16_overflow 0
		.amdhsa_tg_split 0
		.amdhsa_exception_fp_ieee_invalid_op 0
		.amdhsa_exception_fp_denorm_src 0
		.amdhsa_exception_fp_ieee_div_zero 0
		.amdhsa_exception_fp_ieee_overflow 0
		.amdhsa_exception_fp_ieee_underflow 0
		.amdhsa_exception_fp_ieee_inexact 0
		.amdhsa_exception_int_div_zero 0
	.end_amdhsa_kernel
	.section	.text._ZL29rocblas_internal_gemmt_kernelIlLi16ELi32ELi8ELc84ELc84ELc85ELb0ELb0EdPKdS1_PdEviT_T9_T10_S3_lS5_S3_lS4_T11_S3_li,"axG",@progbits,_ZL29rocblas_internal_gemmt_kernelIlLi16ELi32ELi8ELc84ELc84ELc85ELb0ELb0EdPKdS1_PdEviT_T9_T10_S3_lS5_S3_lS4_T11_S3_li,comdat
.Lfunc_end184:
	.size	_ZL29rocblas_internal_gemmt_kernelIlLi16ELi32ELi8ELc84ELc84ELc85ELb0ELb0EdPKdS1_PdEviT_T9_T10_S3_lS5_S3_lS4_T11_S3_li, .Lfunc_end184-_ZL29rocblas_internal_gemmt_kernelIlLi16ELi32ELi8ELc84ELc84ELc85ELb0ELb0EdPKdS1_PdEviT_T9_T10_S3_lS5_S3_lS4_T11_S3_li
                                        ; -- End function
	.set _ZL29rocblas_internal_gemmt_kernelIlLi16ELi32ELi8ELc84ELc84ELc85ELb0ELb0EdPKdS1_PdEviT_T9_T10_S3_lS5_S3_lS4_T11_S3_li.num_vgpr, 54
	.set _ZL29rocblas_internal_gemmt_kernelIlLi16ELi32ELi8ELc84ELc84ELc85ELb0ELb0EdPKdS1_PdEviT_T9_T10_S3_lS5_S3_lS4_T11_S3_li.num_agpr, 0
	.set _ZL29rocblas_internal_gemmt_kernelIlLi16ELi32ELi8ELc84ELc84ELc85ELb0ELb0EdPKdS1_PdEviT_T9_T10_S3_lS5_S3_lS4_T11_S3_li.numbered_sgpr, 36
	.set _ZL29rocblas_internal_gemmt_kernelIlLi16ELi32ELi8ELc84ELc84ELc85ELb0ELb0EdPKdS1_PdEviT_T9_T10_S3_lS5_S3_lS4_T11_S3_li.num_named_barrier, 0
	.set _ZL29rocblas_internal_gemmt_kernelIlLi16ELi32ELi8ELc84ELc84ELc85ELb0ELb0EdPKdS1_PdEviT_T9_T10_S3_lS5_S3_lS4_T11_S3_li.private_seg_size, 0
	.set _ZL29rocblas_internal_gemmt_kernelIlLi16ELi32ELi8ELc84ELc84ELc85ELb0ELb0EdPKdS1_PdEviT_T9_T10_S3_lS5_S3_lS4_T11_S3_li.uses_vcc, 1
	.set _ZL29rocblas_internal_gemmt_kernelIlLi16ELi32ELi8ELc84ELc84ELc85ELb0ELb0EdPKdS1_PdEviT_T9_T10_S3_lS5_S3_lS4_T11_S3_li.uses_flat_scratch, 0
	.set _ZL29rocblas_internal_gemmt_kernelIlLi16ELi32ELi8ELc84ELc84ELc85ELb0ELb0EdPKdS1_PdEviT_T9_T10_S3_lS5_S3_lS4_T11_S3_li.has_dyn_sized_stack, 0
	.set _ZL29rocblas_internal_gemmt_kernelIlLi16ELi32ELi8ELc84ELc84ELc85ELb0ELb0EdPKdS1_PdEviT_T9_T10_S3_lS5_S3_lS4_T11_S3_li.has_recursion, 0
	.set _ZL29rocblas_internal_gemmt_kernelIlLi16ELi32ELi8ELc84ELc84ELc85ELb0ELb0EdPKdS1_PdEviT_T9_T10_S3_lS5_S3_lS4_T11_S3_li.has_indirect_call, 0
	.section	.AMDGPU.csdata,"",@progbits
; Kernel info:
; codeLenInByte = 1336
; TotalNumSgprs: 42
; NumVgprs: 54
; NumAgprs: 0
; TotalNumVgprs: 54
; ScratchSize: 0
; MemoryBound: 0
; FloatMode: 240
; IeeeMode: 1
; LDSByteSize: 4096 bytes/workgroup (compile time only)
; SGPRBlocks: 5
; VGPRBlocks: 6
; NumSGPRsForWavesPerEU: 42
; NumVGPRsForWavesPerEU: 54
; AccumOffset: 56
; Occupancy: 8
; WaveLimiterHint : 0
; COMPUTE_PGM_RSRC2:SCRATCH_EN: 0
; COMPUTE_PGM_RSRC2:USER_SGPR: 2
; COMPUTE_PGM_RSRC2:TRAP_HANDLER: 0
; COMPUTE_PGM_RSRC2:TGID_X_EN: 1
; COMPUTE_PGM_RSRC2:TGID_Y_EN: 1
; COMPUTE_PGM_RSRC2:TGID_Z_EN: 1
; COMPUTE_PGM_RSRC2:TIDIG_COMP_CNT: 1
; COMPUTE_PGM_RSRC3_GFX90A:ACCUM_OFFSET: 13
; COMPUTE_PGM_RSRC3_GFX90A:TG_SPLIT: 0
	.section	.text._ZL29rocblas_internal_gemmt_kernelIlLi16ELi32ELi8ELc84ELc67ELc85ELb0ELb0EdPKdS1_PdEviT_T9_T10_S3_lS5_S3_lS4_T11_S3_li,"axG",@progbits,_ZL29rocblas_internal_gemmt_kernelIlLi16ELi32ELi8ELc84ELc67ELc85ELb0ELb0EdPKdS1_PdEviT_T9_T10_S3_lS5_S3_lS4_T11_S3_li,comdat
	.globl	_ZL29rocblas_internal_gemmt_kernelIlLi16ELi32ELi8ELc84ELc67ELc85ELb0ELb0EdPKdS1_PdEviT_T9_T10_S3_lS5_S3_lS4_T11_S3_li ; -- Begin function _ZL29rocblas_internal_gemmt_kernelIlLi16ELi32ELi8ELc84ELc67ELc85ELb0ELb0EdPKdS1_PdEviT_T9_T10_S3_lS5_S3_lS4_T11_S3_li
	.p2align	8
	.type	_ZL29rocblas_internal_gemmt_kernelIlLi16ELi32ELi8ELc84ELc67ELc85ELb0ELb0EdPKdS1_PdEviT_T9_T10_S3_lS5_S3_lS4_T11_S3_li,@function
_ZL29rocblas_internal_gemmt_kernelIlLi16ELi32ELi8ELc84ELc67ELc85ELb0ELb0EdPKdS1_PdEviT_T9_T10_S3_lS5_S3_lS4_T11_S3_li: ; @_ZL29rocblas_internal_gemmt_kernelIlLi16ELi32ELi8ELc84ELc67ELc85ELb0ELb0EdPKdS1_PdEviT_T9_T10_S3_lS5_S3_lS4_T11_S3_li
; %bb.0:
	s_load_dwordx8 s[24:31], s[0:1], 0x48
	s_load_dwordx16 s[8:23], s[0:1], 0x8
	s_waitcnt lgkmcnt(0)
	s_load_dwordx2 s[6:7], s[24:25], 0x0
	s_load_dwordx2 s[34:35], s[10:11], 0x0
	s_waitcnt lgkmcnt(0)
	v_cmp_neq_f64_e64 s[10:11], s[6:7], 1.0
	s_and_b64 vcc, exec, s[10:11]
	s_cbranch_vccnz .LBB185_2
; %bb.1:
	s_cmp_lg_u64 s[8:9], 0
	s_cselect_b64 s[10:11], -1, 0
	v_cmp_neq_f64_e64 s[24:25], s[34:35], 0
	s_and_b64 s[10:11], s[10:11], s[24:25]
.LBB185_2:
	s_andn2_b64 vcc, exec, s[10:11]
	s_cbranch_vccnz .LBB185_28
; %bb.3:
	s_load_dword s24, s[0:1], 0x0
	s_lshl_b32 s25, s2, 5
	s_lshl_b32 s33, s3, 5
	v_cmp_eq_f64_e64 s[0:1], s[34:35], 0
	v_cmp_lt_i64_e64 s[2:3], s[8:9], 1
	s_or_b64 s[0:1], s[0:1], s[2:3]
	v_and_b32_e32 v7, 0x3ff, v0
	v_bfe_u32 v11, v0, 10, 10
	v_mov_b64_e32 v[8:9], 0
	s_and_b64 vcc, exec, s[0:1]
	v_mov_b64_e32 v[4:5], 0
	v_mov_b64_e32 v[2:3], 0
	;; [unrolled: 1-line block ×3, first 2 shown]
	s_cbranch_vccnz .LBB185_12
; %bb.4:
	s_mul_i32 s0, s23, s4
	s_mul_hi_u32 s1, s22, s4
	s_add_i32 s1, s1, s0
	s_mul_i32 s0, s22, s4
	s_lshl_b64 s[0:1], s[0:1], 3
	s_add_u32 s10, s18, s0
	s_addc_u32 s11, s19, s1
	s_mul_i32 s0, s17, s4
	s_mul_hi_u32 s1, s16, s4
	s_add_i32 s1, s1, s0
	s_mul_i32 s0, s16, s4
	v_lshl_add_u32 v1, v11, 4, v7
	s_lshl_b64 s[0:1], s[0:1], 3
	v_lshrrev_b32_e32 v10, 5, v1
	v_lshrrev_b32_e32 v4, 3, v1
	v_and_b32_e32 v1, 31, v1
	s_add_u32 s2, s12, s0
	v_or_b32_e32 v2, s25, v1
	s_addc_u32 s3, s13, s1
	v_lshlrev_b32_e32 v1, 3, v1
	s_ashr_i32 s5, s25, 31
	v_and_b32_e32 v6, 7, v7
	s_waitcnt lgkmcnt(0)
	v_cmp_gt_i32_e64 s[0:1], s24, v2
	v_lshl_or_b32 v18, v10, 8, v1
	v_mul_lo_u32 v1, s15, v2
	v_mad_u64_u32 v[2:3], s[12:13], s14, v2, 0
	s_mul_i32 s5, s14, s5
	v_add3_u32 v3, v3, s5, v1
	v_lshlrev_b32_e32 v1, 3, v6
	v_add_u32_e32 v0, s33, v4
	v_lshl_or_b32 v1, v4, 6, v1
	v_add_u32_e32 v19, 0x800, v1
	v_ashrrev_i32_e32 v1, 31, v0
	v_lshl_add_u64 v[12:13], v[2:3], 3, s[2:3]
	v_cmp_gt_i32_e64 s[2:3], s24, v0
	v_lshl_add_u64 v[14:15], v[0:1], 3, s[10:11]
	v_mov_b32_e32 v0, 0x800
	v_lshlrev_b32_e32 v20, 3, v7
	v_lshl_add_u32 v21, v11, 6, v0
	v_mov_b32_e32 v17, 0
	v_mov_b64_e32 v[0:1], 0
	s_mov_b64 s[10:11], 0
	v_mov_b64_e32 v[2:3], 0
	v_mov_b64_e32 v[4:5], 0
	;; [unrolled: 1-line block ×3, first 2 shown]
	s_branch .LBB185_6
.LBB185_5:                              ;   in Loop: Header=BB185_6 Depth=1
	s_or_b64 exec, exec, s[12:13]
	s_waitcnt vmcnt(0)
	ds_write_b64 v19, v[22:23]
	s_waitcnt lgkmcnt(0)
	s_barrier
	ds_read2_b64 v[22:25], v20 offset1:16
	ds_read_b128 v[26:29], v21
	ds_read_b128 v[30:33], v21 offset:16
	ds_read_b128 v[34:37], v21 offset:32
	;; [unrolled: 1-line block ×4, first 2 shown]
	ds_read2_b64 v[46:49], v20 offset0:32 offset1:48
	s_waitcnt lgkmcnt(5)
	v_fmac_f64_e32 v[8:9], v[22:23], v[26:27]
	v_fmac_f64_e32 v[4:5], v[24:25], v[26:27]
	ds_read_b128 v[50:53], v21 offset:1040
	s_waitcnt lgkmcnt(2)
	v_fmac_f64_e32 v[2:3], v[22:23], v[42:43]
	v_fmac_f64_e32 v[0:1], v[24:25], v[42:43]
	ds_read2_b64 v[22:25], v20 offset0:64 offset1:80
	s_waitcnt lgkmcnt(2)
	v_fmac_f64_e32 v[8:9], v[46:47], v[28:29]
	v_fmac_f64_e32 v[4:5], v[48:49], v[28:29]
	ds_read2_b64 v[26:29], v20 offset0:96 offset1:112
	v_fmac_f64_e32 v[2:3], v[46:47], v[44:45]
	v_fmac_f64_e32 v[0:1], v[48:49], v[44:45]
	s_waitcnt lgkmcnt(1)
	v_fmac_f64_e32 v[8:9], v[22:23], v[30:31]
	v_fmac_f64_e32 v[4:5], v[24:25], v[30:31]
	ds_read_b128 v[42:45], v21 offset:1072
	v_fmac_f64_e32 v[2:3], v[22:23], v[50:51]
	v_fmac_f64_e32 v[0:1], v[24:25], v[50:51]
	s_waitcnt lgkmcnt(1)
	v_fmac_f64_e32 v[8:9], v[26:27], v[32:33]
	ds_read2_b64 v[22:25], v20 offset0:128 offset1:144
	v_fmac_f64_e32 v[4:5], v[28:29], v[32:33]
	v_fmac_f64_e32 v[2:3], v[26:27], v[52:53]
	;; [unrolled: 1-line block ×3, first 2 shown]
	ds_read_b128 v[26:29], v21 offset:1056
	ds_read2_b64 v[30:33], v20 offset0:160 offset1:176
	s_waitcnt lgkmcnt(2)
	v_fmac_f64_e32 v[8:9], v[22:23], v[34:35]
	v_fmac_f64_e32 v[4:5], v[24:25], v[34:35]
	s_add_u32 s10, s10, 8
	s_waitcnt lgkmcnt(1)
	v_fmac_f64_e32 v[2:3], v[22:23], v[26:27]
	v_fmac_f64_e32 v[0:1], v[24:25], v[26:27]
	ds_read2_b64 v[22:25], v20 offset0:192 offset1:208
	s_waitcnt lgkmcnt(1)
	v_fmac_f64_e32 v[2:3], v[30:31], v[28:29]
	v_fmac_f64_e32 v[0:1], v[32:33], v[28:29]
	ds_read2_b64 v[26:29], v20 offset0:224 offset1:240
	v_fmac_f64_e32 v[8:9], v[30:31], v[36:37]
	s_addc_u32 s11, s11, 0
	v_fmac_f64_e32 v[4:5], v[32:33], v[36:37]
	s_waitcnt lgkmcnt(1)
	v_fmac_f64_e32 v[8:9], v[22:23], v[38:39]
	v_fmac_f64_e32 v[2:3], v[22:23], v[42:43]
	v_mov_b64_e32 v[22:23], s[10:11]
	v_fmac_f64_e32 v[4:5], v[24:25], v[38:39]
	v_fmac_f64_e32 v[0:1], v[24:25], v[42:43]
	v_cmp_gt_i64_e32 vcc, s[8:9], v[22:23]
	s_waitcnt lgkmcnt(0)
	v_fmac_f64_e32 v[8:9], v[26:27], v[40:41]
	v_fmac_f64_e32 v[4:5], v[28:29], v[40:41]
	;; [unrolled: 1-line block ×4, first 2 shown]
	s_barrier
	s_cbranch_vccz .LBB185_12
.LBB185_6:                              ; =>This Inner Loop Header: Depth=1
	v_mov_b64_e32 v[22:23], 0
	s_and_saveexec_b64 s[12:13], s[0:1]
	s_cbranch_execz .LBB185_10
; %bb.7:                                ;   in Loop: Header=BB185_6 Depth=1
	v_add_u32_e32 v16, s10, v10
	v_cmp_gt_u64_e32 vcc, s[8:9], v[16:17]
	v_mov_b64_e32 v[22:23], 0
	s_and_saveexec_b64 s[14:15], vcc
	s_cbranch_execz .LBB185_9
; %bb.8:                                ;   in Loop: Header=BB185_6 Depth=1
	v_lshl_add_u64 v[22:23], v[16:17], 3, v[12:13]
	global_load_dwordx2 v[22:23], v[22:23], off
.LBB185_9:                              ;   in Loop: Header=BB185_6 Depth=1
	s_or_b64 exec, exec, s[14:15]
.LBB185_10:                             ;   in Loop: Header=BB185_6 Depth=1
	s_or_b64 exec, exec, s[12:13]
	v_add_u32_e32 v16, s10, v6
	v_cmp_gt_u64_e32 vcc, s[8:9], v[16:17]
	s_waitcnt vmcnt(0)
	ds_write_b64 v18, v[22:23]
	s_and_b64 s[14:15], vcc, s[2:3]
	v_mov_b64_e32 v[22:23], 0
	s_and_saveexec_b64 s[12:13], s[14:15]
	s_cbranch_execz .LBB185_5
; %bb.11:                               ;   in Loop: Header=BB185_6 Depth=1
	v_mad_u64_u32 v[22:23], s[14:15], s20, v16, 0
	v_mov_b32_e32 v24, v23
	v_mad_u64_u32 v[24:25], s[14:15], s21, v16, v[24:25]
	v_mov_b32_e32 v23, v24
	v_lshl_add_u64 v[22:23], v[22:23], 3, v[14:15]
	global_load_dwordx2 v[22:23], v[22:23], off
	s_branch .LBB185_5
.LBB185_12:
	s_mul_i32 s0, s31, s4
	s_mul_hi_u32 s1, s30, s4
	s_add_i32 s1, s1, s0
	s_mul_i32 s0, s30, s4
	s_lshl_b64 s[0:1], s[0:1], 3
	s_add_u32 s4, s26, s0
	v_add_u32_e32 v14, s33, v11
	s_addc_u32 s5, s27, s1
	v_add_u32_e32 v6, s25, v7
	v_ashrrev_i32_e32 v7, 31, v14
	v_mad_u64_u32 v[10:11], s[0:1], s28, v14, 0
	v_mul_lo_u32 v7, s28, v7
	v_mul_lo_u32 v12, s29, v14
	v_cmp_neq_f64_e64 s[0:1], s[6:7], 0
	s_waitcnt lgkmcnt(0)
	v_cmp_gt_i32_e64 s[2:3], s24, v14
	v_add3_u32 v11, v11, v7, v12
	v_cmp_le_i32_e32 vcc, v6, v14
	v_cndmask_b32_e64 v12, 0, 1, s[0:1]
	v_lshl_add_u64 v[10:11], v[10:11], 3, s[4:5]
	s_and_b64 s[10:11], s[2:3], vcc
	v_ashrrev_i32_e32 v7, 31, v6
	v_cmp_ne_u32_e64 s[0:1], 1, v12
	s_and_saveexec_b64 s[8:9], s[10:11]
	s_cbranch_execz .LBB185_16
; %bb.13:
	v_mul_f64 v[8:9], s[34:35], v[8:9]
	s_and_b64 vcc, exec, s[0:1]
	v_lshl_add_u64 v[12:13], v[6:7], 3, v[10:11]
	s_cbranch_vccnz .LBB185_15
; %bb.14:
	global_load_dwordx2 v[16:17], v[12:13], off
	s_waitcnt vmcnt(0)
	v_fmac_f64_e32 v[8:9], s[6:7], v[16:17]
.LBB185_15:
	global_store_dwordx2 v[12:13], v[8:9], off
.LBB185_16:
	s_or_b64 exec, exec, s[8:9]
	v_add_u32_e32 v8, 16, v6
	v_cmp_le_i32_e32 vcc, v8, v14
	s_and_b64 s[8:9], s[2:3], vcc
	v_ashrrev_i32_e32 v9, 31, v8
	s_and_saveexec_b64 s[2:3], s[8:9]
	s_cbranch_execz .LBB185_20
; %bb.17:
	v_mul_f64 v[4:5], s[34:35], v[4:5]
	s_and_b64 vcc, exec, s[0:1]
	v_lshl_add_u64 v[10:11], v[8:9], 3, v[10:11]
	s_cbranch_vccnz .LBB185_19
; %bb.18:
	global_load_dwordx2 v[12:13], v[10:11], off
	s_waitcnt vmcnt(0)
	v_fmac_f64_e32 v[4:5], s[6:7], v[12:13]
.LBB185_19:
	global_store_dwordx2 v[10:11], v[4:5], off
.LBB185_20:
	s_or_b64 exec, exec, s[2:3]
	v_add_u32_e32 v10, 16, v14
	v_ashrrev_i32_e32 v4, 31, v10
	v_mul_lo_u32 v11, s28, v4
	v_mul_lo_u32 v12, s29, v10
	v_mad_u64_u32 v[4:5], s[8:9], s28, v10, 0
	v_cmp_gt_i32_e64 s[2:3], s24, v10
	v_add3_u32 v5, v5, v11, v12
	v_cmp_le_i32_e32 vcc, v6, v10
	v_lshl_add_u64 v[4:5], v[4:5], 3, s[4:5]
	s_and_b64 s[8:9], s[2:3], vcc
	s_and_saveexec_b64 s[4:5], s[8:9]
	s_cbranch_execz .LBB185_24
; %bb.21:
	v_mul_f64 v[2:3], s[34:35], v[2:3]
	s_and_b64 vcc, exec, s[0:1]
	v_lshl_add_u64 v[6:7], v[6:7], 3, v[4:5]
	s_cbranch_vccnz .LBB185_23
; %bb.22:
	global_load_dwordx2 v[12:13], v[6:7], off
	s_waitcnt vmcnt(0)
	v_fmac_f64_e32 v[2:3], s[6:7], v[12:13]
.LBB185_23:
	global_store_dwordx2 v[6:7], v[2:3], off
.LBB185_24:
	s_or_b64 exec, exec, s[4:5]
	v_cmp_le_i32_e32 vcc, v8, v10
	s_and_b64 s[2:3], s[2:3], vcc
	s_and_saveexec_b64 s[4:5], s[2:3]
	s_cbranch_execz .LBB185_28
; %bb.25:
	v_mul_f64 v[0:1], s[34:35], v[0:1]
	s_and_b64 vcc, exec, s[0:1]
	v_lshl_add_u64 v[2:3], v[8:9], 3, v[4:5]
	s_cbranch_vccnz .LBB185_27
; %bb.26:
	global_load_dwordx2 v[4:5], v[2:3], off
	s_waitcnt vmcnt(0)
	v_fmac_f64_e32 v[0:1], s[6:7], v[4:5]
.LBB185_27:
	global_store_dwordx2 v[2:3], v[0:1], off
.LBB185_28:
	s_endpgm
	.section	.rodata,"a",@progbits
	.p2align	6, 0x0
	.amdhsa_kernel _ZL29rocblas_internal_gemmt_kernelIlLi16ELi32ELi8ELc84ELc67ELc85ELb0ELb0EdPKdS1_PdEviT_T9_T10_S3_lS5_S3_lS4_T11_S3_li
		.amdhsa_group_segment_fixed_size 4096
		.amdhsa_private_segment_fixed_size 0
		.amdhsa_kernarg_size 108
		.amdhsa_user_sgpr_count 2
		.amdhsa_user_sgpr_dispatch_ptr 0
		.amdhsa_user_sgpr_queue_ptr 0
		.amdhsa_user_sgpr_kernarg_segment_ptr 1
		.amdhsa_user_sgpr_dispatch_id 0
		.amdhsa_user_sgpr_kernarg_preload_length 0
		.amdhsa_user_sgpr_kernarg_preload_offset 0
		.amdhsa_user_sgpr_private_segment_size 0
		.amdhsa_uses_dynamic_stack 0
		.amdhsa_enable_private_segment 0
		.amdhsa_system_sgpr_workgroup_id_x 1
		.amdhsa_system_sgpr_workgroup_id_y 1
		.amdhsa_system_sgpr_workgroup_id_z 1
		.amdhsa_system_sgpr_workgroup_info 0
		.amdhsa_system_vgpr_workitem_id 1
		.amdhsa_next_free_vgpr 54
		.amdhsa_next_free_sgpr 36
		.amdhsa_accum_offset 56
		.amdhsa_reserve_vcc 1
		.amdhsa_float_round_mode_32 0
		.amdhsa_float_round_mode_16_64 0
		.amdhsa_float_denorm_mode_32 3
		.amdhsa_float_denorm_mode_16_64 3
		.amdhsa_dx10_clamp 1
		.amdhsa_ieee_mode 1
		.amdhsa_fp16_overflow 0
		.amdhsa_tg_split 0
		.amdhsa_exception_fp_ieee_invalid_op 0
		.amdhsa_exception_fp_denorm_src 0
		.amdhsa_exception_fp_ieee_div_zero 0
		.amdhsa_exception_fp_ieee_overflow 0
		.amdhsa_exception_fp_ieee_underflow 0
		.amdhsa_exception_fp_ieee_inexact 0
		.amdhsa_exception_int_div_zero 0
	.end_amdhsa_kernel
	.section	.text._ZL29rocblas_internal_gemmt_kernelIlLi16ELi32ELi8ELc84ELc67ELc85ELb0ELb0EdPKdS1_PdEviT_T9_T10_S3_lS5_S3_lS4_T11_S3_li,"axG",@progbits,_ZL29rocblas_internal_gemmt_kernelIlLi16ELi32ELi8ELc84ELc67ELc85ELb0ELb0EdPKdS1_PdEviT_T9_T10_S3_lS5_S3_lS4_T11_S3_li,comdat
.Lfunc_end185:
	.size	_ZL29rocblas_internal_gemmt_kernelIlLi16ELi32ELi8ELc84ELc67ELc85ELb0ELb0EdPKdS1_PdEviT_T9_T10_S3_lS5_S3_lS4_T11_S3_li, .Lfunc_end185-_ZL29rocblas_internal_gemmt_kernelIlLi16ELi32ELi8ELc84ELc67ELc85ELb0ELb0EdPKdS1_PdEviT_T9_T10_S3_lS5_S3_lS4_T11_S3_li
                                        ; -- End function
	.set _ZL29rocblas_internal_gemmt_kernelIlLi16ELi32ELi8ELc84ELc67ELc85ELb0ELb0EdPKdS1_PdEviT_T9_T10_S3_lS5_S3_lS4_T11_S3_li.num_vgpr, 54
	.set _ZL29rocblas_internal_gemmt_kernelIlLi16ELi32ELi8ELc84ELc67ELc85ELb0ELb0EdPKdS1_PdEviT_T9_T10_S3_lS5_S3_lS4_T11_S3_li.num_agpr, 0
	.set _ZL29rocblas_internal_gemmt_kernelIlLi16ELi32ELi8ELc84ELc67ELc85ELb0ELb0EdPKdS1_PdEviT_T9_T10_S3_lS5_S3_lS4_T11_S3_li.numbered_sgpr, 36
	.set _ZL29rocblas_internal_gemmt_kernelIlLi16ELi32ELi8ELc84ELc67ELc85ELb0ELb0EdPKdS1_PdEviT_T9_T10_S3_lS5_S3_lS4_T11_S3_li.num_named_barrier, 0
	.set _ZL29rocblas_internal_gemmt_kernelIlLi16ELi32ELi8ELc84ELc67ELc85ELb0ELb0EdPKdS1_PdEviT_T9_T10_S3_lS5_S3_lS4_T11_S3_li.private_seg_size, 0
	.set _ZL29rocblas_internal_gemmt_kernelIlLi16ELi32ELi8ELc84ELc67ELc85ELb0ELb0EdPKdS1_PdEviT_T9_T10_S3_lS5_S3_lS4_T11_S3_li.uses_vcc, 1
	.set _ZL29rocblas_internal_gemmt_kernelIlLi16ELi32ELi8ELc84ELc67ELc85ELb0ELb0EdPKdS1_PdEviT_T9_T10_S3_lS5_S3_lS4_T11_S3_li.uses_flat_scratch, 0
	.set _ZL29rocblas_internal_gemmt_kernelIlLi16ELi32ELi8ELc84ELc67ELc85ELb0ELb0EdPKdS1_PdEviT_T9_T10_S3_lS5_S3_lS4_T11_S3_li.has_dyn_sized_stack, 0
	.set _ZL29rocblas_internal_gemmt_kernelIlLi16ELi32ELi8ELc84ELc67ELc85ELb0ELb0EdPKdS1_PdEviT_T9_T10_S3_lS5_S3_lS4_T11_S3_li.has_recursion, 0
	.set _ZL29rocblas_internal_gemmt_kernelIlLi16ELi32ELi8ELc84ELc67ELc85ELb0ELb0EdPKdS1_PdEviT_T9_T10_S3_lS5_S3_lS4_T11_S3_li.has_indirect_call, 0
	.section	.AMDGPU.csdata,"",@progbits
; Kernel info:
; codeLenInByte = 1336
; TotalNumSgprs: 42
; NumVgprs: 54
; NumAgprs: 0
; TotalNumVgprs: 54
; ScratchSize: 0
; MemoryBound: 0
; FloatMode: 240
; IeeeMode: 1
; LDSByteSize: 4096 bytes/workgroup (compile time only)
; SGPRBlocks: 5
; VGPRBlocks: 6
; NumSGPRsForWavesPerEU: 42
; NumVGPRsForWavesPerEU: 54
; AccumOffset: 56
; Occupancy: 8
; WaveLimiterHint : 0
; COMPUTE_PGM_RSRC2:SCRATCH_EN: 0
; COMPUTE_PGM_RSRC2:USER_SGPR: 2
; COMPUTE_PGM_RSRC2:TRAP_HANDLER: 0
; COMPUTE_PGM_RSRC2:TGID_X_EN: 1
; COMPUTE_PGM_RSRC2:TGID_Y_EN: 1
; COMPUTE_PGM_RSRC2:TGID_Z_EN: 1
; COMPUTE_PGM_RSRC2:TIDIG_COMP_CNT: 1
; COMPUTE_PGM_RSRC3_GFX90A:ACCUM_OFFSET: 13
; COMPUTE_PGM_RSRC3_GFX90A:TG_SPLIT: 0
	.section	.text._ZL29rocblas_internal_gemmt_kernelIlLi16ELi32ELi8ELc67ELc78ELc85ELb0ELb0EdPKdS1_PdEviT_T9_T10_S3_lS5_S3_lS4_T11_S3_li,"axG",@progbits,_ZL29rocblas_internal_gemmt_kernelIlLi16ELi32ELi8ELc67ELc78ELc85ELb0ELb0EdPKdS1_PdEviT_T9_T10_S3_lS5_S3_lS4_T11_S3_li,comdat
	.globl	_ZL29rocblas_internal_gemmt_kernelIlLi16ELi32ELi8ELc67ELc78ELc85ELb0ELb0EdPKdS1_PdEviT_T9_T10_S3_lS5_S3_lS4_T11_S3_li ; -- Begin function _ZL29rocblas_internal_gemmt_kernelIlLi16ELi32ELi8ELc67ELc78ELc85ELb0ELb0EdPKdS1_PdEviT_T9_T10_S3_lS5_S3_lS4_T11_S3_li
	.p2align	8
	.type	_ZL29rocblas_internal_gemmt_kernelIlLi16ELi32ELi8ELc67ELc78ELc85ELb0ELb0EdPKdS1_PdEviT_T9_T10_S3_lS5_S3_lS4_T11_S3_li,@function
_ZL29rocblas_internal_gemmt_kernelIlLi16ELi32ELi8ELc67ELc78ELc85ELb0ELb0EdPKdS1_PdEviT_T9_T10_S3_lS5_S3_lS4_T11_S3_li: ; @_ZL29rocblas_internal_gemmt_kernelIlLi16ELi32ELi8ELc67ELc78ELc85ELb0ELb0EdPKdS1_PdEviT_T9_T10_S3_lS5_S3_lS4_T11_S3_li
; %bb.0:
	s_load_dwordx8 s[24:31], s[0:1], 0x48
	s_load_dwordx16 s[8:23], s[0:1], 0x8
	s_waitcnt lgkmcnt(0)
	s_load_dwordx2 s[6:7], s[24:25], 0x0
	s_load_dwordx2 s[34:35], s[10:11], 0x0
	s_waitcnt lgkmcnt(0)
	v_cmp_neq_f64_e64 s[10:11], s[6:7], 1.0
	s_and_b64 vcc, exec, s[10:11]
	s_cbranch_vccnz .LBB186_2
; %bb.1:
	s_cmp_lg_u64 s[8:9], 0
	s_cselect_b64 s[10:11], -1, 0
	v_cmp_neq_f64_e64 s[24:25], s[34:35], 0
	s_and_b64 s[10:11], s[10:11], s[24:25]
.LBB186_2:
	s_andn2_b64 vcc, exec, s[10:11]
	s_cbranch_vccnz .LBB186_28
; %bb.3:
	s_load_dword s24, s[0:1], 0x0
	s_lshl_b32 s25, s2, 5
	s_lshl_b32 s33, s3, 5
	v_cmp_eq_f64_e64 s[0:1], s[34:35], 0
	v_cmp_lt_i64_e64 s[2:3], s[8:9], 1
	s_or_b64 s[0:1], s[0:1], s[2:3]
	v_and_b32_e32 v7, 0x3ff, v0
	v_bfe_u32 v9, v0, 10, 10
	v_mov_b64_e32 v[10:11], 0
	s_and_b64 vcc, exec, s[0:1]
	v_mov_b64_e32 v[4:5], 0
	v_mov_b64_e32 v[2:3], 0
	;; [unrolled: 1-line block ×3, first 2 shown]
	s_cbranch_vccnz .LBB186_12
; %bb.4:
	s_mul_i32 s0, s23, s4
	s_mul_hi_u32 s1, s22, s4
	s_add_i32 s1, s1, s0
	s_mul_i32 s0, s22, s4
	s_lshl_b64 s[0:1], s[0:1], 3
	s_add_u32 s10, s18, s0
	s_addc_u32 s11, s19, s1
	s_mul_i32 s0, s17, s4
	s_mul_hi_u32 s1, s16, s4
	s_add_i32 s1, s1, s0
	s_mul_i32 s0, s16, s4
	v_lshl_add_u32 v0, v9, 4, v7
	s_lshl_b64 s[0:1], s[0:1], 3
	v_lshrrev_b32_e32 v8, 5, v0
	v_lshrrev_b32_e32 v2, 3, v0
	v_and_b32_e32 v0, 31, v0
	s_add_u32 s2, s12, s0
	v_or_b32_e32 v1, s25, v0
	s_addc_u32 s3, s13, s1
	v_lshlrev_b32_e32 v0, 3, v0
	s_ashr_i32 s5, s25, 31
	s_waitcnt lgkmcnt(0)
	v_cmp_gt_i32_e64 s[0:1], s24, v1
	v_lshl_or_b32 v18, v8, 8, v0
	v_mul_lo_u32 v4, s15, v1
	v_mad_u64_u32 v[0:1], s[12:13], s14, v1, 0
	s_mul_i32 s5, s14, s5
	v_and_b32_e32 v6, 7, v7
	v_add3_u32 v1, v1, s5, v4
	v_lshl_add_u64 v[12:13], v[0:1], 3, s[2:3]
	v_lshlrev_b32_e32 v0, 3, v6
	v_add_u32_e32 v3, s33, v2
	v_lshl_or_b32 v0, v2, 6, v0
	v_add_u32_e32 v19, 0x800, v0
	v_ashrrev_i32_e32 v0, 31, v3
	v_mul_lo_u32 v2, s20, v0
	v_mul_lo_u32 v4, s21, v3
	v_mad_u64_u32 v[0:1], s[12:13], s20, v3, 0
	v_add3_u32 v1, v1, v2, v4
	v_lshl_add_u64 v[14:15], v[0:1], 3, s[10:11]
	v_mov_b32_e32 v0, 0x800
	v_cmp_gt_i32_e64 s[2:3], s24, v3
	v_lshlrev_b32_e32 v20, 3, v7
	v_lshl_add_u32 v21, v9, 6, v0
	v_mov_b32_e32 v17, 0
	v_mov_b64_e32 v[0:1], 0
	s_mov_b64 s[10:11], 0
	v_mov_b64_e32 v[2:3], 0
	v_mov_b64_e32 v[4:5], 0
	v_mov_b64_e32 v[10:11], 0
	s_branch .LBB186_6
.LBB186_5:                              ;   in Loop: Header=BB186_6 Depth=1
	s_or_b64 exec, exec, s[12:13]
	s_waitcnt vmcnt(0)
	ds_write_b64 v19, v[22:23]
	s_waitcnt lgkmcnt(0)
	s_barrier
	ds_read2_b64 v[22:25], v20 offset1:16
	ds_read_b128 v[26:29], v21
	ds_read_b128 v[30:33], v21 offset:16
	ds_read_b128 v[34:37], v21 offset:32
	;; [unrolled: 1-line block ×4, first 2 shown]
	ds_read2_b64 v[46:49], v20 offset0:32 offset1:48
	s_waitcnt lgkmcnt(5)
	v_fmac_f64_e32 v[10:11], v[22:23], v[26:27]
	v_fmac_f64_e32 v[4:5], v[24:25], v[26:27]
	ds_read_b128 v[50:53], v21 offset:1040
	s_waitcnt lgkmcnt(2)
	v_fmac_f64_e32 v[2:3], v[22:23], v[42:43]
	v_fmac_f64_e32 v[0:1], v[24:25], v[42:43]
	ds_read2_b64 v[22:25], v20 offset0:64 offset1:80
	s_waitcnt lgkmcnt(2)
	v_fmac_f64_e32 v[10:11], v[46:47], v[28:29]
	v_fmac_f64_e32 v[4:5], v[48:49], v[28:29]
	ds_read2_b64 v[26:29], v20 offset0:96 offset1:112
	v_fmac_f64_e32 v[2:3], v[46:47], v[44:45]
	v_fmac_f64_e32 v[0:1], v[48:49], v[44:45]
	s_waitcnt lgkmcnt(1)
	v_fmac_f64_e32 v[10:11], v[22:23], v[30:31]
	v_fmac_f64_e32 v[4:5], v[24:25], v[30:31]
	ds_read_b128 v[42:45], v21 offset:1072
	v_fmac_f64_e32 v[2:3], v[22:23], v[50:51]
	v_fmac_f64_e32 v[0:1], v[24:25], v[50:51]
	s_waitcnt lgkmcnt(1)
	v_fmac_f64_e32 v[10:11], v[26:27], v[32:33]
	ds_read2_b64 v[22:25], v20 offset0:128 offset1:144
	v_fmac_f64_e32 v[4:5], v[28:29], v[32:33]
	v_fmac_f64_e32 v[2:3], v[26:27], v[52:53]
	;; [unrolled: 1-line block ×3, first 2 shown]
	ds_read_b128 v[26:29], v21 offset:1056
	ds_read2_b64 v[30:33], v20 offset0:160 offset1:176
	s_waitcnt lgkmcnt(2)
	v_fmac_f64_e32 v[10:11], v[22:23], v[34:35]
	v_fmac_f64_e32 v[4:5], v[24:25], v[34:35]
	s_add_u32 s10, s10, 8
	s_waitcnt lgkmcnt(1)
	v_fmac_f64_e32 v[2:3], v[22:23], v[26:27]
	v_fmac_f64_e32 v[0:1], v[24:25], v[26:27]
	ds_read2_b64 v[22:25], v20 offset0:192 offset1:208
	s_waitcnt lgkmcnt(1)
	v_fmac_f64_e32 v[2:3], v[30:31], v[28:29]
	v_fmac_f64_e32 v[0:1], v[32:33], v[28:29]
	ds_read2_b64 v[26:29], v20 offset0:224 offset1:240
	v_fmac_f64_e32 v[10:11], v[30:31], v[36:37]
	s_addc_u32 s11, s11, 0
	v_fmac_f64_e32 v[4:5], v[32:33], v[36:37]
	s_waitcnt lgkmcnt(1)
	v_fmac_f64_e32 v[10:11], v[22:23], v[38:39]
	v_fmac_f64_e32 v[2:3], v[22:23], v[42:43]
	v_mov_b64_e32 v[22:23], s[10:11]
	v_fmac_f64_e32 v[4:5], v[24:25], v[38:39]
	v_fmac_f64_e32 v[0:1], v[24:25], v[42:43]
	v_cmp_gt_i64_e32 vcc, s[8:9], v[22:23]
	s_waitcnt lgkmcnt(0)
	v_fmac_f64_e32 v[10:11], v[26:27], v[40:41]
	v_fmac_f64_e32 v[4:5], v[28:29], v[40:41]
	;; [unrolled: 1-line block ×4, first 2 shown]
	s_barrier
	s_cbranch_vccz .LBB186_12
.LBB186_6:                              ; =>This Inner Loop Header: Depth=1
	v_mov_b64_e32 v[22:23], 0
	s_and_saveexec_b64 s[12:13], s[0:1]
	s_cbranch_execz .LBB186_10
; %bb.7:                                ;   in Loop: Header=BB186_6 Depth=1
	v_add_u32_e32 v16, s10, v8
	v_cmp_gt_u64_e32 vcc, s[8:9], v[16:17]
	v_mov_b64_e32 v[22:23], 0
	s_and_saveexec_b64 s[14:15], vcc
	s_cbranch_execz .LBB186_9
; %bb.8:                                ;   in Loop: Header=BB186_6 Depth=1
	v_lshl_add_u64 v[22:23], v[16:17], 3, v[12:13]
	global_load_dwordx2 v[22:23], v[22:23], off
.LBB186_9:                              ;   in Loop: Header=BB186_6 Depth=1
	s_or_b64 exec, exec, s[14:15]
.LBB186_10:                             ;   in Loop: Header=BB186_6 Depth=1
	s_or_b64 exec, exec, s[12:13]
	v_add_u32_e32 v16, s10, v6
	v_cmp_gt_u64_e32 vcc, s[8:9], v[16:17]
	s_waitcnt vmcnt(0)
	ds_write_b64 v18, v[22:23]
	s_and_b64 s[14:15], vcc, s[2:3]
	v_mov_b64_e32 v[22:23], 0
	s_and_saveexec_b64 s[12:13], s[14:15]
	s_cbranch_execz .LBB186_5
; %bb.11:                               ;   in Loop: Header=BB186_6 Depth=1
	v_lshl_add_u64 v[22:23], v[16:17], 3, v[14:15]
	global_load_dwordx2 v[22:23], v[22:23], off
	s_branch .LBB186_5
.LBB186_12:
	s_mul_i32 s0, s31, s4
	s_mul_hi_u32 s1, s30, s4
	s_add_i32 s1, s1, s0
	s_mul_i32 s0, s30, s4
	s_lshl_b64 s[0:1], s[0:1], 3
	v_add_u32_e32 v14, s33, v9
	s_add_u32 s4, s26, s0
	v_add_u32_e32 v6, s25, v7
	v_ashrrev_i32_e32 v7, 31, v14
	s_addc_u32 s5, s27, s1
	v_mul_lo_u32 v7, s28, v7
	v_mul_lo_u32 v12, s29, v14
	v_mad_u64_u32 v[8:9], s[0:1], s28, v14, 0
	v_add3_u32 v9, v9, v7, v12
	v_cmp_neq_f64_e64 s[0:1], s[6:7], 0
	s_waitcnt lgkmcnt(0)
	v_cmp_gt_i32_e64 s[2:3], s24, v14
	v_lshl_add_u64 v[12:13], v[8:9], 3, s[4:5]
	v_cmp_le_i32_e32 vcc, v6, v14
	v_cndmask_b32_e64 v8, 0, 1, s[0:1]
	s_and_b64 s[10:11], s[2:3], vcc
	v_ashrrev_i32_e32 v7, 31, v6
	v_cmp_ne_u32_e64 s[0:1], 1, v8
	s_and_saveexec_b64 s[8:9], s[10:11]
	s_cbranch_execz .LBB186_16
; %bb.13:
	v_mul_f64 v[8:9], s[34:35], v[10:11]
	s_and_b64 vcc, exec, s[0:1]
	v_lshl_add_u64 v[10:11], v[6:7], 3, v[12:13]
	s_cbranch_vccnz .LBB186_15
; %bb.14:
	global_load_dwordx2 v[16:17], v[10:11], off
	s_waitcnt vmcnt(0)
	v_fmac_f64_e32 v[8:9], s[6:7], v[16:17]
.LBB186_15:
	global_store_dwordx2 v[10:11], v[8:9], off
.LBB186_16:
	s_or_b64 exec, exec, s[8:9]
	v_add_u32_e32 v8, 16, v6
	v_cmp_le_i32_e32 vcc, v8, v14
	s_and_b64 s[8:9], s[2:3], vcc
	v_ashrrev_i32_e32 v9, 31, v8
	s_and_saveexec_b64 s[2:3], s[8:9]
	s_cbranch_execz .LBB186_20
; %bb.17:
	v_mul_f64 v[4:5], s[34:35], v[4:5]
	s_and_b64 vcc, exec, s[0:1]
	v_lshl_add_u64 v[10:11], v[8:9], 3, v[12:13]
	s_cbranch_vccnz .LBB186_19
; %bb.18:
	global_load_dwordx2 v[12:13], v[10:11], off
	s_waitcnt vmcnt(0)
	v_fmac_f64_e32 v[4:5], s[6:7], v[12:13]
.LBB186_19:
	global_store_dwordx2 v[10:11], v[4:5], off
.LBB186_20:
	s_or_b64 exec, exec, s[2:3]
	v_add_u32_e32 v10, 16, v14
	v_ashrrev_i32_e32 v4, 31, v10
	v_mul_lo_u32 v11, s28, v4
	v_mul_lo_u32 v12, s29, v10
	v_mad_u64_u32 v[4:5], s[8:9], s28, v10, 0
	v_cmp_gt_i32_e64 s[2:3], s24, v10
	v_add3_u32 v5, v5, v11, v12
	v_cmp_le_i32_e32 vcc, v6, v10
	v_lshl_add_u64 v[4:5], v[4:5], 3, s[4:5]
	s_and_b64 s[8:9], s[2:3], vcc
	s_and_saveexec_b64 s[4:5], s[8:9]
	s_cbranch_execz .LBB186_24
; %bb.21:
	v_mul_f64 v[2:3], s[34:35], v[2:3]
	s_and_b64 vcc, exec, s[0:1]
	v_lshl_add_u64 v[6:7], v[6:7], 3, v[4:5]
	s_cbranch_vccnz .LBB186_23
; %bb.22:
	global_load_dwordx2 v[12:13], v[6:7], off
	s_waitcnt vmcnt(0)
	v_fmac_f64_e32 v[2:3], s[6:7], v[12:13]
.LBB186_23:
	global_store_dwordx2 v[6:7], v[2:3], off
.LBB186_24:
	s_or_b64 exec, exec, s[4:5]
	v_cmp_le_i32_e32 vcc, v8, v10
	s_and_b64 s[2:3], s[2:3], vcc
	s_and_saveexec_b64 s[4:5], s[2:3]
	s_cbranch_execz .LBB186_28
; %bb.25:
	v_mul_f64 v[0:1], s[34:35], v[0:1]
	s_and_b64 vcc, exec, s[0:1]
	v_lshl_add_u64 v[2:3], v[8:9], 3, v[4:5]
	s_cbranch_vccnz .LBB186_27
; %bb.26:
	global_load_dwordx2 v[4:5], v[2:3], off
	s_waitcnt vmcnt(0)
	v_fmac_f64_e32 v[0:1], s[6:7], v[4:5]
.LBB186_27:
	global_store_dwordx2 v[2:3], v[0:1], off
.LBB186_28:
	s_endpgm
	.section	.rodata,"a",@progbits
	.p2align	6, 0x0
	.amdhsa_kernel _ZL29rocblas_internal_gemmt_kernelIlLi16ELi32ELi8ELc67ELc78ELc85ELb0ELb0EdPKdS1_PdEviT_T9_T10_S3_lS5_S3_lS4_T11_S3_li
		.amdhsa_group_segment_fixed_size 4096
		.amdhsa_private_segment_fixed_size 0
		.amdhsa_kernarg_size 108
		.amdhsa_user_sgpr_count 2
		.amdhsa_user_sgpr_dispatch_ptr 0
		.amdhsa_user_sgpr_queue_ptr 0
		.amdhsa_user_sgpr_kernarg_segment_ptr 1
		.amdhsa_user_sgpr_dispatch_id 0
		.amdhsa_user_sgpr_kernarg_preload_length 0
		.amdhsa_user_sgpr_kernarg_preload_offset 0
		.amdhsa_user_sgpr_private_segment_size 0
		.amdhsa_uses_dynamic_stack 0
		.amdhsa_enable_private_segment 0
		.amdhsa_system_sgpr_workgroup_id_x 1
		.amdhsa_system_sgpr_workgroup_id_y 1
		.amdhsa_system_sgpr_workgroup_id_z 1
		.amdhsa_system_sgpr_workgroup_info 0
		.amdhsa_system_vgpr_workitem_id 1
		.amdhsa_next_free_vgpr 54
		.amdhsa_next_free_sgpr 36
		.amdhsa_accum_offset 56
		.amdhsa_reserve_vcc 1
		.amdhsa_float_round_mode_32 0
		.amdhsa_float_round_mode_16_64 0
		.amdhsa_float_denorm_mode_32 3
		.amdhsa_float_denorm_mode_16_64 3
		.amdhsa_dx10_clamp 1
		.amdhsa_ieee_mode 1
		.amdhsa_fp16_overflow 0
		.amdhsa_tg_split 0
		.amdhsa_exception_fp_ieee_invalid_op 0
		.amdhsa_exception_fp_denorm_src 0
		.amdhsa_exception_fp_ieee_div_zero 0
		.amdhsa_exception_fp_ieee_overflow 0
		.amdhsa_exception_fp_ieee_underflow 0
		.amdhsa_exception_fp_ieee_inexact 0
		.amdhsa_exception_int_div_zero 0
	.end_amdhsa_kernel
	.section	.text._ZL29rocblas_internal_gemmt_kernelIlLi16ELi32ELi8ELc67ELc78ELc85ELb0ELb0EdPKdS1_PdEviT_T9_T10_S3_lS5_S3_lS4_T11_S3_li,"axG",@progbits,_ZL29rocblas_internal_gemmt_kernelIlLi16ELi32ELi8ELc67ELc78ELc85ELb0ELb0EdPKdS1_PdEviT_T9_T10_S3_lS5_S3_lS4_T11_S3_li,comdat
.Lfunc_end186:
	.size	_ZL29rocblas_internal_gemmt_kernelIlLi16ELi32ELi8ELc67ELc78ELc85ELb0ELb0EdPKdS1_PdEviT_T9_T10_S3_lS5_S3_lS4_T11_S3_li, .Lfunc_end186-_ZL29rocblas_internal_gemmt_kernelIlLi16ELi32ELi8ELc67ELc78ELc85ELb0ELb0EdPKdS1_PdEviT_T9_T10_S3_lS5_S3_lS4_T11_S3_li
                                        ; -- End function
	.set _ZL29rocblas_internal_gemmt_kernelIlLi16ELi32ELi8ELc67ELc78ELc85ELb0ELb0EdPKdS1_PdEviT_T9_T10_S3_lS5_S3_lS4_T11_S3_li.num_vgpr, 54
	.set _ZL29rocblas_internal_gemmt_kernelIlLi16ELi32ELi8ELc67ELc78ELc85ELb0ELb0EdPKdS1_PdEviT_T9_T10_S3_lS5_S3_lS4_T11_S3_li.num_agpr, 0
	.set _ZL29rocblas_internal_gemmt_kernelIlLi16ELi32ELi8ELc67ELc78ELc85ELb0ELb0EdPKdS1_PdEviT_T9_T10_S3_lS5_S3_lS4_T11_S3_li.numbered_sgpr, 36
	.set _ZL29rocblas_internal_gemmt_kernelIlLi16ELi32ELi8ELc67ELc78ELc85ELb0ELb0EdPKdS1_PdEviT_T9_T10_S3_lS5_S3_lS4_T11_S3_li.num_named_barrier, 0
	.set _ZL29rocblas_internal_gemmt_kernelIlLi16ELi32ELi8ELc67ELc78ELc85ELb0ELb0EdPKdS1_PdEviT_T9_T10_S3_lS5_S3_lS4_T11_S3_li.private_seg_size, 0
	.set _ZL29rocblas_internal_gemmt_kernelIlLi16ELi32ELi8ELc67ELc78ELc85ELb0ELb0EdPKdS1_PdEviT_T9_T10_S3_lS5_S3_lS4_T11_S3_li.uses_vcc, 1
	.set _ZL29rocblas_internal_gemmt_kernelIlLi16ELi32ELi8ELc67ELc78ELc85ELb0ELb0EdPKdS1_PdEviT_T9_T10_S3_lS5_S3_lS4_T11_S3_li.uses_flat_scratch, 0
	.set _ZL29rocblas_internal_gemmt_kernelIlLi16ELi32ELi8ELc67ELc78ELc85ELb0ELb0EdPKdS1_PdEviT_T9_T10_S3_lS5_S3_lS4_T11_S3_li.has_dyn_sized_stack, 0
	.set _ZL29rocblas_internal_gemmt_kernelIlLi16ELi32ELi8ELc67ELc78ELc85ELb0ELb0EdPKdS1_PdEviT_T9_T10_S3_lS5_S3_lS4_T11_S3_li.has_recursion, 0
	.set _ZL29rocblas_internal_gemmt_kernelIlLi16ELi32ELi8ELc67ELc78ELc85ELb0ELb0EdPKdS1_PdEviT_T9_T10_S3_lS5_S3_lS4_T11_S3_li.has_indirect_call, 0
	.section	.AMDGPU.csdata,"",@progbits
; Kernel info:
; codeLenInByte = 1344
; TotalNumSgprs: 42
; NumVgprs: 54
; NumAgprs: 0
; TotalNumVgprs: 54
; ScratchSize: 0
; MemoryBound: 0
; FloatMode: 240
; IeeeMode: 1
; LDSByteSize: 4096 bytes/workgroup (compile time only)
; SGPRBlocks: 5
; VGPRBlocks: 6
; NumSGPRsForWavesPerEU: 42
; NumVGPRsForWavesPerEU: 54
; AccumOffset: 56
; Occupancy: 8
; WaveLimiterHint : 0
; COMPUTE_PGM_RSRC2:SCRATCH_EN: 0
; COMPUTE_PGM_RSRC2:USER_SGPR: 2
; COMPUTE_PGM_RSRC2:TRAP_HANDLER: 0
; COMPUTE_PGM_RSRC2:TGID_X_EN: 1
; COMPUTE_PGM_RSRC2:TGID_Y_EN: 1
; COMPUTE_PGM_RSRC2:TGID_Z_EN: 1
; COMPUTE_PGM_RSRC2:TIDIG_COMP_CNT: 1
; COMPUTE_PGM_RSRC3_GFX90A:ACCUM_OFFSET: 13
; COMPUTE_PGM_RSRC3_GFX90A:TG_SPLIT: 0
	.section	.text._ZL29rocblas_internal_gemmt_kernelIlLi16ELi32ELi8ELc67ELc84ELc85ELb0ELb0EdPKdS1_PdEviT_T9_T10_S3_lS5_S3_lS4_T11_S3_li,"axG",@progbits,_ZL29rocblas_internal_gemmt_kernelIlLi16ELi32ELi8ELc67ELc84ELc85ELb0ELb0EdPKdS1_PdEviT_T9_T10_S3_lS5_S3_lS4_T11_S3_li,comdat
	.globl	_ZL29rocblas_internal_gemmt_kernelIlLi16ELi32ELi8ELc67ELc84ELc85ELb0ELb0EdPKdS1_PdEviT_T9_T10_S3_lS5_S3_lS4_T11_S3_li ; -- Begin function _ZL29rocblas_internal_gemmt_kernelIlLi16ELi32ELi8ELc67ELc84ELc85ELb0ELb0EdPKdS1_PdEviT_T9_T10_S3_lS5_S3_lS4_T11_S3_li
	.p2align	8
	.type	_ZL29rocblas_internal_gemmt_kernelIlLi16ELi32ELi8ELc67ELc84ELc85ELb0ELb0EdPKdS1_PdEviT_T9_T10_S3_lS5_S3_lS4_T11_S3_li,@function
_ZL29rocblas_internal_gemmt_kernelIlLi16ELi32ELi8ELc67ELc84ELc85ELb0ELb0EdPKdS1_PdEviT_T9_T10_S3_lS5_S3_lS4_T11_S3_li: ; @_ZL29rocblas_internal_gemmt_kernelIlLi16ELi32ELi8ELc67ELc84ELc85ELb0ELb0EdPKdS1_PdEviT_T9_T10_S3_lS5_S3_lS4_T11_S3_li
; %bb.0:
	s_load_dwordx8 s[24:31], s[0:1], 0x48
	s_load_dwordx16 s[8:23], s[0:1], 0x8
	s_waitcnt lgkmcnt(0)
	s_load_dwordx2 s[6:7], s[24:25], 0x0
	s_load_dwordx2 s[34:35], s[10:11], 0x0
	s_waitcnt lgkmcnt(0)
	v_cmp_neq_f64_e64 s[10:11], s[6:7], 1.0
	s_and_b64 vcc, exec, s[10:11]
	s_cbranch_vccnz .LBB187_2
; %bb.1:
	s_cmp_lg_u64 s[8:9], 0
	s_cselect_b64 s[10:11], -1, 0
	v_cmp_neq_f64_e64 s[24:25], s[34:35], 0
	s_and_b64 s[10:11], s[10:11], s[24:25]
.LBB187_2:
	s_andn2_b64 vcc, exec, s[10:11]
	s_cbranch_vccnz .LBB187_28
; %bb.3:
	s_load_dword s24, s[0:1], 0x0
	s_lshl_b32 s25, s2, 5
	s_lshl_b32 s33, s3, 5
	v_cmp_eq_f64_e64 s[0:1], s[34:35], 0
	v_cmp_lt_i64_e64 s[2:3], s[8:9], 1
	s_or_b64 s[0:1], s[0:1], s[2:3]
	v_and_b32_e32 v7, 0x3ff, v0
	v_bfe_u32 v11, v0, 10, 10
	v_mov_b64_e32 v[8:9], 0
	s_and_b64 vcc, exec, s[0:1]
	v_mov_b64_e32 v[4:5], 0
	v_mov_b64_e32 v[2:3], 0
	;; [unrolled: 1-line block ×3, first 2 shown]
	s_cbranch_vccnz .LBB187_12
; %bb.4:
	s_mul_i32 s0, s23, s4
	s_mul_hi_u32 s1, s22, s4
	s_add_i32 s1, s1, s0
	s_mul_i32 s0, s22, s4
	s_lshl_b64 s[0:1], s[0:1], 3
	s_add_u32 s10, s18, s0
	s_addc_u32 s11, s19, s1
	s_mul_i32 s0, s17, s4
	s_mul_hi_u32 s1, s16, s4
	s_add_i32 s1, s1, s0
	s_mul_i32 s0, s16, s4
	v_lshl_add_u32 v1, v11, 4, v7
	s_lshl_b64 s[0:1], s[0:1], 3
	v_lshrrev_b32_e32 v10, 5, v1
	v_lshrrev_b32_e32 v4, 3, v1
	v_and_b32_e32 v1, 31, v1
	s_add_u32 s2, s12, s0
	v_or_b32_e32 v2, s25, v1
	s_addc_u32 s3, s13, s1
	v_lshlrev_b32_e32 v1, 3, v1
	s_ashr_i32 s5, s25, 31
	v_and_b32_e32 v6, 7, v7
	s_waitcnt lgkmcnt(0)
	v_cmp_gt_i32_e64 s[0:1], s24, v2
	v_lshl_or_b32 v18, v10, 8, v1
	v_mul_lo_u32 v1, s15, v2
	v_mad_u64_u32 v[2:3], s[12:13], s14, v2, 0
	s_mul_i32 s5, s14, s5
	v_add3_u32 v3, v3, s5, v1
	v_lshlrev_b32_e32 v1, 3, v6
	v_add_u32_e32 v0, s33, v4
	v_lshl_or_b32 v1, v4, 6, v1
	v_add_u32_e32 v19, 0x800, v1
	v_ashrrev_i32_e32 v1, 31, v0
	v_lshl_add_u64 v[12:13], v[2:3], 3, s[2:3]
	v_cmp_gt_i32_e64 s[2:3], s24, v0
	v_lshl_add_u64 v[14:15], v[0:1], 3, s[10:11]
	v_mov_b32_e32 v0, 0x800
	v_lshlrev_b32_e32 v20, 3, v7
	v_lshl_add_u32 v21, v11, 6, v0
	v_mov_b32_e32 v17, 0
	v_mov_b64_e32 v[0:1], 0
	s_mov_b64 s[10:11], 0
	v_mov_b64_e32 v[2:3], 0
	v_mov_b64_e32 v[4:5], 0
	;; [unrolled: 1-line block ×3, first 2 shown]
	s_branch .LBB187_6
.LBB187_5:                              ;   in Loop: Header=BB187_6 Depth=1
	s_or_b64 exec, exec, s[12:13]
	s_waitcnt vmcnt(0)
	ds_write_b64 v19, v[22:23]
	s_waitcnt lgkmcnt(0)
	s_barrier
	ds_read2_b64 v[22:25], v20 offset1:16
	ds_read_b128 v[26:29], v21
	ds_read_b128 v[30:33], v21 offset:16
	ds_read_b128 v[34:37], v21 offset:32
	ds_read_b128 v[38:41], v21 offset:48
	ds_read_b128 v[42:45], v21 offset:1024
	ds_read2_b64 v[46:49], v20 offset0:32 offset1:48
	s_waitcnt lgkmcnt(5)
	v_fmac_f64_e32 v[8:9], v[22:23], v[26:27]
	v_fmac_f64_e32 v[4:5], v[24:25], v[26:27]
	ds_read_b128 v[50:53], v21 offset:1040
	s_waitcnt lgkmcnt(2)
	v_fmac_f64_e32 v[2:3], v[22:23], v[42:43]
	v_fmac_f64_e32 v[0:1], v[24:25], v[42:43]
	ds_read2_b64 v[22:25], v20 offset0:64 offset1:80
	s_waitcnt lgkmcnt(2)
	v_fmac_f64_e32 v[8:9], v[46:47], v[28:29]
	v_fmac_f64_e32 v[4:5], v[48:49], v[28:29]
	ds_read2_b64 v[26:29], v20 offset0:96 offset1:112
	v_fmac_f64_e32 v[2:3], v[46:47], v[44:45]
	v_fmac_f64_e32 v[0:1], v[48:49], v[44:45]
	s_waitcnt lgkmcnt(1)
	v_fmac_f64_e32 v[8:9], v[22:23], v[30:31]
	v_fmac_f64_e32 v[4:5], v[24:25], v[30:31]
	ds_read_b128 v[42:45], v21 offset:1072
	v_fmac_f64_e32 v[2:3], v[22:23], v[50:51]
	v_fmac_f64_e32 v[0:1], v[24:25], v[50:51]
	s_waitcnt lgkmcnt(1)
	v_fmac_f64_e32 v[8:9], v[26:27], v[32:33]
	ds_read2_b64 v[22:25], v20 offset0:128 offset1:144
	v_fmac_f64_e32 v[4:5], v[28:29], v[32:33]
	v_fmac_f64_e32 v[2:3], v[26:27], v[52:53]
	;; [unrolled: 1-line block ×3, first 2 shown]
	ds_read_b128 v[26:29], v21 offset:1056
	ds_read2_b64 v[30:33], v20 offset0:160 offset1:176
	s_waitcnt lgkmcnt(2)
	v_fmac_f64_e32 v[8:9], v[22:23], v[34:35]
	v_fmac_f64_e32 v[4:5], v[24:25], v[34:35]
	s_add_u32 s10, s10, 8
	s_waitcnt lgkmcnt(1)
	v_fmac_f64_e32 v[2:3], v[22:23], v[26:27]
	v_fmac_f64_e32 v[0:1], v[24:25], v[26:27]
	ds_read2_b64 v[22:25], v20 offset0:192 offset1:208
	s_waitcnt lgkmcnt(1)
	v_fmac_f64_e32 v[2:3], v[30:31], v[28:29]
	v_fmac_f64_e32 v[0:1], v[32:33], v[28:29]
	ds_read2_b64 v[26:29], v20 offset0:224 offset1:240
	v_fmac_f64_e32 v[8:9], v[30:31], v[36:37]
	s_addc_u32 s11, s11, 0
	v_fmac_f64_e32 v[4:5], v[32:33], v[36:37]
	s_waitcnt lgkmcnt(1)
	v_fmac_f64_e32 v[8:9], v[22:23], v[38:39]
	v_fmac_f64_e32 v[2:3], v[22:23], v[42:43]
	v_mov_b64_e32 v[22:23], s[10:11]
	v_fmac_f64_e32 v[4:5], v[24:25], v[38:39]
	v_fmac_f64_e32 v[0:1], v[24:25], v[42:43]
	v_cmp_gt_i64_e32 vcc, s[8:9], v[22:23]
	s_waitcnt lgkmcnt(0)
	v_fmac_f64_e32 v[8:9], v[26:27], v[40:41]
	v_fmac_f64_e32 v[4:5], v[28:29], v[40:41]
	;; [unrolled: 1-line block ×4, first 2 shown]
	s_barrier
	s_cbranch_vccz .LBB187_12
.LBB187_6:                              ; =>This Inner Loop Header: Depth=1
	v_mov_b64_e32 v[22:23], 0
	s_and_saveexec_b64 s[12:13], s[0:1]
	s_cbranch_execz .LBB187_10
; %bb.7:                                ;   in Loop: Header=BB187_6 Depth=1
	v_add_u32_e32 v16, s10, v10
	v_cmp_gt_u64_e32 vcc, s[8:9], v[16:17]
	v_mov_b64_e32 v[22:23], 0
	s_and_saveexec_b64 s[14:15], vcc
	s_cbranch_execz .LBB187_9
; %bb.8:                                ;   in Loop: Header=BB187_6 Depth=1
	v_lshl_add_u64 v[22:23], v[16:17], 3, v[12:13]
	global_load_dwordx2 v[22:23], v[22:23], off
.LBB187_9:                              ;   in Loop: Header=BB187_6 Depth=1
	s_or_b64 exec, exec, s[14:15]
.LBB187_10:                             ;   in Loop: Header=BB187_6 Depth=1
	s_or_b64 exec, exec, s[12:13]
	v_add_u32_e32 v16, s10, v6
	v_cmp_gt_u64_e32 vcc, s[8:9], v[16:17]
	s_waitcnt vmcnt(0)
	ds_write_b64 v18, v[22:23]
	s_and_b64 s[14:15], vcc, s[2:3]
	v_mov_b64_e32 v[22:23], 0
	s_and_saveexec_b64 s[12:13], s[14:15]
	s_cbranch_execz .LBB187_5
; %bb.11:                               ;   in Loop: Header=BB187_6 Depth=1
	v_mad_u64_u32 v[22:23], s[14:15], s20, v16, 0
	v_mov_b32_e32 v24, v23
	v_mad_u64_u32 v[24:25], s[14:15], s21, v16, v[24:25]
	v_mov_b32_e32 v23, v24
	v_lshl_add_u64 v[22:23], v[22:23], 3, v[14:15]
	global_load_dwordx2 v[22:23], v[22:23], off
	s_branch .LBB187_5
.LBB187_12:
	s_mul_i32 s0, s31, s4
	s_mul_hi_u32 s1, s30, s4
	s_add_i32 s1, s1, s0
	s_mul_i32 s0, s30, s4
	s_lshl_b64 s[0:1], s[0:1], 3
	s_add_u32 s4, s26, s0
	v_add_u32_e32 v14, s33, v11
	s_addc_u32 s5, s27, s1
	v_add_u32_e32 v6, s25, v7
	v_ashrrev_i32_e32 v7, 31, v14
	v_mad_u64_u32 v[10:11], s[0:1], s28, v14, 0
	v_mul_lo_u32 v7, s28, v7
	v_mul_lo_u32 v12, s29, v14
	v_cmp_neq_f64_e64 s[0:1], s[6:7], 0
	s_waitcnt lgkmcnt(0)
	v_cmp_gt_i32_e64 s[2:3], s24, v14
	v_add3_u32 v11, v11, v7, v12
	v_cmp_le_i32_e32 vcc, v6, v14
	v_cndmask_b32_e64 v12, 0, 1, s[0:1]
	v_lshl_add_u64 v[10:11], v[10:11], 3, s[4:5]
	s_and_b64 s[10:11], s[2:3], vcc
	v_ashrrev_i32_e32 v7, 31, v6
	v_cmp_ne_u32_e64 s[0:1], 1, v12
	s_and_saveexec_b64 s[8:9], s[10:11]
	s_cbranch_execz .LBB187_16
; %bb.13:
	v_mul_f64 v[8:9], s[34:35], v[8:9]
	s_and_b64 vcc, exec, s[0:1]
	v_lshl_add_u64 v[12:13], v[6:7], 3, v[10:11]
	s_cbranch_vccnz .LBB187_15
; %bb.14:
	global_load_dwordx2 v[16:17], v[12:13], off
	s_waitcnt vmcnt(0)
	v_fmac_f64_e32 v[8:9], s[6:7], v[16:17]
.LBB187_15:
	global_store_dwordx2 v[12:13], v[8:9], off
.LBB187_16:
	s_or_b64 exec, exec, s[8:9]
	v_add_u32_e32 v8, 16, v6
	v_cmp_le_i32_e32 vcc, v8, v14
	s_and_b64 s[8:9], s[2:3], vcc
	v_ashrrev_i32_e32 v9, 31, v8
	s_and_saveexec_b64 s[2:3], s[8:9]
	s_cbranch_execz .LBB187_20
; %bb.17:
	v_mul_f64 v[4:5], s[34:35], v[4:5]
	s_and_b64 vcc, exec, s[0:1]
	v_lshl_add_u64 v[10:11], v[8:9], 3, v[10:11]
	s_cbranch_vccnz .LBB187_19
; %bb.18:
	global_load_dwordx2 v[12:13], v[10:11], off
	s_waitcnt vmcnt(0)
	v_fmac_f64_e32 v[4:5], s[6:7], v[12:13]
.LBB187_19:
	global_store_dwordx2 v[10:11], v[4:5], off
.LBB187_20:
	s_or_b64 exec, exec, s[2:3]
	v_add_u32_e32 v10, 16, v14
	v_ashrrev_i32_e32 v4, 31, v10
	v_mul_lo_u32 v11, s28, v4
	v_mul_lo_u32 v12, s29, v10
	v_mad_u64_u32 v[4:5], s[8:9], s28, v10, 0
	v_cmp_gt_i32_e64 s[2:3], s24, v10
	v_add3_u32 v5, v5, v11, v12
	v_cmp_le_i32_e32 vcc, v6, v10
	v_lshl_add_u64 v[4:5], v[4:5], 3, s[4:5]
	s_and_b64 s[8:9], s[2:3], vcc
	s_and_saveexec_b64 s[4:5], s[8:9]
	s_cbranch_execz .LBB187_24
; %bb.21:
	v_mul_f64 v[2:3], s[34:35], v[2:3]
	s_and_b64 vcc, exec, s[0:1]
	v_lshl_add_u64 v[6:7], v[6:7], 3, v[4:5]
	s_cbranch_vccnz .LBB187_23
; %bb.22:
	global_load_dwordx2 v[12:13], v[6:7], off
	s_waitcnt vmcnt(0)
	v_fmac_f64_e32 v[2:3], s[6:7], v[12:13]
.LBB187_23:
	global_store_dwordx2 v[6:7], v[2:3], off
.LBB187_24:
	s_or_b64 exec, exec, s[4:5]
	v_cmp_le_i32_e32 vcc, v8, v10
	s_and_b64 s[2:3], s[2:3], vcc
	s_and_saveexec_b64 s[4:5], s[2:3]
	s_cbranch_execz .LBB187_28
; %bb.25:
	v_mul_f64 v[0:1], s[34:35], v[0:1]
	s_and_b64 vcc, exec, s[0:1]
	v_lshl_add_u64 v[2:3], v[8:9], 3, v[4:5]
	s_cbranch_vccnz .LBB187_27
; %bb.26:
	global_load_dwordx2 v[4:5], v[2:3], off
	s_waitcnt vmcnt(0)
	v_fmac_f64_e32 v[0:1], s[6:7], v[4:5]
.LBB187_27:
	global_store_dwordx2 v[2:3], v[0:1], off
.LBB187_28:
	s_endpgm
	.section	.rodata,"a",@progbits
	.p2align	6, 0x0
	.amdhsa_kernel _ZL29rocblas_internal_gemmt_kernelIlLi16ELi32ELi8ELc67ELc84ELc85ELb0ELb0EdPKdS1_PdEviT_T9_T10_S3_lS5_S3_lS4_T11_S3_li
		.amdhsa_group_segment_fixed_size 4096
		.amdhsa_private_segment_fixed_size 0
		.amdhsa_kernarg_size 108
		.amdhsa_user_sgpr_count 2
		.amdhsa_user_sgpr_dispatch_ptr 0
		.amdhsa_user_sgpr_queue_ptr 0
		.amdhsa_user_sgpr_kernarg_segment_ptr 1
		.amdhsa_user_sgpr_dispatch_id 0
		.amdhsa_user_sgpr_kernarg_preload_length 0
		.amdhsa_user_sgpr_kernarg_preload_offset 0
		.amdhsa_user_sgpr_private_segment_size 0
		.amdhsa_uses_dynamic_stack 0
		.amdhsa_enable_private_segment 0
		.amdhsa_system_sgpr_workgroup_id_x 1
		.amdhsa_system_sgpr_workgroup_id_y 1
		.amdhsa_system_sgpr_workgroup_id_z 1
		.amdhsa_system_sgpr_workgroup_info 0
		.amdhsa_system_vgpr_workitem_id 1
		.amdhsa_next_free_vgpr 54
		.amdhsa_next_free_sgpr 36
		.amdhsa_accum_offset 56
		.amdhsa_reserve_vcc 1
		.amdhsa_float_round_mode_32 0
		.amdhsa_float_round_mode_16_64 0
		.amdhsa_float_denorm_mode_32 3
		.amdhsa_float_denorm_mode_16_64 3
		.amdhsa_dx10_clamp 1
		.amdhsa_ieee_mode 1
		.amdhsa_fp16_overflow 0
		.amdhsa_tg_split 0
		.amdhsa_exception_fp_ieee_invalid_op 0
		.amdhsa_exception_fp_denorm_src 0
		.amdhsa_exception_fp_ieee_div_zero 0
		.amdhsa_exception_fp_ieee_overflow 0
		.amdhsa_exception_fp_ieee_underflow 0
		.amdhsa_exception_fp_ieee_inexact 0
		.amdhsa_exception_int_div_zero 0
	.end_amdhsa_kernel
	.section	.text._ZL29rocblas_internal_gemmt_kernelIlLi16ELi32ELi8ELc67ELc84ELc85ELb0ELb0EdPKdS1_PdEviT_T9_T10_S3_lS5_S3_lS4_T11_S3_li,"axG",@progbits,_ZL29rocblas_internal_gemmt_kernelIlLi16ELi32ELi8ELc67ELc84ELc85ELb0ELb0EdPKdS1_PdEviT_T9_T10_S3_lS5_S3_lS4_T11_S3_li,comdat
.Lfunc_end187:
	.size	_ZL29rocblas_internal_gemmt_kernelIlLi16ELi32ELi8ELc67ELc84ELc85ELb0ELb0EdPKdS1_PdEviT_T9_T10_S3_lS5_S3_lS4_T11_S3_li, .Lfunc_end187-_ZL29rocblas_internal_gemmt_kernelIlLi16ELi32ELi8ELc67ELc84ELc85ELb0ELb0EdPKdS1_PdEviT_T9_T10_S3_lS5_S3_lS4_T11_S3_li
                                        ; -- End function
	.set _ZL29rocblas_internal_gemmt_kernelIlLi16ELi32ELi8ELc67ELc84ELc85ELb0ELb0EdPKdS1_PdEviT_T9_T10_S3_lS5_S3_lS4_T11_S3_li.num_vgpr, 54
	.set _ZL29rocblas_internal_gemmt_kernelIlLi16ELi32ELi8ELc67ELc84ELc85ELb0ELb0EdPKdS1_PdEviT_T9_T10_S3_lS5_S3_lS4_T11_S3_li.num_agpr, 0
	.set _ZL29rocblas_internal_gemmt_kernelIlLi16ELi32ELi8ELc67ELc84ELc85ELb0ELb0EdPKdS1_PdEviT_T9_T10_S3_lS5_S3_lS4_T11_S3_li.numbered_sgpr, 36
	.set _ZL29rocblas_internal_gemmt_kernelIlLi16ELi32ELi8ELc67ELc84ELc85ELb0ELb0EdPKdS1_PdEviT_T9_T10_S3_lS5_S3_lS4_T11_S3_li.num_named_barrier, 0
	.set _ZL29rocblas_internal_gemmt_kernelIlLi16ELi32ELi8ELc67ELc84ELc85ELb0ELb0EdPKdS1_PdEviT_T9_T10_S3_lS5_S3_lS4_T11_S3_li.private_seg_size, 0
	.set _ZL29rocblas_internal_gemmt_kernelIlLi16ELi32ELi8ELc67ELc84ELc85ELb0ELb0EdPKdS1_PdEviT_T9_T10_S3_lS5_S3_lS4_T11_S3_li.uses_vcc, 1
	.set _ZL29rocblas_internal_gemmt_kernelIlLi16ELi32ELi8ELc67ELc84ELc85ELb0ELb0EdPKdS1_PdEviT_T9_T10_S3_lS5_S3_lS4_T11_S3_li.uses_flat_scratch, 0
	.set _ZL29rocblas_internal_gemmt_kernelIlLi16ELi32ELi8ELc67ELc84ELc85ELb0ELb0EdPKdS1_PdEviT_T9_T10_S3_lS5_S3_lS4_T11_S3_li.has_dyn_sized_stack, 0
	.set _ZL29rocblas_internal_gemmt_kernelIlLi16ELi32ELi8ELc67ELc84ELc85ELb0ELb0EdPKdS1_PdEviT_T9_T10_S3_lS5_S3_lS4_T11_S3_li.has_recursion, 0
	.set _ZL29rocblas_internal_gemmt_kernelIlLi16ELi32ELi8ELc67ELc84ELc85ELb0ELb0EdPKdS1_PdEviT_T9_T10_S3_lS5_S3_lS4_T11_S3_li.has_indirect_call, 0
	.section	.AMDGPU.csdata,"",@progbits
; Kernel info:
; codeLenInByte = 1336
; TotalNumSgprs: 42
; NumVgprs: 54
; NumAgprs: 0
; TotalNumVgprs: 54
; ScratchSize: 0
; MemoryBound: 0
; FloatMode: 240
; IeeeMode: 1
; LDSByteSize: 4096 bytes/workgroup (compile time only)
; SGPRBlocks: 5
; VGPRBlocks: 6
; NumSGPRsForWavesPerEU: 42
; NumVGPRsForWavesPerEU: 54
; AccumOffset: 56
; Occupancy: 8
; WaveLimiterHint : 0
; COMPUTE_PGM_RSRC2:SCRATCH_EN: 0
; COMPUTE_PGM_RSRC2:USER_SGPR: 2
; COMPUTE_PGM_RSRC2:TRAP_HANDLER: 0
; COMPUTE_PGM_RSRC2:TGID_X_EN: 1
; COMPUTE_PGM_RSRC2:TGID_Y_EN: 1
; COMPUTE_PGM_RSRC2:TGID_Z_EN: 1
; COMPUTE_PGM_RSRC2:TIDIG_COMP_CNT: 1
; COMPUTE_PGM_RSRC3_GFX90A:ACCUM_OFFSET: 13
; COMPUTE_PGM_RSRC3_GFX90A:TG_SPLIT: 0
	.section	.text._ZL29rocblas_internal_gemmt_kernelIlLi16ELi32ELi8ELc67ELc67ELc85ELb0ELb0EdPKdS1_PdEviT_T9_T10_S3_lS5_S3_lS4_T11_S3_li,"axG",@progbits,_ZL29rocblas_internal_gemmt_kernelIlLi16ELi32ELi8ELc67ELc67ELc85ELb0ELb0EdPKdS1_PdEviT_T9_T10_S3_lS5_S3_lS4_T11_S3_li,comdat
	.globl	_ZL29rocblas_internal_gemmt_kernelIlLi16ELi32ELi8ELc67ELc67ELc85ELb0ELb0EdPKdS1_PdEviT_T9_T10_S3_lS5_S3_lS4_T11_S3_li ; -- Begin function _ZL29rocblas_internal_gemmt_kernelIlLi16ELi32ELi8ELc67ELc67ELc85ELb0ELb0EdPKdS1_PdEviT_T9_T10_S3_lS5_S3_lS4_T11_S3_li
	.p2align	8
	.type	_ZL29rocblas_internal_gemmt_kernelIlLi16ELi32ELi8ELc67ELc67ELc85ELb0ELb0EdPKdS1_PdEviT_T9_T10_S3_lS5_S3_lS4_T11_S3_li,@function
_ZL29rocblas_internal_gemmt_kernelIlLi16ELi32ELi8ELc67ELc67ELc85ELb0ELb0EdPKdS1_PdEviT_T9_T10_S3_lS5_S3_lS4_T11_S3_li: ; @_ZL29rocblas_internal_gemmt_kernelIlLi16ELi32ELi8ELc67ELc67ELc85ELb0ELb0EdPKdS1_PdEviT_T9_T10_S3_lS5_S3_lS4_T11_S3_li
; %bb.0:
	s_load_dwordx8 s[24:31], s[0:1], 0x48
	s_load_dwordx16 s[8:23], s[0:1], 0x8
	s_waitcnt lgkmcnt(0)
	s_load_dwordx2 s[6:7], s[24:25], 0x0
	s_load_dwordx2 s[34:35], s[10:11], 0x0
	s_waitcnt lgkmcnt(0)
	v_cmp_neq_f64_e64 s[10:11], s[6:7], 1.0
	s_and_b64 vcc, exec, s[10:11]
	s_cbranch_vccnz .LBB188_2
; %bb.1:
	s_cmp_lg_u64 s[8:9], 0
	s_cselect_b64 s[10:11], -1, 0
	v_cmp_neq_f64_e64 s[24:25], s[34:35], 0
	s_and_b64 s[10:11], s[10:11], s[24:25]
.LBB188_2:
	s_andn2_b64 vcc, exec, s[10:11]
	s_cbranch_vccnz .LBB188_28
; %bb.3:
	s_load_dword s24, s[0:1], 0x0
	s_lshl_b32 s25, s2, 5
	s_lshl_b32 s33, s3, 5
	v_cmp_eq_f64_e64 s[0:1], s[34:35], 0
	v_cmp_lt_i64_e64 s[2:3], s[8:9], 1
	s_or_b64 s[0:1], s[0:1], s[2:3]
	v_and_b32_e32 v7, 0x3ff, v0
	v_bfe_u32 v11, v0, 10, 10
	v_mov_b64_e32 v[8:9], 0
	s_and_b64 vcc, exec, s[0:1]
	v_mov_b64_e32 v[4:5], 0
	v_mov_b64_e32 v[2:3], 0
	;; [unrolled: 1-line block ×3, first 2 shown]
	s_cbranch_vccnz .LBB188_12
; %bb.4:
	s_mul_i32 s0, s23, s4
	s_mul_hi_u32 s1, s22, s4
	s_add_i32 s1, s1, s0
	s_mul_i32 s0, s22, s4
	s_lshl_b64 s[0:1], s[0:1], 3
	s_add_u32 s10, s18, s0
	s_addc_u32 s11, s19, s1
	s_mul_i32 s0, s17, s4
	s_mul_hi_u32 s1, s16, s4
	s_add_i32 s1, s1, s0
	s_mul_i32 s0, s16, s4
	v_lshl_add_u32 v1, v11, 4, v7
	s_lshl_b64 s[0:1], s[0:1], 3
	v_lshrrev_b32_e32 v10, 5, v1
	v_lshrrev_b32_e32 v4, 3, v1
	v_and_b32_e32 v1, 31, v1
	s_add_u32 s2, s12, s0
	v_or_b32_e32 v2, s25, v1
	s_addc_u32 s3, s13, s1
	v_lshlrev_b32_e32 v1, 3, v1
	s_ashr_i32 s5, s25, 31
	v_and_b32_e32 v6, 7, v7
	s_waitcnt lgkmcnt(0)
	v_cmp_gt_i32_e64 s[0:1], s24, v2
	v_lshl_or_b32 v18, v10, 8, v1
	v_mul_lo_u32 v1, s15, v2
	v_mad_u64_u32 v[2:3], s[12:13], s14, v2, 0
	s_mul_i32 s5, s14, s5
	v_add3_u32 v3, v3, s5, v1
	v_lshlrev_b32_e32 v1, 3, v6
	v_add_u32_e32 v0, s33, v4
	v_lshl_or_b32 v1, v4, 6, v1
	v_add_u32_e32 v19, 0x800, v1
	v_ashrrev_i32_e32 v1, 31, v0
	v_lshl_add_u64 v[12:13], v[2:3], 3, s[2:3]
	v_cmp_gt_i32_e64 s[2:3], s24, v0
	v_lshl_add_u64 v[14:15], v[0:1], 3, s[10:11]
	v_mov_b32_e32 v0, 0x800
	v_lshlrev_b32_e32 v20, 3, v7
	v_lshl_add_u32 v21, v11, 6, v0
	v_mov_b32_e32 v17, 0
	v_mov_b64_e32 v[0:1], 0
	s_mov_b64 s[10:11], 0
	v_mov_b64_e32 v[2:3], 0
	v_mov_b64_e32 v[4:5], 0
	;; [unrolled: 1-line block ×3, first 2 shown]
	s_branch .LBB188_6
.LBB188_5:                              ;   in Loop: Header=BB188_6 Depth=1
	s_or_b64 exec, exec, s[12:13]
	s_waitcnt vmcnt(0)
	ds_write_b64 v19, v[22:23]
	s_waitcnt lgkmcnt(0)
	s_barrier
	ds_read2_b64 v[22:25], v20 offset1:16
	ds_read_b128 v[26:29], v21
	ds_read_b128 v[30:33], v21 offset:16
	ds_read_b128 v[34:37], v21 offset:32
	;; [unrolled: 1-line block ×4, first 2 shown]
	ds_read2_b64 v[46:49], v20 offset0:32 offset1:48
	s_waitcnt lgkmcnt(5)
	v_fmac_f64_e32 v[8:9], v[22:23], v[26:27]
	v_fmac_f64_e32 v[4:5], v[24:25], v[26:27]
	ds_read_b128 v[50:53], v21 offset:1040
	s_waitcnt lgkmcnt(2)
	v_fmac_f64_e32 v[2:3], v[22:23], v[42:43]
	v_fmac_f64_e32 v[0:1], v[24:25], v[42:43]
	ds_read2_b64 v[22:25], v20 offset0:64 offset1:80
	s_waitcnt lgkmcnt(2)
	v_fmac_f64_e32 v[8:9], v[46:47], v[28:29]
	v_fmac_f64_e32 v[4:5], v[48:49], v[28:29]
	ds_read2_b64 v[26:29], v20 offset0:96 offset1:112
	v_fmac_f64_e32 v[2:3], v[46:47], v[44:45]
	v_fmac_f64_e32 v[0:1], v[48:49], v[44:45]
	s_waitcnt lgkmcnt(1)
	v_fmac_f64_e32 v[8:9], v[22:23], v[30:31]
	v_fmac_f64_e32 v[4:5], v[24:25], v[30:31]
	ds_read_b128 v[42:45], v21 offset:1072
	v_fmac_f64_e32 v[2:3], v[22:23], v[50:51]
	v_fmac_f64_e32 v[0:1], v[24:25], v[50:51]
	s_waitcnt lgkmcnt(1)
	v_fmac_f64_e32 v[8:9], v[26:27], v[32:33]
	ds_read2_b64 v[22:25], v20 offset0:128 offset1:144
	v_fmac_f64_e32 v[4:5], v[28:29], v[32:33]
	v_fmac_f64_e32 v[2:3], v[26:27], v[52:53]
	v_fmac_f64_e32 v[0:1], v[28:29], v[52:53]
	ds_read_b128 v[26:29], v21 offset:1056
	ds_read2_b64 v[30:33], v20 offset0:160 offset1:176
	s_waitcnt lgkmcnt(2)
	v_fmac_f64_e32 v[8:9], v[22:23], v[34:35]
	v_fmac_f64_e32 v[4:5], v[24:25], v[34:35]
	s_add_u32 s10, s10, 8
	s_waitcnt lgkmcnt(1)
	v_fmac_f64_e32 v[2:3], v[22:23], v[26:27]
	v_fmac_f64_e32 v[0:1], v[24:25], v[26:27]
	ds_read2_b64 v[22:25], v20 offset0:192 offset1:208
	s_waitcnt lgkmcnt(1)
	v_fmac_f64_e32 v[2:3], v[30:31], v[28:29]
	v_fmac_f64_e32 v[0:1], v[32:33], v[28:29]
	ds_read2_b64 v[26:29], v20 offset0:224 offset1:240
	v_fmac_f64_e32 v[8:9], v[30:31], v[36:37]
	s_addc_u32 s11, s11, 0
	v_fmac_f64_e32 v[4:5], v[32:33], v[36:37]
	s_waitcnt lgkmcnt(1)
	v_fmac_f64_e32 v[8:9], v[22:23], v[38:39]
	v_fmac_f64_e32 v[2:3], v[22:23], v[42:43]
	v_mov_b64_e32 v[22:23], s[10:11]
	v_fmac_f64_e32 v[4:5], v[24:25], v[38:39]
	v_fmac_f64_e32 v[0:1], v[24:25], v[42:43]
	v_cmp_gt_i64_e32 vcc, s[8:9], v[22:23]
	s_waitcnt lgkmcnt(0)
	v_fmac_f64_e32 v[8:9], v[26:27], v[40:41]
	v_fmac_f64_e32 v[4:5], v[28:29], v[40:41]
	v_fmac_f64_e32 v[2:3], v[26:27], v[44:45]
	v_fmac_f64_e32 v[0:1], v[28:29], v[44:45]
	s_barrier
	s_cbranch_vccz .LBB188_12
.LBB188_6:                              ; =>This Inner Loop Header: Depth=1
	v_mov_b64_e32 v[22:23], 0
	s_and_saveexec_b64 s[12:13], s[0:1]
	s_cbranch_execz .LBB188_10
; %bb.7:                                ;   in Loop: Header=BB188_6 Depth=1
	v_add_u32_e32 v16, s10, v10
	v_cmp_gt_u64_e32 vcc, s[8:9], v[16:17]
	v_mov_b64_e32 v[22:23], 0
	s_and_saveexec_b64 s[14:15], vcc
	s_cbranch_execz .LBB188_9
; %bb.8:                                ;   in Loop: Header=BB188_6 Depth=1
	v_lshl_add_u64 v[22:23], v[16:17], 3, v[12:13]
	global_load_dwordx2 v[22:23], v[22:23], off
.LBB188_9:                              ;   in Loop: Header=BB188_6 Depth=1
	s_or_b64 exec, exec, s[14:15]
.LBB188_10:                             ;   in Loop: Header=BB188_6 Depth=1
	s_or_b64 exec, exec, s[12:13]
	v_add_u32_e32 v16, s10, v6
	v_cmp_gt_u64_e32 vcc, s[8:9], v[16:17]
	s_waitcnt vmcnt(0)
	ds_write_b64 v18, v[22:23]
	s_and_b64 s[14:15], vcc, s[2:3]
	v_mov_b64_e32 v[22:23], 0
	s_and_saveexec_b64 s[12:13], s[14:15]
	s_cbranch_execz .LBB188_5
; %bb.11:                               ;   in Loop: Header=BB188_6 Depth=1
	v_mad_u64_u32 v[22:23], s[14:15], s20, v16, 0
	v_mov_b32_e32 v24, v23
	v_mad_u64_u32 v[24:25], s[14:15], s21, v16, v[24:25]
	v_mov_b32_e32 v23, v24
	v_lshl_add_u64 v[22:23], v[22:23], 3, v[14:15]
	global_load_dwordx2 v[22:23], v[22:23], off
	s_branch .LBB188_5
.LBB188_12:
	s_mul_i32 s0, s31, s4
	s_mul_hi_u32 s1, s30, s4
	s_add_i32 s1, s1, s0
	s_mul_i32 s0, s30, s4
	s_lshl_b64 s[0:1], s[0:1], 3
	s_add_u32 s4, s26, s0
	v_add_u32_e32 v14, s33, v11
	s_addc_u32 s5, s27, s1
	v_add_u32_e32 v6, s25, v7
	v_ashrrev_i32_e32 v7, 31, v14
	v_mad_u64_u32 v[10:11], s[0:1], s28, v14, 0
	v_mul_lo_u32 v7, s28, v7
	v_mul_lo_u32 v12, s29, v14
	v_cmp_neq_f64_e64 s[0:1], s[6:7], 0
	s_waitcnt lgkmcnt(0)
	v_cmp_gt_i32_e64 s[2:3], s24, v14
	v_add3_u32 v11, v11, v7, v12
	v_cmp_le_i32_e32 vcc, v6, v14
	v_cndmask_b32_e64 v12, 0, 1, s[0:1]
	v_lshl_add_u64 v[10:11], v[10:11], 3, s[4:5]
	s_and_b64 s[10:11], s[2:3], vcc
	v_ashrrev_i32_e32 v7, 31, v6
	v_cmp_ne_u32_e64 s[0:1], 1, v12
	s_and_saveexec_b64 s[8:9], s[10:11]
	s_cbranch_execz .LBB188_16
; %bb.13:
	v_mul_f64 v[8:9], s[34:35], v[8:9]
	s_and_b64 vcc, exec, s[0:1]
	v_lshl_add_u64 v[12:13], v[6:7], 3, v[10:11]
	s_cbranch_vccnz .LBB188_15
; %bb.14:
	global_load_dwordx2 v[16:17], v[12:13], off
	s_waitcnt vmcnt(0)
	v_fmac_f64_e32 v[8:9], s[6:7], v[16:17]
.LBB188_15:
	global_store_dwordx2 v[12:13], v[8:9], off
.LBB188_16:
	s_or_b64 exec, exec, s[8:9]
	v_add_u32_e32 v8, 16, v6
	v_cmp_le_i32_e32 vcc, v8, v14
	s_and_b64 s[8:9], s[2:3], vcc
	v_ashrrev_i32_e32 v9, 31, v8
	s_and_saveexec_b64 s[2:3], s[8:9]
	s_cbranch_execz .LBB188_20
; %bb.17:
	v_mul_f64 v[4:5], s[34:35], v[4:5]
	s_and_b64 vcc, exec, s[0:1]
	v_lshl_add_u64 v[10:11], v[8:9], 3, v[10:11]
	s_cbranch_vccnz .LBB188_19
; %bb.18:
	global_load_dwordx2 v[12:13], v[10:11], off
	s_waitcnt vmcnt(0)
	v_fmac_f64_e32 v[4:5], s[6:7], v[12:13]
.LBB188_19:
	global_store_dwordx2 v[10:11], v[4:5], off
.LBB188_20:
	s_or_b64 exec, exec, s[2:3]
	v_add_u32_e32 v10, 16, v14
	v_ashrrev_i32_e32 v4, 31, v10
	v_mul_lo_u32 v11, s28, v4
	v_mul_lo_u32 v12, s29, v10
	v_mad_u64_u32 v[4:5], s[8:9], s28, v10, 0
	v_cmp_gt_i32_e64 s[2:3], s24, v10
	v_add3_u32 v5, v5, v11, v12
	v_cmp_le_i32_e32 vcc, v6, v10
	v_lshl_add_u64 v[4:5], v[4:5], 3, s[4:5]
	s_and_b64 s[8:9], s[2:3], vcc
	s_and_saveexec_b64 s[4:5], s[8:9]
	s_cbranch_execz .LBB188_24
; %bb.21:
	v_mul_f64 v[2:3], s[34:35], v[2:3]
	s_and_b64 vcc, exec, s[0:1]
	v_lshl_add_u64 v[6:7], v[6:7], 3, v[4:5]
	s_cbranch_vccnz .LBB188_23
; %bb.22:
	global_load_dwordx2 v[12:13], v[6:7], off
	s_waitcnt vmcnt(0)
	v_fmac_f64_e32 v[2:3], s[6:7], v[12:13]
.LBB188_23:
	global_store_dwordx2 v[6:7], v[2:3], off
.LBB188_24:
	s_or_b64 exec, exec, s[4:5]
	v_cmp_le_i32_e32 vcc, v8, v10
	s_and_b64 s[2:3], s[2:3], vcc
	s_and_saveexec_b64 s[4:5], s[2:3]
	s_cbranch_execz .LBB188_28
; %bb.25:
	v_mul_f64 v[0:1], s[34:35], v[0:1]
	s_and_b64 vcc, exec, s[0:1]
	v_lshl_add_u64 v[2:3], v[8:9], 3, v[4:5]
	s_cbranch_vccnz .LBB188_27
; %bb.26:
	global_load_dwordx2 v[4:5], v[2:3], off
	s_waitcnt vmcnt(0)
	v_fmac_f64_e32 v[0:1], s[6:7], v[4:5]
.LBB188_27:
	global_store_dwordx2 v[2:3], v[0:1], off
.LBB188_28:
	s_endpgm
	.section	.rodata,"a",@progbits
	.p2align	6, 0x0
	.amdhsa_kernel _ZL29rocblas_internal_gemmt_kernelIlLi16ELi32ELi8ELc67ELc67ELc85ELb0ELb0EdPKdS1_PdEviT_T9_T10_S3_lS5_S3_lS4_T11_S3_li
		.amdhsa_group_segment_fixed_size 4096
		.amdhsa_private_segment_fixed_size 0
		.amdhsa_kernarg_size 108
		.amdhsa_user_sgpr_count 2
		.amdhsa_user_sgpr_dispatch_ptr 0
		.amdhsa_user_sgpr_queue_ptr 0
		.amdhsa_user_sgpr_kernarg_segment_ptr 1
		.amdhsa_user_sgpr_dispatch_id 0
		.amdhsa_user_sgpr_kernarg_preload_length 0
		.amdhsa_user_sgpr_kernarg_preload_offset 0
		.amdhsa_user_sgpr_private_segment_size 0
		.amdhsa_uses_dynamic_stack 0
		.amdhsa_enable_private_segment 0
		.amdhsa_system_sgpr_workgroup_id_x 1
		.amdhsa_system_sgpr_workgroup_id_y 1
		.amdhsa_system_sgpr_workgroup_id_z 1
		.amdhsa_system_sgpr_workgroup_info 0
		.amdhsa_system_vgpr_workitem_id 1
		.amdhsa_next_free_vgpr 54
		.amdhsa_next_free_sgpr 36
		.amdhsa_accum_offset 56
		.amdhsa_reserve_vcc 1
		.amdhsa_float_round_mode_32 0
		.amdhsa_float_round_mode_16_64 0
		.amdhsa_float_denorm_mode_32 3
		.amdhsa_float_denorm_mode_16_64 3
		.amdhsa_dx10_clamp 1
		.amdhsa_ieee_mode 1
		.amdhsa_fp16_overflow 0
		.amdhsa_tg_split 0
		.amdhsa_exception_fp_ieee_invalid_op 0
		.amdhsa_exception_fp_denorm_src 0
		.amdhsa_exception_fp_ieee_div_zero 0
		.amdhsa_exception_fp_ieee_overflow 0
		.amdhsa_exception_fp_ieee_underflow 0
		.amdhsa_exception_fp_ieee_inexact 0
		.amdhsa_exception_int_div_zero 0
	.end_amdhsa_kernel
	.section	.text._ZL29rocblas_internal_gemmt_kernelIlLi16ELi32ELi8ELc67ELc67ELc85ELb0ELb0EdPKdS1_PdEviT_T9_T10_S3_lS5_S3_lS4_T11_S3_li,"axG",@progbits,_ZL29rocblas_internal_gemmt_kernelIlLi16ELi32ELi8ELc67ELc67ELc85ELb0ELb0EdPKdS1_PdEviT_T9_T10_S3_lS5_S3_lS4_T11_S3_li,comdat
.Lfunc_end188:
	.size	_ZL29rocblas_internal_gemmt_kernelIlLi16ELi32ELi8ELc67ELc67ELc85ELb0ELb0EdPKdS1_PdEviT_T9_T10_S3_lS5_S3_lS4_T11_S3_li, .Lfunc_end188-_ZL29rocblas_internal_gemmt_kernelIlLi16ELi32ELi8ELc67ELc67ELc85ELb0ELb0EdPKdS1_PdEviT_T9_T10_S3_lS5_S3_lS4_T11_S3_li
                                        ; -- End function
	.set _ZL29rocblas_internal_gemmt_kernelIlLi16ELi32ELi8ELc67ELc67ELc85ELb0ELb0EdPKdS1_PdEviT_T9_T10_S3_lS5_S3_lS4_T11_S3_li.num_vgpr, 54
	.set _ZL29rocblas_internal_gemmt_kernelIlLi16ELi32ELi8ELc67ELc67ELc85ELb0ELb0EdPKdS1_PdEviT_T9_T10_S3_lS5_S3_lS4_T11_S3_li.num_agpr, 0
	.set _ZL29rocblas_internal_gemmt_kernelIlLi16ELi32ELi8ELc67ELc67ELc85ELb0ELb0EdPKdS1_PdEviT_T9_T10_S3_lS5_S3_lS4_T11_S3_li.numbered_sgpr, 36
	.set _ZL29rocblas_internal_gemmt_kernelIlLi16ELi32ELi8ELc67ELc67ELc85ELb0ELb0EdPKdS1_PdEviT_T9_T10_S3_lS5_S3_lS4_T11_S3_li.num_named_barrier, 0
	.set _ZL29rocblas_internal_gemmt_kernelIlLi16ELi32ELi8ELc67ELc67ELc85ELb0ELb0EdPKdS1_PdEviT_T9_T10_S3_lS5_S3_lS4_T11_S3_li.private_seg_size, 0
	.set _ZL29rocblas_internal_gemmt_kernelIlLi16ELi32ELi8ELc67ELc67ELc85ELb0ELb0EdPKdS1_PdEviT_T9_T10_S3_lS5_S3_lS4_T11_S3_li.uses_vcc, 1
	.set _ZL29rocblas_internal_gemmt_kernelIlLi16ELi32ELi8ELc67ELc67ELc85ELb0ELb0EdPKdS1_PdEviT_T9_T10_S3_lS5_S3_lS4_T11_S3_li.uses_flat_scratch, 0
	.set _ZL29rocblas_internal_gemmt_kernelIlLi16ELi32ELi8ELc67ELc67ELc85ELb0ELb0EdPKdS1_PdEviT_T9_T10_S3_lS5_S3_lS4_T11_S3_li.has_dyn_sized_stack, 0
	.set _ZL29rocblas_internal_gemmt_kernelIlLi16ELi32ELi8ELc67ELc67ELc85ELb0ELb0EdPKdS1_PdEviT_T9_T10_S3_lS5_S3_lS4_T11_S3_li.has_recursion, 0
	.set _ZL29rocblas_internal_gemmt_kernelIlLi16ELi32ELi8ELc67ELc67ELc85ELb0ELb0EdPKdS1_PdEviT_T9_T10_S3_lS5_S3_lS4_T11_S3_li.has_indirect_call, 0
	.section	.AMDGPU.csdata,"",@progbits
; Kernel info:
; codeLenInByte = 1336
; TotalNumSgprs: 42
; NumVgprs: 54
; NumAgprs: 0
; TotalNumVgprs: 54
; ScratchSize: 0
; MemoryBound: 0
; FloatMode: 240
; IeeeMode: 1
; LDSByteSize: 4096 bytes/workgroup (compile time only)
; SGPRBlocks: 5
; VGPRBlocks: 6
; NumSGPRsForWavesPerEU: 42
; NumVGPRsForWavesPerEU: 54
; AccumOffset: 56
; Occupancy: 8
; WaveLimiterHint : 0
; COMPUTE_PGM_RSRC2:SCRATCH_EN: 0
; COMPUTE_PGM_RSRC2:USER_SGPR: 2
; COMPUTE_PGM_RSRC2:TRAP_HANDLER: 0
; COMPUTE_PGM_RSRC2:TGID_X_EN: 1
; COMPUTE_PGM_RSRC2:TGID_Y_EN: 1
; COMPUTE_PGM_RSRC2:TGID_Z_EN: 1
; COMPUTE_PGM_RSRC2:TIDIG_COMP_CNT: 1
; COMPUTE_PGM_RSRC3_GFX90A:ACCUM_OFFSET: 13
; COMPUTE_PGM_RSRC3_GFX90A:TG_SPLIT: 0
	.section	.text._ZL29rocblas_internal_gemmt_kernelIlLi16ELi32ELi8ELc78ELc78ELc76ELb0ELb0EdPKdS1_PdEviT_T9_T10_S3_lS5_S3_lS4_T11_S3_li,"axG",@progbits,_ZL29rocblas_internal_gemmt_kernelIlLi16ELi32ELi8ELc78ELc78ELc76ELb0ELb0EdPKdS1_PdEviT_T9_T10_S3_lS5_S3_lS4_T11_S3_li,comdat
	.globl	_ZL29rocblas_internal_gemmt_kernelIlLi16ELi32ELi8ELc78ELc78ELc76ELb0ELb0EdPKdS1_PdEviT_T9_T10_S3_lS5_S3_lS4_T11_S3_li ; -- Begin function _ZL29rocblas_internal_gemmt_kernelIlLi16ELi32ELi8ELc78ELc78ELc76ELb0ELb0EdPKdS1_PdEviT_T9_T10_S3_lS5_S3_lS4_T11_S3_li
	.p2align	8
	.type	_ZL29rocblas_internal_gemmt_kernelIlLi16ELi32ELi8ELc78ELc78ELc76ELb0ELb0EdPKdS1_PdEviT_T9_T10_S3_lS5_S3_lS4_T11_S3_li,@function
_ZL29rocblas_internal_gemmt_kernelIlLi16ELi32ELi8ELc78ELc78ELc76ELb0ELb0EdPKdS1_PdEviT_T9_T10_S3_lS5_S3_lS4_T11_S3_li: ; @_ZL29rocblas_internal_gemmt_kernelIlLi16ELi32ELi8ELc78ELc78ELc76ELb0ELb0EdPKdS1_PdEviT_T9_T10_S3_lS5_S3_lS4_T11_S3_li
; %bb.0:
	s_load_dwordx8 s[24:31], s[0:1], 0x48
	s_load_dwordx16 s[8:23], s[0:1], 0x8
	s_waitcnt lgkmcnt(0)
	s_load_dwordx2 s[6:7], s[24:25], 0x0
	s_load_dwordx2 s[34:35], s[10:11], 0x0
	s_waitcnt lgkmcnt(0)
	v_cmp_neq_f64_e64 s[10:11], s[6:7], 1.0
	s_and_b64 vcc, exec, s[10:11]
	s_cbranch_vccnz .LBB189_2
; %bb.1:
	s_cmp_lg_u64 s[8:9], 0
	s_cselect_b64 s[10:11], -1, 0
	v_cmp_neq_f64_e64 s[24:25], s[34:35], 0
	s_and_b64 s[10:11], s[10:11], s[24:25]
.LBB189_2:
	s_andn2_b64 vcc, exec, s[10:11]
	s_cbranch_vccnz .LBB189_28
; %bb.3:
	s_load_dword s24, s[0:1], 0x0
	s_lshl_b32 s5, s2, 5
	s_lshl_b32 s25, s3, 5
	v_cmp_eq_f64_e64 s[0:1], s[34:35], 0
	v_cmp_lt_i64_e64 s[2:3], s[8:9], 1
	s_or_b64 s[0:1], s[0:1], s[2:3]
	v_and_b32_e32 v7, 0x3ff, v0
	v_bfe_u32 v11, v0, 10, 10
	v_mov_b64_e32 v[8:9], 0
	s_and_b64 vcc, exec, s[0:1]
	v_mov_b64_e32 v[4:5], 0
	v_mov_b64_e32 v[2:3], 0
	v_mov_b64_e32 v[0:1], 0
	s_cbranch_vccnz .LBB189_12
; %bb.4:
	s_mul_i32 s0, s23, s4
	s_mul_hi_u32 s1, s22, s4
	s_add_i32 s1, s1, s0
	s_mul_i32 s0, s22, s4
	s_lshl_b64 s[0:1], s[0:1], 3
	s_add_u32 s10, s18, s0
	s_addc_u32 s11, s19, s1
	s_mul_i32 s0, s17, s4
	s_mul_hi_u32 s1, s16, s4
	v_lshl_add_u32 v0, v11, 4, v7
	s_add_i32 s1, s1, s0
	s_mul_i32 s0, s16, s4
	v_and_b32_e32 v1, 31, v0
	s_lshl_b64 s[0:1], s[0:1], 3
	v_lshrrev_b32_e32 v10, 5, v0
	v_lshrrev_b32_e32 v2, 3, v0
	v_or_b32_e32 v0, s5, v1
	s_add_u32 s2, s12, s0
	v_lshlrev_b32_e32 v1, 3, v1
	v_and_b32_e32 v6, 7, v7
	s_addc_u32 s3, s13, s1
	v_lshl_or_b32 v18, v10, 8, v1
	v_ashrrev_i32_e32 v1, 31, v0
	s_waitcnt lgkmcnt(0)
	v_cmp_gt_i32_e64 s[0:1], s24, v0
	v_lshl_add_u64 v[12:13], v[0:1], 3, s[2:3]
	v_lshlrev_b32_e32 v0, 3, v6
	v_add_u32_e32 v3, s25, v2
	v_lshl_or_b32 v0, v2, 6, v0
	v_add_u32_e32 v19, 0x800, v0
	v_ashrrev_i32_e32 v0, 31, v3
	v_mul_lo_u32 v2, s20, v0
	v_mul_lo_u32 v4, s21, v3
	v_mad_u64_u32 v[0:1], s[12:13], s20, v3, 0
	v_add3_u32 v1, v1, v2, v4
	v_lshl_add_u64 v[14:15], v[0:1], 3, s[10:11]
	v_mov_b32_e32 v0, 0x800
	v_cmp_gt_i32_e64 s[2:3], s24, v3
	v_lshlrev_b32_e32 v20, 3, v7
	v_lshl_add_u32 v21, v11, 6, v0
	v_mov_b32_e32 v17, 0
	v_mov_b64_e32 v[0:1], 0
	s_mov_b64 s[10:11], 0
	v_mov_b64_e32 v[2:3], 0
	v_mov_b64_e32 v[4:5], 0
	;; [unrolled: 1-line block ×3, first 2 shown]
	s_branch .LBB189_6
.LBB189_5:                              ;   in Loop: Header=BB189_6 Depth=1
	s_or_b64 exec, exec, s[12:13]
	s_waitcnt vmcnt(0)
	ds_write_b64 v19, v[22:23]
	s_waitcnt lgkmcnt(0)
	s_barrier
	ds_read2_b64 v[22:25], v20 offset1:16
	ds_read_b128 v[26:29], v21
	ds_read_b128 v[30:33], v21 offset:16
	ds_read_b128 v[34:37], v21 offset:32
	;; [unrolled: 1-line block ×4, first 2 shown]
	ds_read2_b64 v[46:49], v20 offset0:32 offset1:48
	s_waitcnt lgkmcnt(5)
	v_fmac_f64_e32 v[8:9], v[22:23], v[26:27]
	v_fmac_f64_e32 v[4:5], v[24:25], v[26:27]
	ds_read_b128 v[50:53], v21 offset:1040
	s_waitcnt lgkmcnt(2)
	v_fmac_f64_e32 v[2:3], v[22:23], v[42:43]
	v_fmac_f64_e32 v[0:1], v[24:25], v[42:43]
	ds_read2_b64 v[22:25], v20 offset0:64 offset1:80
	s_waitcnt lgkmcnt(2)
	v_fmac_f64_e32 v[8:9], v[46:47], v[28:29]
	v_fmac_f64_e32 v[4:5], v[48:49], v[28:29]
	ds_read2_b64 v[26:29], v20 offset0:96 offset1:112
	v_fmac_f64_e32 v[2:3], v[46:47], v[44:45]
	v_fmac_f64_e32 v[0:1], v[48:49], v[44:45]
	s_waitcnt lgkmcnt(1)
	v_fmac_f64_e32 v[8:9], v[22:23], v[30:31]
	v_fmac_f64_e32 v[4:5], v[24:25], v[30:31]
	ds_read_b128 v[42:45], v21 offset:1072
	v_fmac_f64_e32 v[2:3], v[22:23], v[50:51]
	v_fmac_f64_e32 v[0:1], v[24:25], v[50:51]
	s_waitcnt lgkmcnt(1)
	v_fmac_f64_e32 v[8:9], v[26:27], v[32:33]
	ds_read2_b64 v[22:25], v20 offset0:128 offset1:144
	v_fmac_f64_e32 v[4:5], v[28:29], v[32:33]
	v_fmac_f64_e32 v[2:3], v[26:27], v[52:53]
	;; [unrolled: 1-line block ×3, first 2 shown]
	ds_read_b128 v[26:29], v21 offset:1056
	ds_read2_b64 v[30:33], v20 offset0:160 offset1:176
	s_waitcnt lgkmcnt(2)
	v_fmac_f64_e32 v[8:9], v[22:23], v[34:35]
	v_fmac_f64_e32 v[4:5], v[24:25], v[34:35]
	s_add_u32 s10, s10, 8
	s_waitcnt lgkmcnt(1)
	v_fmac_f64_e32 v[2:3], v[22:23], v[26:27]
	v_fmac_f64_e32 v[0:1], v[24:25], v[26:27]
	ds_read2_b64 v[22:25], v20 offset0:192 offset1:208
	s_waitcnt lgkmcnt(1)
	v_fmac_f64_e32 v[2:3], v[30:31], v[28:29]
	v_fmac_f64_e32 v[0:1], v[32:33], v[28:29]
	ds_read2_b64 v[26:29], v20 offset0:224 offset1:240
	v_fmac_f64_e32 v[8:9], v[30:31], v[36:37]
	s_addc_u32 s11, s11, 0
	v_fmac_f64_e32 v[4:5], v[32:33], v[36:37]
	s_waitcnt lgkmcnt(1)
	v_fmac_f64_e32 v[8:9], v[22:23], v[38:39]
	v_fmac_f64_e32 v[2:3], v[22:23], v[42:43]
	v_mov_b64_e32 v[22:23], s[10:11]
	v_fmac_f64_e32 v[4:5], v[24:25], v[38:39]
	v_fmac_f64_e32 v[0:1], v[24:25], v[42:43]
	v_cmp_gt_i64_e32 vcc, s[8:9], v[22:23]
	s_waitcnt lgkmcnt(0)
	v_fmac_f64_e32 v[8:9], v[26:27], v[40:41]
	v_fmac_f64_e32 v[4:5], v[28:29], v[40:41]
	v_fmac_f64_e32 v[2:3], v[26:27], v[44:45]
	v_fmac_f64_e32 v[0:1], v[28:29], v[44:45]
	s_barrier
	s_cbranch_vccz .LBB189_12
.LBB189_6:                              ; =>This Inner Loop Header: Depth=1
	v_mov_b64_e32 v[22:23], 0
	s_and_saveexec_b64 s[12:13], s[0:1]
	s_cbranch_execz .LBB189_10
; %bb.7:                                ;   in Loop: Header=BB189_6 Depth=1
	v_add_u32_e32 v16, s10, v10
	v_cmp_gt_u64_e32 vcc, s[8:9], v[16:17]
	v_mov_b64_e32 v[22:23], 0
	s_and_saveexec_b64 s[16:17], vcc
	s_cbranch_execz .LBB189_9
; %bb.8:                                ;   in Loop: Header=BB189_6 Depth=1
	v_mad_u64_u32 v[22:23], s[18:19], s14, v16, 0
	v_mov_b32_e32 v24, v23
	v_mad_u64_u32 v[24:25], s[18:19], s15, v16, v[24:25]
	v_mov_b32_e32 v23, v24
	v_lshl_add_u64 v[22:23], v[22:23], 3, v[12:13]
	global_load_dwordx2 v[22:23], v[22:23], off
.LBB189_9:                              ;   in Loop: Header=BB189_6 Depth=1
	s_or_b64 exec, exec, s[16:17]
.LBB189_10:                             ;   in Loop: Header=BB189_6 Depth=1
	s_or_b64 exec, exec, s[12:13]
	v_add_u32_e32 v16, s10, v6
	v_cmp_gt_u64_e32 vcc, s[8:9], v[16:17]
	s_waitcnt vmcnt(0)
	ds_write_b64 v18, v[22:23]
	s_and_b64 s[16:17], vcc, s[2:3]
	v_mov_b64_e32 v[22:23], 0
	s_and_saveexec_b64 s[12:13], s[16:17]
	s_cbranch_execz .LBB189_5
; %bb.11:                               ;   in Loop: Header=BB189_6 Depth=1
	v_lshl_add_u64 v[22:23], v[16:17], 3, v[14:15]
	global_load_dwordx2 v[22:23], v[22:23], off
	s_branch .LBB189_5
.LBB189_12:
	s_mul_i32 s0, s31, s4
	s_mul_hi_u32 s1, s30, s4
	s_add_i32 s1, s1, s0
	s_mul_i32 s0, s30, s4
	s_lshl_b64 s[0:1], s[0:1], 3
	s_add_u32 s8, s26, s0
	v_add_u32_e32 v14, s25, v11
	s_addc_u32 s9, s27, s1
	v_add_u32_e32 v6, s5, v7
	v_ashrrev_i32_e32 v7, 31, v14
	v_mad_u64_u32 v[10:11], s[0:1], s28, v14, 0
	v_mul_lo_u32 v7, s28, v7
	v_mul_lo_u32 v12, s29, v14
	v_cmp_neq_f64_e64 s[0:1], s[6:7], 0
	v_add3_u32 v11, v11, v7, v12
	v_cmp_le_i32_e32 vcc, v14, v6
	s_waitcnt lgkmcnt(0)
	v_cmp_gt_i32_e64 s[2:3], s24, v6
	v_cndmask_b32_e64 v12, 0, 1, s[0:1]
	v_lshl_add_u64 v[10:11], v[10:11], 3, s[8:9]
	s_and_b64 s[10:11], vcc, s[2:3]
	v_ashrrev_i32_e32 v7, 31, v6
	v_cmp_ne_u32_e64 s[0:1], 1, v12
	s_and_saveexec_b64 s[4:5], s[10:11]
	s_cbranch_execz .LBB189_16
; %bb.13:
	v_mul_f64 v[8:9], s[34:35], v[8:9]
	s_and_b64 vcc, exec, s[0:1]
	v_lshl_add_u64 v[12:13], v[6:7], 3, v[10:11]
	s_cbranch_vccnz .LBB189_15
; %bb.14:
	global_load_dwordx2 v[16:17], v[12:13], off
	s_waitcnt vmcnt(0)
	v_fmac_f64_e32 v[8:9], s[6:7], v[16:17]
.LBB189_15:
	global_store_dwordx2 v[12:13], v[8:9], off
.LBB189_16:
	s_or_b64 exec, exec, s[4:5]
	v_add_u32_e32 v8, 16, v6
	v_cmp_le_i32_e32 vcc, v14, v8
	v_cmp_gt_i32_e64 s[4:5], s24, v8
	s_and_b64 s[12:13], vcc, s[4:5]
	v_ashrrev_i32_e32 v9, 31, v8
	s_and_saveexec_b64 s[10:11], s[12:13]
	s_cbranch_execz .LBB189_20
; %bb.17:
	v_mul_f64 v[4:5], s[34:35], v[4:5]
	s_and_b64 vcc, exec, s[0:1]
	v_lshl_add_u64 v[10:11], v[8:9], 3, v[10:11]
	s_cbranch_vccnz .LBB189_19
; %bb.18:
	global_load_dwordx2 v[12:13], v[10:11], off
	s_waitcnt vmcnt(0)
	v_fmac_f64_e32 v[4:5], s[6:7], v[12:13]
.LBB189_19:
	global_store_dwordx2 v[10:11], v[4:5], off
.LBB189_20:
	s_or_b64 exec, exec, s[10:11]
	v_add_u32_e32 v10, 16, v14
	v_ashrrev_i32_e32 v4, 31, v10
	v_mul_lo_u32 v11, s28, v4
	v_mul_lo_u32 v12, s29, v10
	v_mad_u64_u32 v[4:5], s[10:11], s28, v10, 0
	v_add3_u32 v5, v5, v11, v12
	v_cmp_le_i32_e32 vcc, v10, v6
	v_lshl_add_u64 v[4:5], v[4:5], 3, s[8:9]
	s_and_b64 s[8:9], vcc, s[2:3]
	s_and_saveexec_b64 s[2:3], s[8:9]
	s_cbranch_execz .LBB189_24
; %bb.21:
	v_mul_f64 v[2:3], s[34:35], v[2:3]
	s_and_b64 vcc, exec, s[0:1]
	v_lshl_add_u64 v[6:7], v[6:7], 3, v[4:5]
	s_cbranch_vccnz .LBB189_23
; %bb.22:
	global_load_dwordx2 v[12:13], v[6:7], off
	s_waitcnt vmcnt(0)
	v_fmac_f64_e32 v[2:3], s[6:7], v[12:13]
.LBB189_23:
	global_store_dwordx2 v[6:7], v[2:3], off
.LBB189_24:
	s_or_b64 exec, exec, s[2:3]
	v_cmp_le_i32_e32 vcc, v10, v8
	s_and_b64 s[2:3], vcc, s[4:5]
	s_and_saveexec_b64 s[4:5], s[2:3]
	s_cbranch_execz .LBB189_28
; %bb.25:
	v_mul_f64 v[0:1], s[34:35], v[0:1]
	s_and_b64 vcc, exec, s[0:1]
	v_lshl_add_u64 v[2:3], v[8:9], 3, v[4:5]
	s_cbranch_vccnz .LBB189_27
; %bb.26:
	global_load_dwordx2 v[4:5], v[2:3], off
	s_waitcnt vmcnt(0)
	v_fmac_f64_e32 v[0:1], s[6:7], v[4:5]
.LBB189_27:
	global_store_dwordx2 v[2:3], v[0:1], off
.LBB189_28:
	s_endpgm
	.section	.rodata,"a",@progbits
	.p2align	6, 0x0
	.amdhsa_kernel _ZL29rocblas_internal_gemmt_kernelIlLi16ELi32ELi8ELc78ELc78ELc76ELb0ELb0EdPKdS1_PdEviT_T9_T10_S3_lS5_S3_lS4_T11_S3_li
		.amdhsa_group_segment_fixed_size 4096
		.amdhsa_private_segment_fixed_size 0
		.amdhsa_kernarg_size 108
		.amdhsa_user_sgpr_count 2
		.amdhsa_user_sgpr_dispatch_ptr 0
		.amdhsa_user_sgpr_queue_ptr 0
		.amdhsa_user_sgpr_kernarg_segment_ptr 1
		.amdhsa_user_sgpr_dispatch_id 0
		.amdhsa_user_sgpr_kernarg_preload_length 0
		.amdhsa_user_sgpr_kernarg_preload_offset 0
		.amdhsa_user_sgpr_private_segment_size 0
		.amdhsa_uses_dynamic_stack 0
		.amdhsa_enable_private_segment 0
		.amdhsa_system_sgpr_workgroup_id_x 1
		.amdhsa_system_sgpr_workgroup_id_y 1
		.amdhsa_system_sgpr_workgroup_id_z 1
		.amdhsa_system_sgpr_workgroup_info 0
		.amdhsa_system_vgpr_workitem_id 1
		.amdhsa_next_free_vgpr 54
		.amdhsa_next_free_sgpr 36
		.amdhsa_accum_offset 56
		.amdhsa_reserve_vcc 1
		.amdhsa_float_round_mode_32 0
		.amdhsa_float_round_mode_16_64 0
		.amdhsa_float_denorm_mode_32 3
		.amdhsa_float_denorm_mode_16_64 3
		.amdhsa_dx10_clamp 1
		.amdhsa_ieee_mode 1
		.amdhsa_fp16_overflow 0
		.amdhsa_tg_split 0
		.amdhsa_exception_fp_ieee_invalid_op 0
		.amdhsa_exception_fp_denorm_src 0
		.amdhsa_exception_fp_ieee_div_zero 0
		.amdhsa_exception_fp_ieee_overflow 0
		.amdhsa_exception_fp_ieee_underflow 0
		.amdhsa_exception_fp_ieee_inexact 0
		.amdhsa_exception_int_div_zero 0
	.end_amdhsa_kernel
	.section	.text._ZL29rocblas_internal_gemmt_kernelIlLi16ELi32ELi8ELc78ELc78ELc76ELb0ELb0EdPKdS1_PdEviT_T9_T10_S3_lS5_S3_lS4_T11_S3_li,"axG",@progbits,_ZL29rocblas_internal_gemmt_kernelIlLi16ELi32ELi8ELc78ELc78ELc76ELb0ELb0EdPKdS1_PdEviT_T9_T10_S3_lS5_S3_lS4_T11_S3_li,comdat
.Lfunc_end189:
	.size	_ZL29rocblas_internal_gemmt_kernelIlLi16ELi32ELi8ELc78ELc78ELc76ELb0ELb0EdPKdS1_PdEviT_T9_T10_S3_lS5_S3_lS4_T11_S3_li, .Lfunc_end189-_ZL29rocblas_internal_gemmt_kernelIlLi16ELi32ELi8ELc78ELc78ELc76ELb0ELb0EdPKdS1_PdEviT_T9_T10_S3_lS5_S3_lS4_T11_S3_li
                                        ; -- End function
	.set _ZL29rocblas_internal_gemmt_kernelIlLi16ELi32ELi8ELc78ELc78ELc76ELb0ELb0EdPKdS1_PdEviT_T9_T10_S3_lS5_S3_lS4_T11_S3_li.num_vgpr, 54
	.set _ZL29rocblas_internal_gemmt_kernelIlLi16ELi32ELi8ELc78ELc78ELc76ELb0ELb0EdPKdS1_PdEviT_T9_T10_S3_lS5_S3_lS4_T11_S3_li.num_agpr, 0
	.set _ZL29rocblas_internal_gemmt_kernelIlLi16ELi32ELi8ELc78ELc78ELc76ELb0ELb0EdPKdS1_PdEviT_T9_T10_S3_lS5_S3_lS4_T11_S3_li.numbered_sgpr, 36
	.set _ZL29rocblas_internal_gemmt_kernelIlLi16ELi32ELi8ELc78ELc78ELc76ELb0ELb0EdPKdS1_PdEviT_T9_T10_S3_lS5_S3_lS4_T11_S3_li.num_named_barrier, 0
	.set _ZL29rocblas_internal_gemmt_kernelIlLi16ELi32ELi8ELc78ELc78ELc76ELb0ELb0EdPKdS1_PdEviT_T9_T10_S3_lS5_S3_lS4_T11_S3_li.private_seg_size, 0
	.set _ZL29rocblas_internal_gemmt_kernelIlLi16ELi32ELi8ELc78ELc78ELc76ELb0ELb0EdPKdS1_PdEviT_T9_T10_S3_lS5_S3_lS4_T11_S3_li.uses_vcc, 1
	.set _ZL29rocblas_internal_gemmt_kernelIlLi16ELi32ELi8ELc78ELc78ELc76ELb0ELb0EdPKdS1_PdEviT_T9_T10_S3_lS5_S3_lS4_T11_S3_li.uses_flat_scratch, 0
	.set _ZL29rocblas_internal_gemmt_kernelIlLi16ELi32ELi8ELc78ELc78ELc76ELb0ELb0EdPKdS1_PdEviT_T9_T10_S3_lS5_S3_lS4_T11_S3_li.has_dyn_sized_stack, 0
	.set _ZL29rocblas_internal_gemmt_kernelIlLi16ELi32ELi8ELc78ELc78ELc76ELb0ELb0EdPKdS1_PdEviT_T9_T10_S3_lS5_S3_lS4_T11_S3_li.has_recursion, 0
	.set _ZL29rocblas_internal_gemmt_kernelIlLi16ELi32ELi8ELc78ELc78ELc76ELb0ELb0EdPKdS1_PdEviT_T9_T10_S3_lS5_S3_lS4_T11_S3_li.has_indirect_call, 0
	.section	.AMDGPU.csdata,"",@progbits
; Kernel info:
; codeLenInByte = 1340
; TotalNumSgprs: 42
; NumVgprs: 54
; NumAgprs: 0
; TotalNumVgprs: 54
; ScratchSize: 0
; MemoryBound: 0
; FloatMode: 240
; IeeeMode: 1
; LDSByteSize: 4096 bytes/workgroup (compile time only)
; SGPRBlocks: 5
; VGPRBlocks: 6
; NumSGPRsForWavesPerEU: 42
; NumVGPRsForWavesPerEU: 54
; AccumOffset: 56
; Occupancy: 8
; WaveLimiterHint : 0
; COMPUTE_PGM_RSRC2:SCRATCH_EN: 0
; COMPUTE_PGM_RSRC2:USER_SGPR: 2
; COMPUTE_PGM_RSRC2:TRAP_HANDLER: 0
; COMPUTE_PGM_RSRC2:TGID_X_EN: 1
; COMPUTE_PGM_RSRC2:TGID_Y_EN: 1
; COMPUTE_PGM_RSRC2:TGID_Z_EN: 1
; COMPUTE_PGM_RSRC2:TIDIG_COMP_CNT: 1
; COMPUTE_PGM_RSRC3_GFX90A:ACCUM_OFFSET: 13
; COMPUTE_PGM_RSRC3_GFX90A:TG_SPLIT: 0
	.section	.text._ZL29rocblas_internal_gemmt_kernelIlLi16ELi32ELi8ELc78ELc84ELc76ELb0ELb0EdPKdS1_PdEviT_T9_T10_S3_lS5_S3_lS4_T11_S3_li,"axG",@progbits,_ZL29rocblas_internal_gemmt_kernelIlLi16ELi32ELi8ELc78ELc84ELc76ELb0ELb0EdPKdS1_PdEviT_T9_T10_S3_lS5_S3_lS4_T11_S3_li,comdat
	.globl	_ZL29rocblas_internal_gemmt_kernelIlLi16ELi32ELi8ELc78ELc84ELc76ELb0ELb0EdPKdS1_PdEviT_T9_T10_S3_lS5_S3_lS4_T11_S3_li ; -- Begin function _ZL29rocblas_internal_gemmt_kernelIlLi16ELi32ELi8ELc78ELc84ELc76ELb0ELb0EdPKdS1_PdEviT_T9_T10_S3_lS5_S3_lS4_T11_S3_li
	.p2align	8
	.type	_ZL29rocblas_internal_gemmt_kernelIlLi16ELi32ELi8ELc78ELc84ELc76ELb0ELb0EdPKdS1_PdEviT_T9_T10_S3_lS5_S3_lS4_T11_S3_li,@function
_ZL29rocblas_internal_gemmt_kernelIlLi16ELi32ELi8ELc78ELc84ELc76ELb0ELb0EdPKdS1_PdEviT_T9_T10_S3_lS5_S3_lS4_T11_S3_li: ; @_ZL29rocblas_internal_gemmt_kernelIlLi16ELi32ELi8ELc78ELc84ELc76ELb0ELb0EdPKdS1_PdEviT_T9_T10_S3_lS5_S3_lS4_T11_S3_li
; %bb.0:
	s_load_dwordx8 s[24:31], s[0:1], 0x48
	s_load_dwordx16 s[8:23], s[0:1], 0x8
	s_waitcnt lgkmcnt(0)
	s_load_dwordx2 s[6:7], s[24:25], 0x0
	s_load_dwordx2 s[34:35], s[10:11], 0x0
	s_waitcnt lgkmcnt(0)
	v_cmp_neq_f64_e64 s[10:11], s[6:7], 1.0
	s_and_b64 vcc, exec, s[10:11]
	s_cbranch_vccnz .LBB190_2
; %bb.1:
	s_cmp_lg_u64 s[8:9], 0
	s_cselect_b64 s[10:11], -1, 0
	v_cmp_neq_f64_e64 s[24:25], s[34:35], 0
	s_and_b64 s[10:11], s[10:11], s[24:25]
.LBB190_2:
	s_andn2_b64 vcc, exec, s[10:11]
	s_cbranch_vccnz .LBB190_28
; %bb.3:
	s_load_dword s24, s[0:1], 0x0
	s_lshl_b32 s5, s2, 5
	s_lshl_b32 s25, s3, 5
	v_cmp_eq_f64_e64 s[0:1], s[34:35], 0
	v_cmp_lt_i64_e64 s[2:3], s[8:9], 1
	s_or_b64 s[0:1], s[0:1], s[2:3]
	v_and_b32_e32 v9, 0x3ff, v0
	v_bfe_u32 v11, v0, 10, 10
	v_mov_b64_e32 v[6:7], 0
	s_and_b64 vcc, exec, s[0:1]
	v_mov_b64_e32 v[4:5], 0
	v_mov_b64_e32 v[2:3], 0
	;; [unrolled: 1-line block ×3, first 2 shown]
	s_cbranch_vccnz .LBB190_12
; %bb.4:
	s_mul_i32 s0, s23, s4
	s_mul_hi_u32 s1, s22, s4
	s_add_i32 s1, s1, s0
	s_mul_i32 s0, s22, s4
	s_lshl_b64 s[0:1], s[0:1], 3
	v_lshl_add_u32 v1, v11, 4, v9
	s_add_u32 s10, s18, s0
	v_lshrrev_b32_e32 v10, 5, v1
	v_lshrrev_b32_e32 v4, 3, v1
	v_and_b32_e32 v1, 31, v1
	s_addc_u32 s11, s19, s1
	s_mul_i32 s0, s17, s4
	s_mul_hi_u32 s1, s16, s4
	v_and_b32_e32 v8, 7, v9
	v_or_b32_e32 v2, s5, v1
	s_add_i32 s1, s1, s0
	s_mul_i32 s0, s16, s4
	v_lshlrev_b32_e32 v1, 3, v1
	s_lshl_b64 s[0:1], s[0:1], 3
	v_lshl_or_b32 v18, v10, 8, v1
	v_lshlrev_b32_e32 v1, 3, v8
	v_add_u32_e32 v0, s25, v4
	s_add_u32 s2, s12, s0
	v_lshl_or_b32 v1, v4, 6, v1
	s_addc_u32 s3, s13, s1
	v_ashrrev_i32_e32 v3, 31, v2
	v_add_u32_e32 v19, 0x800, v1
	v_ashrrev_i32_e32 v1, 31, v0
	v_lshl_add_u64 v[12:13], v[2:3], 3, s[2:3]
	s_waitcnt lgkmcnt(0)
	v_cmp_gt_i32_e64 s[2:3], s24, v0
	v_lshl_add_u64 v[14:15], v[0:1], 3, s[10:11]
	v_mov_b32_e32 v0, 0x800
	v_cmp_gt_i32_e64 s[0:1], s24, v2
	v_lshlrev_b32_e32 v20, 3, v9
	v_lshl_add_u32 v21, v11, 6, v0
	v_mov_b32_e32 v17, 0
	v_mov_b64_e32 v[0:1], 0
	s_mov_b64 s[10:11], 0
	v_mov_b64_e32 v[2:3], 0
	v_mov_b64_e32 v[4:5], 0
	;; [unrolled: 1-line block ×3, first 2 shown]
	s_branch .LBB190_6
.LBB190_5:                              ;   in Loop: Header=BB190_6 Depth=1
	s_or_b64 exec, exec, s[12:13]
	s_waitcnt vmcnt(0)
	ds_write_b64 v19, v[22:23]
	s_waitcnt lgkmcnt(0)
	s_barrier
	ds_read2_b64 v[22:25], v20 offset1:16
	ds_read_b128 v[26:29], v21
	ds_read_b128 v[30:33], v21 offset:16
	ds_read_b128 v[34:37], v21 offset:32
	ds_read_b128 v[38:41], v21 offset:48
	ds_read_b128 v[42:45], v21 offset:1024
	ds_read2_b64 v[46:49], v20 offset0:32 offset1:48
	s_waitcnt lgkmcnt(5)
	v_fmac_f64_e32 v[6:7], v[22:23], v[26:27]
	v_fmac_f64_e32 v[4:5], v[24:25], v[26:27]
	ds_read_b128 v[50:53], v21 offset:1040
	s_waitcnt lgkmcnt(2)
	v_fmac_f64_e32 v[2:3], v[22:23], v[42:43]
	v_fmac_f64_e32 v[0:1], v[24:25], v[42:43]
	ds_read2_b64 v[22:25], v20 offset0:64 offset1:80
	s_waitcnt lgkmcnt(2)
	v_fmac_f64_e32 v[6:7], v[46:47], v[28:29]
	v_fmac_f64_e32 v[4:5], v[48:49], v[28:29]
	ds_read2_b64 v[26:29], v20 offset0:96 offset1:112
	v_fmac_f64_e32 v[2:3], v[46:47], v[44:45]
	v_fmac_f64_e32 v[0:1], v[48:49], v[44:45]
	s_waitcnt lgkmcnt(1)
	v_fmac_f64_e32 v[6:7], v[22:23], v[30:31]
	v_fmac_f64_e32 v[4:5], v[24:25], v[30:31]
	ds_read_b128 v[42:45], v21 offset:1072
	v_fmac_f64_e32 v[2:3], v[22:23], v[50:51]
	v_fmac_f64_e32 v[0:1], v[24:25], v[50:51]
	s_waitcnt lgkmcnt(1)
	v_fmac_f64_e32 v[6:7], v[26:27], v[32:33]
	ds_read2_b64 v[22:25], v20 offset0:128 offset1:144
	v_fmac_f64_e32 v[4:5], v[28:29], v[32:33]
	v_fmac_f64_e32 v[2:3], v[26:27], v[52:53]
	v_fmac_f64_e32 v[0:1], v[28:29], v[52:53]
	ds_read_b128 v[26:29], v21 offset:1056
	ds_read2_b64 v[30:33], v20 offset0:160 offset1:176
	s_waitcnt lgkmcnt(2)
	v_fmac_f64_e32 v[6:7], v[22:23], v[34:35]
	v_fmac_f64_e32 v[4:5], v[24:25], v[34:35]
	s_add_u32 s10, s10, 8
	s_waitcnt lgkmcnt(1)
	v_fmac_f64_e32 v[2:3], v[22:23], v[26:27]
	v_fmac_f64_e32 v[0:1], v[24:25], v[26:27]
	ds_read2_b64 v[22:25], v20 offset0:192 offset1:208
	s_waitcnt lgkmcnt(1)
	v_fmac_f64_e32 v[2:3], v[30:31], v[28:29]
	v_fmac_f64_e32 v[0:1], v[32:33], v[28:29]
	ds_read2_b64 v[26:29], v20 offset0:224 offset1:240
	v_fmac_f64_e32 v[6:7], v[30:31], v[36:37]
	s_addc_u32 s11, s11, 0
	v_fmac_f64_e32 v[4:5], v[32:33], v[36:37]
	s_waitcnt lgkmcnt(1)
	v_fmac_f64_e32 v[6:7], v[22:23], v[38:39]
	v_fmac_f64_e32 v[2:3], v[22:23], v[42:43]
	v_mov_b64_e32 v[22:23], s[10:11]
	v_fmac_f64_e32 v[4:5], v[24:25], v[38:39]
	v_fmac_f64_e32 v[0:1], v[24:25], v[42:43]
	v_cmp_gt_i64_e32 vcc, s[8:9], v[22:23]
	s_waitcnt lgkmcnt(0)
	v_fmac_f64_e32 v[6:7], v[26:27], v[40:41]
	v_fmac_f64_e32 v[4:5], v[28:29], v[40:41]
	v_fmac_f64_e32 v[2:3], v[26:27], v[44:45]
	v_fmac_f64_e32 v[0:1], v[28:29], v[44:45]
	s_barrier
	s_cbranch_vccz .LBB190_12
.LBB190_6:                              ; =>This Inner Loop Header: Depth=1
	v_mov_b64_e32 v[22:23], 0
	s_and_saveexec_b64 s[12:13], s[0:1]
	s_cbranch_execz .LBB190_10
; %bb.7:                                ;   in Loop: Header=BB190_6 Depth=1
	v_add_u32_e32 v16, s10, v10
	v_cmp_gt_u64_e32 vcc, s[8:9], v[16:17]
	v_mov_b64_e32 v[22:23], 0
	s_and_saveexec_b64 s[16:17], vcc
	s_cbranch_execz .LBB190_9
; %bb.8:                                ;   in Loop: Header=BB190_6 Depth=1
	v_mad_u64_u32 v[22:23], s[18:19], s14, v16, 0
	v_mov_b32_e32 v24, v23
	v_mad_u64_u32 v[24:25], s[18:19], s15, v16, v[24:25]
	v_mov_b32_e32 v23, v24
	v_lshl_add_u64 v[22:23], v[22:23], 3, v[12:13]
	global_load_dwordx2 v[22:23], v[22:23], off
.LBB190_9:                              ;   in Loop: Header=BB190_6 Depth=1
	s_or_b64 exec, exec, s[16:17]
.LBB190_10:                             ;   in Loop: Header=BB190_6 Depth=1
	s_or_b64 exec, exec, s[12:13]
	v_add_u32_e32 v16, s10, v8
	v_cmp_gt_u64_e32 vcc, s[8:9], v[16:17]
	s_waitcnt vmcnt(0)
	ds_write_b64 v18, v[22:23]
	s_and_b64 s[16:17], vcc, s[2:3]
	v_mov_b64_e32 v[22:23], 0
	s_and_saveexec_b64 s[12:13], s[16:17]
	s_cbranch_execz .LBB190_5
; %bb.11:                               ;   in Loop: Header=BB190_6 Depth=1
	v_mad_u64_u32 v[22:23], s[16:17], s20, v16, 0
	v_mov_b32_e32 v24, v23
	v_mad_u64_u32 v[24:25], s[16:17], s21, v16, v[24:25]
	v_mov_b32_e32 v23, v24
	v_lshl_add_u64 v[22:23], v[22:23], 3, v[14:15]
	global_load_dwordx2 v[22:23], v[22:23], off
	s_branch .LBB190_5
.LBB190_12:
	s_mul_i32 s0, s31, s4
	s_mul_hi_u32 s1, s30, s4
	s_add_i32 s1, s1, s0
	s_mul_i32 s0, s30, s4
	s_lshl_b64 s[0:1], s[0:1], 3
	s_add_u32 s8, s26, s0
	v_add_u32_e32 v14, s25, v11
	s_addc_u32 s9, s27, s1
	v_add_u32_e32 v8, s5, v9
	v_ashrrev_i32_e32 v9, 31, v14
	v_mad_u64_u32 v[10:11], s[0:1], s28, v14, 0
	v_mul_lo_u32 v9, s28, v9
	v_mul_lo_u32 v12, s29, v14
	v_cmp_neq_f64_e64 s[0:1], s[6:7], 0
	v_add3_u32 v11, v11, v9, v12
	v_cmp_le_i32_e32 vcc, v14, v8
	s_waitcnt lgkmcnt(0)
	v_cmp_gt_i32_e64 s[2:3], s24, v8
	v_cndmask_b32_e64 v12, 0, 1, s[0:1]
	v_lshl_add_u64 v[10:11], v[10:11], 3, s[8:9]
	s_and_b64 s[10:11], vcc, s[2:3]
	v_ashrrev_i32_e32 v9, 31, v8
	v_cmp_ne_u32_e64 s[0:1], 1, v12
	s_and_saveexec_b64 s[4:5], s[10:11]
	s_cbranch_execz .LBB190_16
; %bb.13:
	v_mul_f64 v[6:7], s[34:35], v[6:7]
	s_and_b64 vcc, exec, s[0:1]
	v_lshl_add_u64 v[12:13], v[8:9], 3, v[10:11]
	s_cbranch_vccnz .LBB190_15
; %bb.14:
	global_load_dwordx2 v[16:17], v[12:13], off
	s_waitcnt vmcnt(0)
	v_fmac_f64_e32 v[6:7], s[6:7], v[16:17]
.LBB190_15:
	global_store_dwordx2 v[12:13], v[6:7], off
.LBB190_16:
	s_or_b64 exec, exec, s[4:5]
	v_add_u32_e32 v6, 16, v8
	v_cmp_le_i32_e32 vcc, v14, v6
	v_cmp_gt_i32_e64 s[4:5], s24, v6
	s_and_b64 s[12:13], vcc, s[4:5]
	v_ashrrev_i32_e32 v7, 31, v6
	s_and_saveexec_b64 s[10:11], s[12:13]
	s_cbranch_execz .LBB190_20
; %bb.17:
	v_mul_f64 v[4:5], s[34:35], v[4:5]
	s_and_b64 vcc, exec, s[0:1]
	v_lshl_add_u64 v[10:11], v[6:7], 3, v[10:11]
	s_cbranch_vccnz .LBB190_19
; %bb.18:
	global_load_dwordx2 v[12:13], v[10:11], off
	s_waitcnt vmcnt(0)
	v_fmac_f64_e32 v[4:5], s[6:7], v[12:13]
.LBB190_19:
	global_store_dwordx2 v[10:11], v[4:5], off
.LBB190_20:
	s_or_b64 exec, exec, s[10:11]
	v_add_u32_e32 v10, 16, v14
	v_ashrrev_i32_e32 v4, 31, v10
	v_mul_lo_u32 v11, s28, v4
	v_mul_lo_u32 v12, s29, v10
	v_mad_u64_u32 v[4:5], s[10:11], s28, v10, 0
	v_add3_u32 v5, v5, v11, v12
	v_cmp_le_i32_e32 vcc, v10, v8
	v_lshl_add_u64 v[4:5], v[4:5], 3, s[8:9]
	s_and_b64 s[8:9], vcc, s[2:3]
	s_and_saveexec_b64 s[2:3], s[8:9]
	s_cbranch_execz .LBB190_24
; %bb.21:
	v_mul_f64 v[2:3], s[34:35], v[2:3]
	s_and_b64 vcc, exec, s[0:1]
	v_lshl_add_u64 v[8:9], v[8:9], 3, v[4:5]
	s_cbranch_vccnz .LBB190_23
; %bb.22:
	global_load_dwordx2 v[12:13], v[8:9], off
	s_waitcnt vmcnt(0)
	v_fmac_f64_e32 v[2:3], s[6:7], v[12:13]
.LBB190_23:
	global_store_dwordx2 v[8:9], v[2:3], off
.LBB190_24:
	s_or_b64 exec, exec, s[2:3]
	v_cmp_le_i32_e32 vcc, v10, v6
	s_and_b64 s[2:3], vcc, s[4:5]
	s_and_saveexec_b64 s[4:5], s[2:3]
	s_cbranch_execz .LBB190_28
; %bb.25:
	v_mul_f64 v[0:1], s[34:35], v[0:1]
	s_and_b64 vcc, exec, s[0:1]
	v_lshl_add_u64 v[2:3], v[6:7], 3, v[4:5]
	s_cbranch_vccnz .LBB190_27
; %bb.26:
	global_load_dwordx2 v[4:5], v[2:3], off
	s_waitcnt vmcnt(0)
	v_fmac_f64_e32 v[0:1], s[6:7], v[4:5]
.LBB190_27:
	global_store_dwordx2 v[2:3], v[0:1], off
.LBB190_28:
	s_endpgm
	.section	.rodata,"a",@progbits
	.p2align	6, 0x0
	.amdhsa_kernel _ZL29rocblas_internal_gemmt_kernelIlLi16ELi32ELi8ELc78ELc84ELc76ELb0ELb0EdPKdS1_PdEviT_T9_T10_S3_lS5_S3_lS4_T11_S3_li
		.amdhsa_group_segment_fixed_size 4096
		.amdhsa_private_segment_fixed_size 0
		.amdhsa_kernarg_size 108
		.amdhsa_user_sgpr_count 2
		.amdhsa_user_sgpr_dispatch_ptr 0
		.amdhsa_user_sgpr_queue_ptr 0
		.amdhsa_user_sgpr_kernarg_segment_ptr 1
		.amdhsa_user_sgpr_dispatch_id 0
		.amdhsa_user_sgpr_kernarg_preload_length 0
		.amdhsa_user_sgpr_kernarg_preload_offset 0
		.amdhsa_user_sgpr_private_segment_size 0
		.amdhsa_uses_dynamic_stack 0
		.amdhsa_enable_private_segment 0
		.amdhsa_system_sgpr_workgroup_id_x 1
		.amdhsa_system_sgpr_workgroup_id_y 1
		.amdhsa_system_sgpr_workgroup_id_z 1
		.amdhsa_system_sgpr_workgroup_info 0
		.amdhsa_system_vgpr_workitem_id 1
		.amdhsa_next_free_vgpr 54
		.amdhsa_next_free_sgpr 36
		.amdhsa_accum_offset 56
		.amdhsa_reserve_vcc 1
		.amdhsa_float_round_mode_32 0
		.amdhsa_float_round_mode_16_64 0
		.amdhsa_float_denorm_mode_32 3
		.amdhsa_float_denorm_mode_16_64 3
		.amdhsa_dx10_clamp 1
		.amdhsa_ieee_mode 1
		.amdhsa_fp16_overflow 0
		.amdhsa_tg_split 0
		.amdhsa_exception_fp_ieee_invalid_op 0
		.amdhsa_exception_fp_denorm_src 0
		.amdhsa_exception_fp_ieee_div_zero 0
		.amdhsa_exception_fp_ieee_overflow 0
		.amdhsa_exception_fp_ieee_underflow 0
		.amdhsa_exception_fp_ieee_inexact 0
		.amdhsa_exception_int_div_zero 0
	.end_amdhsa_kernel
	.section	.text._ZL29rocblas_internal_gemmt_kernelIlLi16ELi32ELi8ELc78ELc84ELc76ELb0ELb0EdPKdS1_PdEviT_T9_T10_S3_lS5_S3_lS4_T11_S3_li,"axG",@progbits,_ZL29rocblas_internal_gemmt_kernelIlLi16ELi32ELi8ELc78ELc84ELc76ELb0ELb0EdPKdS1_PdEviT_T9_T10_S3_lS5_S3_lS4_T11_S3_li,comdat
.Lfunc_end190:
	.size	_ZL29rocblas_internal_gemmt_kernelIlLi16ELi32ELi8ELc78ELc84ELc76ELb0ELb0EdPKdS1_PdEviT_T9_T10_S3_lS5_S3_lS4_T11_S3_li, .Lfunc_end190-_ZL29rocblas_internal_gemmt_kernelIlLi16ELi32ELi8ELc78ELc84ELc76ELb0ELb0EdPKdS1_PdEviT_T9_T10_S3_lS5_S3_lS4_T11_S3_li
                                        ; -- End function
	.set _ZL29rocblas_internal_gemmt_kernelIlLi16ELi32ELi8ELc78ELc84ELc76ELb0ELb0EdPKdS1_PdEviT_T9_T10_S3_lS5_S3_lS4_T11_S3_li.num_vgpr, 54
	.set _ZL29rocblas_internal_gemmt_kernelIlLi16ELi32ELi8ELc78ELc84ELc76ELb0ELb0EdPKdS1_PdEviT_T9_T10_S3_lS5_S3_lS4_T11_S3_li.num_agpr, 0
	.set _ZL29rocblas_internal_gemmt_kernelIlLi16ELi32ELi8ELc78ELc84ELc76ELb0ELb0EdPKdS1_PdEviT_T9_T10_S3_lS5_S3_lS4_T11_S3_li.numbered_sgpr, 36
	.set _ZL29rocblas_internal_gemmt_kernelIlLi16ELi32ELi8ELc78ELc84ELc76ELb0ELb0EdPKdS1_PdEviT_T9_T10_S3_lS5_S3_lS4_T11_S3_li.num_named_barrier, 0
	.set _ZL29rocblas_internal_gemmt_kernelIlLi16ELi32ELi8ELc78ELc84ELc76ELb0ELb0EdPKdS1_PdEviT_T9_T10_S3_lS5_S3_lS4_T11_S3_li.private_seg_size, 0
	.set _ZL29rocblas_internal_gemmt_kernelIlLi16ELi32ELi8ELc78ELc84ELc76ELb0ELb0EdPKdS1_PdEviT_T9_T10_S3_lS5_S3_lS4_T11_S3_li.uses_vcc, 1
	.set _ZL29rocblas_internal_gemmt_kernelIlLi16ELi32ELi8ELc78ELc84ELc76ELb0ELb0EdPKdS1_PdEviT_T9_T10_S3_lS5_S3_lS4_T11_S3_li.uses_flat_scratch, 0
	.set _ZL29rocblas_internal_gemmt_kernelIlLi16ELi32ELi8ELc78ELc84ELc76ELb0ELb0EdPKdS1_PdEviT_T9_T10_S3_lS5_S3_lS4_T11_S3_li.has_dyn_sized_stack, 0
	.set _ZL29rocblas_internal_gemmt_kernelIlLi16ELi32ELi8ELc78ELc84ELc76ELb0ELb0EdPKdS1_PdEviT_T9_T10_S3_lS5_S3_lS4_T11_S3_li.has_recursion, 0
	.set _ZL29rocblas_internal_gemmt_kernelIlLi16ELi32ELi8ELc78ELc84ELc76ELb0ELb0EdPKdS1_PdEviT_T9_T10_S3_lS5_S3_lS4_T11_S3_li.has_indirect_call, 0
	.section	.AMDGPU.csdata,"",@progbits
; Kernel info:
; codeLenInByte = 1332
; TotalNumSgprs: 42
; NumVgprs: 54
; NumAgprs: 0
; TotalNumVgprs: 54
; ScratchSize: 0
; MemoryBound: 0
; FloatMode: 240
; IeeeMode: 1
; LDSByteSize: 4096 bytes/workgroup (compile time only)
; SGPRBlocks: 5
; VGPRBlocks: 6
; NumSGPRsForWavesPerEU: 42
; NumVGPRsForWavesPerEU: 54
; AccumOffset: 56
; Occupancy: 8
; WaveLimiterHint : 0
; COMPUTE_PGM_RSRC2:SCRATCH_EN: 0
; COMPUTE_PGM_RSRC2:USER_SGPR: 2
; COMPUTE_PGM_RSRC2:TRAP_HANDLER: 0
; COMPUTE_PGM_RSRC2:TGID_X_EN: 1
; COMPUTE_PGM_RSRC2:TGID_Y_EN: 1
; COMPUTE_PGM_RSRC2:TGID_Z_EN: 1
; COMPUTE_PGM_RSRC2:TIDIG_COMP_CNT: 1
; COMPUTE_PGM_RSRC3_GFX90A:ACCUM_OFFSET: 13
; COMPUTE_PGM_RSRC3_GFX90A:TG_SPLIT: 0
	.section	.text._ZL29rocblas_internal_gemmt_kernelIlLi16ELi32ELi8ELc78ELc67ELc76ELb0ELb0EdPKdS1_PdEviT_T9_T10_S3_lS5_S3_lS4_T11_S3_li,"axG",@progbits,_ZL29rocblas_internal_gemmt_kernelIlLi16ELi32ELi8ELc78ELc67ELc76ELb0ELb0EdPKdS1_PdEviT_T9_T10_S3_lS5_S3_lS4_T11_S3_li,comdat
	.globl	_ZL29rocblas_internal_gemmt_kernelIlLi16ELi32ELi8ELc78ELc67ELc76ELb0ELb0EdPKdS1_PdEviT_T9_T10_S3_lS5_S3_lS4_T11_S3_li ; -- Begin function _ZL29rocblas_internal_gemmt_kernelIlLi16ELi32ELi8ELc78ELc67ELc76ELb0ELb0EdPKdS1_PdEviT_T9_T10_S3_lS5_S3_lS4_T11_S3_li
	.p2align	8
	.type	_ZL29rocblas_internal_gemmt_kernelIlLi16ELi32ELi8ELc78ELc67ELc76ELb0ELb0EdPKdS1_PdEviT_T9_T10_S3_lS5_S3_lS4_T11_S3_li,@function
_ZL29rocblas_internal_gemmt_kernelIlLi16ELi32ELi8ELc78ELc67ELc76ELb0ELb0EdPKdS1_PdEviT_T9_T10_S3_lS5_S3_lS4_T11_S3_li: ; @_ZL29rocblas_internal_gemmt_kernelIlLi16ELi32ELi8ELc78ELc67ELc76ELb0ELb0EdPKdS1_PdEviT_T9_T10_S3_lS5_S3_lS4_T11_S3_li
; %bb.0:
	s_load_dwordx8 s[24:31], s[0:1], 0x48
	s_load_dwordx16 s[8:23], s[0:1], 0x8
	s_waitcnt lgkmcnt(0)
	s_load_dwordx2 s[6:7], s[24:25], 0x0
	s_load_dwordx2 s[34:35], s[10:11], 0x0
	s_waitcnt lgkmcnt(0)
	v_cmp_neq_f64_e64 s[10:11], s[6:7], 1.0
	s_and_b64 vcc, exec, s[10:11]
	s_cbranch_vccnz .LBB191_2
; %bb.1:
	s_cmp_lg_u64 s[8:9], 0
	s_cselect_b64 s[10:11], -1, 0
	v_cmp_neq_f64_e64 s[24:25], s[34:35], 0
	s_and_b64 s[10:11], s[10:11], s[24:25]
.LBB191_2:
	s_andn2_b64 vcc, exec, s[10:11]
	s_cbranch_vccnz .LBB191_28
; %bb.3:
	s_load_dword s24, s[0:1], 0x0
	s_lshl_b32 s5, s2, 5
	s_lshl_b32 s25, s3, 5
	v_cmp_eq_f64_e64 s[0:1], s[34:35], 0
	v_cmp_lt_i64_e64 s[2:3], s[8:9], 1
	s_or_b64 s[0:1], s[0:1], s[2:3]
	v_and_b32_e32 v9, 0x3ff, v0
	v_bfe_u32 v11, v0, 10, 10
	v_mov_b64_e32 v[6:7], 0
	s_and_b64 vcc, exec, s[0:1]
	v_mov_b64_e32 v[4:5], 0
	v_mov_b64_e32 v[2:3], 0
	;; [unrolled: 1-line block ×3, first 2 shown]
	s_cbranch_vccnz .LBB191_12
; %bb.4:
	s_mul_i32 s0, s23, s4
	s_mul_hi_u32 s1, s22, s4
	s_add_i32 s1, s1, s0
	s_mul_i32 s0, s22, s4
	s_lshl_b64 s[0:1], s[0:1], 3
	v_lshl_add_u32 v1, v11, 4, v9
	s_add_u32 s10, s18, s0
	v_lshrrev_b32_e32 v10, 5, v1
	v_lshrrev_b32_e32 v4, 3, v1
	v_and_b32_e32 v1, 31, v1
	s_addc_u32 s11, s19, s1
	s_mul_i32 s0, s17, s4
	s_mul_hi_u32 s1, s16, s4
	v_and_b32_e32 v8, 7, v9
	v_or_b32_e32 v2, s5, v1
	s_add_i32 s1, s1, s0
	s_mul_i32 s0, s16, s4
	v_lshlrev_b32_e32 v1, 3, v1
	s_lshl_b64 s[0:1], s[0:1], 3
	v_lshl_or_b32 v18, v10, 8, v1
	v_lshlrev_b32_e32 v1, 3, v8
	v_add_u32_e32 v0, s25, v4
	s_add_u32 s2, s12, s0
	v_lshl_or_b32 v1, v4, 6, v1
	s_addc_u32 s3, s13, s1
	v_ashrrev_i32_e32 v3, 31, v2
	v_add_u32_e32 v19, 0x800, v1
	v_ashrrev_i32_e32 v1, 31, v0
	v_lshl_add_u64 v[12:13], v[2:3], 3, s[2:3]
	s_waitcnt lgkmcnt(0)
	v_cmp_gt_i32_e64 s[2:3], s24, v0
	v_lshl_add_u64 v[14:15], v[0:1], 3, s[10:11]
	v_mov_b32_e32 v0, 0x800
	v_cmp_gt_i32_e64 s[0:1], s24, v2
	v_lshlrev_b32_e32 v20, 3, v9
	v_lshl_add_u32 v21, v11, 6, v0
	v_mov_b32_e32 v17, 0
	v_mov_b64_e32 v[0:1], 0
	s_mov_b64 s[10:11], 0
	v_mov_b64_e32 v[2:3], 0
	v_mov_b64_e32 v[4:5], 0
	;; [unrolled: 1-line block ×3, first 2 shown]
	s_branch .LBB191_6
.LBB191_5:                              ;   in Loop: Header=BB191_6 Depth=1
	s_or_b64 exec, exec, s[12:13]
	s_waitcnt vmcnt(0)
	ds_write_b64 v19, v[22:23]
	s_waitcnt lgkmcnt(0)
	s_barrier
	ds_read2_b64 v[22:25], v20 offset1:16
	ds_read_b128 v[26:29], v21
	ds_read_b128 v[30:33], v21 offset:16
	ds_read_b128 v[34:37], v21 offset:32
	;; [unrolled: 1-line block ×4, first 2 shown]
	ds_read2_b64 v[46:49], v20 offset0:32 offset1:48
	s_waitcnt lgkmcnt(5)
	v_fmac_f64_e32 v[6:7], v[22:23], v[26:27]
	v_fmac_f64_e32 v[4:5], v[24:25], v[26:27]
	ds_read_b128 v[50:53], v21 offset:1040
	s_waitcnt lgkmcnt(2)
	v_fmac_f64_e32 v[2:3], v[22:23], v[42:43]
	v_fmac_f64_e32 v[0:1], v[24:25], v[42:43]
	ds_read2_b64 v[22:25], v20 offset0:64 offset1:80
	s_waitcnt lgkmcnt(2)
	v_fmac_f64_e32 v[6:7], v[46:47], v[28:29]
	v_fmac_f64_e32 v[4:5], v[48:49], v[28:29]
	ds_read2_b64 v[26:29], v20 offset0:96 offset1:112
	v_fmac_f64_e32 v[2:3], v[46:47], v[44:45]
	v_fmac_f64_e32 v[0:1], v[48:49], v[44:45]
	s_waitcnt lgkmcnt(1)
	v_fmac_f64_e32 v[6:7], v[22:23], v[30:31]
	v_fmac_f64_e32 v[4:5], v[24:25], v[30:31]
	ds_read_b128 v[42:45], v21 offset:1072
	v_fmac_f64_e32 v[2:3], v[22:23], v[50:51]
	v_fmac_f64_e32 v[0:1], v[24:25], v[50:51]
	s_waitcnt lgkmcnt(1)
	v_fmac_f64_e32 v[6:7], v[26:27], v[32:33]
	ds_read2_b64 v[22:25], v20 offset0:128 offset1:144
	v_fmac_f64_e32 v[4:5], v[28:29], v[32:33]
	v_fmac_f64_e32 v[2:3], v[26:27], v[52:53]
	;; [unrolled: 1-line block ×3, first 2 shown]
	ds_read_b128 v[26:29], v21 offset:1056
	ds_read2_b64 v[30:33], v20 offset0:160 offset1:176
	s_waitcnt lgkmcnt(2)
	v_fmac_f64_e32 v[6:7], v[22:23], v[34:35]
	v_fmac_f64_e32 v[4:5], v[24:25], v[34:35]
	s_add_u32 s10, s10, 8
	s_waitcnt lgkmcnt(1)
	v_fmac_f64_e32 v[2:3], v[22:23], v[26:27]
	v_fmac_f64_e32 v[0:1], v[24:25], v[26:27]
	ds_read2_b64 v[22:25], v20 offset0:192 offset1:208
	s_waitcnt lgkmcnt(1)
	v_fmac_f64_e32 v[2:3], v[30:31], v[28:29]
	v_fmac_f64_e32 v[0:1], v[32:33], v[28:29]
	ds_read2_b64 v[26:29], v20 offset0:224 offset1:240
	v_fmac_f64_e32 v[6:7], v[30:31], v[36:37]
	s_addc_u32 s11, s11, 0
	v_fmac_f64_e32 v[4:5], v[32:33], v[36:37]
	s_waitcnt lgkmcnt(1)
	v_fmac_f64_e32 v[6:7], v[22:23], v[38:39]
	v_fmac_f64_e32 v[2:3], v[22:23], v[42:43]
	v_mov_b64_e32 v[22:23], s[10:11]
	v_fmac_f64_e32 v[4:5], v[24:25], v[38:39]
	v_fmac_f64_e32 v[0:1], v[24:25], v[42:43]
	v_cmp_gt_i64_e32 vcc, s[8:9], v[22:23]
	s_waitcnt lgkmcnt(0)
	v_fmac_f64_e32 v[6:7], v[26:27], v[40:41]
	v_fmac_f64_e32 v[4:5], v[28:29], v[40:41]
	;; [unrolled: 1-line block ×4, first 2 shown]
	s_barrier
	s_cbranch_vccz .LBB191_12
.LBB191_6:                              ; =>This Inner Loop Header: Depth=1
	v_mov_b64_e32 v[22:23], 0
	s_and_saveexec_b64 s[12:13], s[0:1]
	s_cbranch_execz .LBB191_10
; %bb.7:                                ;   in Loop: Header=BB191_6 Depth=1
	v_add_u32_e32 v16, s10, v10
	v_cmp_gt_u64_e32 vcc, s[8:9], v[16:17]
	v_mov_b64_e32 v[22:23], 0
	s_and_saveexec_b64 s[16:17], vcc
	s_cbranch_execz .LBB191_9
; %bb.8:                                ;   in Loop: Header=BB191_6 Depth=1
	v_mad_u64_u32 v[22:23], s[18:19], s14, v16, 0
	v_mov_b32_e32 v24, v23
	v_mad_u64_u32 v[24:25], s[18:19], s15, v16, v[24:25]
	v_mov_b32_e32 v23, v24
	v_lshl_add_u64 v[22:23], v[22:23], 3, v[12:13]
	global_load_dwordx2 v[22:23], v[22:23], off
.LBB191_9:                              ;   in Loop: Header=BB191_6 Depth=1
	s_or_b64 exec, exec, s[16:17]
.LBB191_10:                             ;   in Loop: Header=BB191_6 Depth=1
	s_or_b64 exec, exec, s[12:13]
	v_add_u32_e32 v16, s10, v8
	v_cmp_gt_u64_e32 vcc, s[8:9], v[16:17]
	s_waitcnt vmcnt(0)
	ds_write_b64 v18, v[22:23]
	s_and_b64 s[16:17], vcc, s[2:3]
	v_mov_b64_e32 v[22:23], 0
	s_and_saveexec_b64 s[12:13], s[16:17]
	s_cbranch_execz .LBB191_5
; %bb.11:                               ;   in Loop: Header=BB191_6 Depth=1
	v_mad_u64_u32 v[22:23], s[16:17], s20, v16, 0
	v_mov_b32_e32 v24, v23
	v_mad_u64_u32 v[24:25], s[16:17], s21, v16, v[24:25]
	v_mov_b32_e32 v23, v24
	v_lshl_add_u64 v[22:23], v[22:23], 3, v[14:15]
	global_load_dwordx2 v[22:23], v[22:23], off
	s_branch .LBB191_5
.LBB191_12:
	s_mul_i32 s0, s31, s4
	s_mul_hi_u32 s1, s30, s4
	s_add_i32 s1, s1, s0
	s_mul_i32 s0, s30, s4
	s_lshl_b64 s[0:1], s[0:1], 3
	s_add_u32 s8, s26, s0
	v_add_u32_e32 v14, s25, v11
	s_addc_u32 s9, s27, s1
	v_add_u32_e32 v8, s5, v9
	v_ashrrev_i32_e32 v9, 31, v14
	v_mad_u64_u32 v[10:11], s[0:1], s28, v14, 0
	v_mul_lo_u32 v9, s28, v9
	v_mul_lo_u32 v12, s29, v14
	v_cmp_neq_f64_e64 s[0:1], s[6:7], 0
	v_add3_u32 v11, v11, v9, v12
	v_cmp_le_i32_e32 vcc, v14, v8
	s_waitcnt lgkmcnt(0)
	v_cmp_gt_i32_e64 s[2:3], s24, v8
	v_cndmask_b32_e64 v12, 0, 1, s[0:1]
	v_lshl_add_u64 v[10:11], v[10:11], 3, s[8:9]
	s_and_b64 s[10:11], vcc, s[2:3]
	v_ashrrev_i32_e32 v9, 31, v8
	v_cmp_ne_u32_e64 s[0:1], 1, v12
	s_and_saveexec_b64 s[4:5], s[10:11]
	s_cbranch_execz .LBB191_16
; %bb.13:
	v_mul_f64 v[6:7], s[34:35], v[6:7]
	s_and_b64 vcc, exec, s[0:1]
	v_lshl_add_u64 v[12:13], v[8:9], 3, v[10:11]
	s_cbranch_vccnz .LBB191_15
; %bb.14:
	global_load_dwordx2 v[16:17], v[12:13], off
	s_waitcnt vmcnt(0)
	v_fmac_f64_e32 v[6:7], s[6:7], v[16:17]
.LBB191_15:
	global_store_dwordx2 v[12:13], v[6:7], off
.LBB191_16:
	s_or_b64 exec, exec, s[4:5]
	v_add_u32_e32 v6, 16, v8
	v_cmp_le_i32_e32 vcc, v14, v6
	v_cmp_gt_i32_e64 s[4:5], s24, v6
	s_and_b64 s[12:13], vcc, s[4:5]
	v_ashrrev_i32_e32 v7, 31, v6
	s_and_saveexec_b64 s[10:11], s[12:13]
	s_cbranch_execz .LBB191_20
; %bb.17:
	v_mul_f64 v[4:5], s[34:35], v[4:5]
	s_and_b64 vcc, exec, s[0:1]
	v_lshl_add_u64 v[10:11], v[6:7], 3, v[10:11]
	s_cbranch_vccnz .LBB191_19
; %bb.18:
	global_load_dwordx2 v[12:13], v[10:11], off
	s_waitcnt vmcnt(0)
	v_fmac_f64_e32 v[4:5], s[6:7], v[12:13]
.LBB191_19:
	global_store_dwordx2 v[10:11], v[4:5], off
.LBB191_20:
	s_or_b64 exec, exec, s[10:11]
	v_add_u32_e32 v10, 16, v14
	v_ashrrev_i32_e32 v4, 31, v10
	v_mul_lo_u32 v11, s28, v4
	v_mul_lo_u32 v12, s29, v10
	v_mad_u64_u32 v[4:5], s[10:11], s28, v10, 0
	v_add3_u32 v5, v5, v11, v12
	v_cmp_le_i32_e32 vcc, v10, v8
	v_lshl_add_u64 v[4:5], v[4:5], 3, s[8:9]
	s_and_b64 s[8:9], vcc, s[2:3]
	s_and_saveexec_b64 s[2:3], s[8:9]
	s_cbranch_execz .LBB191_24
; %bb.21:
	v_mul_f64 v[2:3], s[34:35], v[2:3]
	s_and_b64 vcc, exec, s[0:1]
	v_lshl_add_u64 v[8:9], v[8:9], 3, v[4:5]
	s_cbranch_vccnz .LBB191_23
; %bb.22:
	global_load_dwordx2 v[12:13], v[8:9], off
	s_waitcnt vmcnt(0)
	v_fmac_f64_e32 v[2:3], s[6:7], v[12:13]
.LBB191_23:
	global_store_dwordx2 v[8:9], v[2:3], off
.LBB191_24:
	s_or_b64 exec, exec, s[2:3]
	v_cmp_le_i32_e32 vcc, v10, v6
	s_and_b64 s[2:3], vcc, s[4:5]
	s_and_saveexec_b64 s[4:5], s[2:3]
	s_cbranch_execz .LBB191_28
; %bb.25:
	v_mul_f64 v[0:1], s[34:35], v[0:1]
	s_and_b64 vcc, exec, s[0:1]
	v_lshl_add_u64 v[2:3], v[6:7], 3, v[4:5]
	s_cbranch_vccnz .LBB191_27
; %bb.26:
	global_load_dwordx2 v[4:5], v[2:3], off
	s_waitcnt vmcnt(0)
	v_fmac_f64_e32 v[0:1], s[6:7], v[4:5]
.LBB191_27:
	global_store_dwordx2 v[2:3], v[0:1], off
.LBB191_28:
	s_endpgm
	.section	.rodata,"a",@progbits
	.p2align	6, 0x0
	.amdhsa_kernel _ZL29rocblas_internal_gemmt_kernelIlLi16ELi32ELi8ELc78ELc67ELc76ELb0ELb0EdPKdS1_PdEviT_T9_T10_S3_lS5_S3_lS4_T11_S3_li
		.amdhsa_group_segment_fixed_size 4096
		.amdhsa_private_segment_fixed_size 0
		.amdhsa_kernarg_size 108
		.amdhsa_user_sgpr_count 2
		.amdhsa_user_sgpr_dispatch_ptr 0
		.amdhsa_user_sgpr_queue_ptr 0
		.amdhsa_user_sgpr_kernarg_segment_ptr 1
		.amdhsa_user_sgpr_dispatch_id 0
		.amdhsa_user_sgpr_kernarg_preload_length 0
		.amdhsa_user_sgpr_kernarg_preload_offset 0
		.amdhsa_user_sgpr_private_segment_size 0
		.amdhsa_uses_dynamic_stack 0
		.amdhsa_enable_private_segment 0
		.amdhsa_system_sgpr_workgroup_id_x 1
		.amdhsa_system_sgpr_workgroup_id_y 1
		.amdhsa_system_sgpr_workgroup_id_z 1
		.amdhsa_system_sgpr_workgroup_info 0
		.amdhsa_system_vgpr_workitem_id 1
		.amdhsa_next_free_vgpr 54
		.amdhsa_next_free_sgpr 36
		.amdhsa_accum_offset 56
		.amdhsa_reserve_vcc 1
		.amdhsa_float_round_mode_32 0
		.amdhsa_float_round_mode_16_64 0
		.amdhsa_float_denorm_mode_32 3
		.amdhsa_float_denorm_mode_16_64 3
		.amdhsa_dx10_clamp 1
		.amdhsa_ieee_mode 1
		.amdhsa_fp16_overflow 0
		.amdhsa_tg_split 0
		.amdhsa_exception_fp_ieee_invalid_op 0
		.amdhsa_exception_fp_denorm_src 0
		.amdhsa_exception_fp_ieee_div_zero 0
		.amdhsa_exception_fp_ieee_overflow 0
		.amdhsa_exception_fp_ieee_underflow 0
		.amdhsa_exception_fp_ieee_inexact 0
		.amdhsa_exception_int_div_zero 0
	.end_amdhsa_kernel
	.section	.text._ZL29rocblas_internal_gemmt_kernelIlLi16ELi32ELi8ELc78ELc67ELc76ELb0ELb0EdPKdS1_PdEviT_T9_T10_S3_lS5_S3_lS4_T11_S3_li,"axG",@progbits,_ZL29rocblas_internal_gemmt_kernelIlLi16ELi32ELi8ELc78ELc67ELc76ELb0ELb0EdPKdS1_PdEviT_T9_T10_S3_lS5_S3_lS4_T11_S3_li,comdat
.Lfunc_end191:
	.size	_ZL29rocblas_internal_gemmt_kernelIlLi16ELi32ELi8ELc78ELc67ELc76ELb0ELb0EdPKdS1_PdEviT_T9_T10_S3_lS5_S3_lS4_T11_S3_li, .Lfunc_end191-_ZL29rocblas_internal_gemmt_kernelIlLi16ELi32ELi8ELc78ELc67ELc76ELb0ELb0EdPKdS1_PdEviT_T9_T10_S3_lS5_S3_lS4_T11_S3_li
                                        ; -- End function
	.set _ZL29rocblas_internal_gemmt_kernelIlLi16ELi32ELi8ELc78ELc67ELc76ELb0ELb0EdPKdS1_PdEviT_T9_T10_S3_lS5_S3_lS4_T11_S3_li.num_vgpr, 54
	.set _ZL29rocblas_internal_gemmt_kernelIlLi16ELi32ELi8ELc78ELc67ELc76ELb0ELb0EdPKdS1_PdEviT_T9_T10_S3_lS5_S3_lS4_T11_S3_li.num_agpr, 0
	.set _ZL29rocblas_internal_gemmt_kernelIlLi16ELi32ELi8ELc78ELc67ELc76ELb0ELb0EdPKdS1_PdEviT_T9_T10_S3_lS5_S3_lS4_T11_S3_li.numbered_sgpr, 36
	.set _ZL29rocblas_internal_gemmt_kernelIlLi16ELi32ELi8ELc78ELc67ELc76ELb0ELb0EdPKdS1_PdEviT_T9_T10_S3_lS5_S3_lS4_T11_S3_li.num_named_barrier, 0
	.set _ZL29rocblas_internal_gemmt_kernelIlLi16ELi32ELi8ELc78ELc67ELc76ELb0ELb0EdPKdS1_PdEviT_T9_T10_S3_lS5_S3_lS4_T11_S3_li.private_seg_size, 0
	.set _ZL29rocblas_internal_gemmt_kernelIlLi16ELi32ELi8ELc78ELc67ELc76ELb0ELb0EdPKdS1_PdEviT_T9_T10_S3_lS5_S3_lS4_T11_S3_li.uses_vcc, 1
	.set _ZL29rocblas_internal_gemmt_kernelIlLi16ELi32ELi8ELc78ELc67ELc76ELb0ELb0EdPKdS1_PdEviT_T9_T10_S3_lS5_S3_lS4_T11_S3_li.uses_flat_scratch, 0
	.set _ZL29rocblas_internal_gemmt_kernelIlLi16ELi32ELi8ELc78ELc67ELc76ELb0ELb0EdPKdS1_PdEviT_T9_T10_S3_lS5_S3_lS4_T11_S3_li.has_dyn_sized_stack, 0
	.set _ZL29rocblas_internal_gemmt_kernelIlLi16ELi32ELi8ELc78ELc67ELc76ELb0ELb0EdPKdS1_PdEviT_T9_T10_S3_lS5_S3_lS4_T11_S3_li.has_recursion, 0
	.set _ZL29rocblas_internal_gemmt_kernelIlLi16ELi32ELi8ELc78ELc67ELc76ELb0ELb0EdPKdS1_PdEviT_T9_T10_S3_lS5_S3_lS4_T11_S3_li.has_indirect_call, 0
	.section	.AMDGPU.csdata,"",@progbits
; Kernel info:
; codeLenInByte = 1332
; TotalNumSgprs: 42
; NumVgprs: 54
; NumAgprs: 0
; TotalNumVgprs: 54
; ScratchSize: 0
; MemoryBound: 0
; FloatMode: 240
; IeeeMode: 1
; LDSByteSize: 4096 bytes/workgroup (compile time only)
; SGPRBlocks: 5
; VGPRBlocks: 6
; NumSGPRsForWavesPerEU: 42
; NumVGPRsForWavesPerEU: 54
; AccumOffset: 56
; Occupancy: 8
; WaveLimiterHint : 0
; COMPUTE_PGM_RSRC2:SCRATCH_EN: 0
; COMPUTE_PGM_RSRC2:USER_SGPR: 2
; COMPUTE_PGM_RSRC2:TRAP_HANDLER: 0
; COMPUTE_PGM_RSRC2:TGID_X_EN: 1
; COMPUTE_PGM_RSRC2:TGID_Y_EN: 1
; COMPUTE_PGM_RSRC2:TGID_Z_EN: 1
; COMPUTE_PGM_RSRC2:TIDIG_COMP_CNT: 1
; COMPUTE_PGM_RSRC3_GFX90A:ACCUM_OFFSET: 13
; COMPUTE_PGM_RSRC3_GFX90A:TG_SPLIT: 0
	.section	.text._ZL29rocblas_internal_gemmt_kernelIlLi16ELi32ELi8ELc84ELc78ELc76ELb0ELb0EdPKdS1_PdEviT_T9_T10_S3_lS5_S3_lS4_T11_S3_li,"axG",@progbits,_ZL29rocblas_internal_gemmt_kernelIlLi16ELi32ELi8ELc84ELc78ELc76ELb0ELb0EdPKdS1_PdEviT_T9_T10_S3_lS5_S3_lS4_T11_S3_li,comdat
	.globl	_ZL29rocblas_internal_gemmt_kernelIlLi16ELi32ELi8ELc84ELc78ELc76ELb0ELb0EdPKdS1_PdEviT_T9_T10_S3_lS5_S3_lS4_T11_S3_li ; -- Begin function _ZL29rocblas_internal_gemmt_kernelIlLi16ELi32ELi8ELc84ELc78ELc76ELb0ELb0EdPKdS1_PdEviT_T9_T10_S3_lS5_S3_lS4_T11_S3_li
	.p2align	8
	.type	_ZL29rocblas_internal_gemmt_kernelIlLi16ELi32ELi8ELc84ELc78ELc76ELb0ELb0EdPKdS1_PdEviT_T9_T10_S3_lS5_S3_lS4_T11_S3_li,@function
_ZL29rocblas_internal_gemmt_kernelIlLi16ELi32ELi8ELc84ELc78ELc76ELb0ELb0EdPKdS1_PdEviT_T9_T10_S3_lS5_S3_lS4_T11_S3_li: ; @_ZL29rocblas_internal_gemmt_kernelIlLi16ELi32ELi8ELc84ELc78ELc76ELb0ELb0EdPKdS1_PdEviT_T9_T10_S3_lS5_S3_lS4_T11_S3_li
; %bb.0:
	s_load_dwordx8 s[24:31], s[0:1], 0x48
	s_load_dwordx16 s[8:23], s[0:1], 0x8
	s_waitcnt lgkmcnt(0)
	s_load_dwordx2 s[6:7], s[24:25], 0x0
	s_load_dwordx2 s[34:35], s[10:11], 0x0
	s_waitcnt lgkmcnt(0)
	v_cmp_neq_f64_e64 s[10:11], s[6:7], 1.0
	s_and_b64 vcc, exec, s[10:11]
	s_cbranch_vccnz .LBB192_2
; %bb.1:
	s_cmp_lg_u64 s[8:9], 0
	s_cselect_b64 s[10:11], -1, 0
	v_cmp_neq_f64_e64 s[24:25], s[34:35], 0
	s_and_b64 s[10:11], s[10:11], s[24:25]
.LBB192_2:
	s_andn2_b64 vcc, exec, s[10:11]
	s_cbranch_vccnz .LBB192_28
; %bb.3:
	s_load_dword s24, s[0:1], 0x0
	s_lshl_b32 s5, s2, 5
	s_lshl_b32 s25, s3, 5
	v_cmp_eq_f64_e64 s[0:1], s[34:35], 0
	v_cmp_lt_i64_e64 s[2:3], s[8:9], 1
	s_or_b64 s[0:1], s[0:1], s[2:3]
	v_and_b32_e32 v7, 0x3ff, v0
	v_bfe_u32 v9, v0, 10, 10
	v_mov_b64_e32 v[10:11], 0
	s_and_b64 vcc, exec, s[0:1]
	v_mov_b64_e32 v[4:5], 0
	v_mov_b64_e32 v[2:3], 0
	;; [unrolled: 1-line block ×3, first 2 shown]
	s_cbranch_vccnz .LBB192_12
; %bb.4:
	s_mul_i32 s0, s23, s4
	s_mul_hi_u32 s1, s22, s4
	s_add_i32 s1, s1, s0
	s_mul_i32 s0, s22, s4
	s_lshl_b64 s[0:1], s[0:1], 3
	s_add_u32 s10, s18, s0
	s_addc_u32 s11, s19, s1
	s_mul_i32 s0, s17, s4
	s_mul_hi_u32 s1, s16, s4
	v_lshl_add_u32 v0, v9, 4, v7
	s_add_i32 s1, s1, s0
	s_mul_i32 s0, s16, s4
	v_lshrrev_b32_e32 v8, 5, v0
	v_lshrrev_b32_e32 v2, 3, v0
	v_and_b32_e32 v0, 31, v0
	s_lshl_b64 s[0:1], s[0:1], 3
	v_or_b32_e32 v1, s5, v0
	s_add_u32 s2, s12, s0
	v_lshlrev_b32_e32 v0, 3, v0
	s_addc_u32 s3, s13, s1
	s_waitcnt lgkmcnt(0)
	v_cmp_gt_i32_e64 s[0:1], s24, v1
	v_lshl_or_b32 v18, v8, 8, v0
	s_ashr_i32 s16, s5, 31
	v_mul_lo_u32 v4, s15, v1
	v_mad_u64_u32 v[0:1], s[12:13], s14, v1, 0
	s_mul_i32 s12, s14, s16
	v_and_b32_e32 v6, 7, v7
	v_add3_u32 v1, v1, s12, v4
	v_lshl_add_u64 v[12:13], v[0:1], 3, s[2:3]
	v_lshlrev_b32_e32 v0, 3, v6
	v_add_u32_e32 v3, s25, v2
	v_lshl_or_b32 v0, v2, 6, v0
	v_add_u32_e32 v19, 0x800, v0
	v_ashrrev_i32_e32 v0, 31, v3
	v_mul_lo_u32 v2, s20, v0
	v_mul_lo_u32 v4, s21, v3
	v_mad_u64_u32 v[0:1], s[12:13], s20, v3, 0
	v_add3_u32 v1, v1, v2, v4
	v_lshl_add_u64 v[14:15], v[0:1], 3, s[10:11]
	v_mov_b32_e32 v0, 0x800
	v_cmp_gt_i32_e64 s[2:3], s24, v3
	v_lshlrev_b32_e32 v20, 3, v7
	v_lshl_add_u32 v21, v9, 6, v0
	v_mov_b32_e32 v17, 0
	v_mov_b64_e32 v[0:1], 0
	s_mov_b64 s[10:11], 0
	v_mov_b64_e32 v[2:3], 0
	v_mov_b64_e32 v[4:5], 0
	;; [unrolled: 1-line block ×3, first 2 shown]
	s_branch .LBB192_6
.LBB192_5:                              ;   in Loop: Header=BB192_6 Depth=1
	s_or_b64 exec, exec, s[12:13]
	s_waitcnt vmcnt(0)
	ds_write_b64 v19, v[22:23]
	s_waitcnt lgkmcnt(0)
	s_barrier
	ds_read2_b64 v[22:25], v20 offset1:16
	ds_read_b128 v[26:29], v21
	ds_read_b128 v[30:33], v21 offset:16
	ds_read_b128 v[34:37], v21 offset:32
	ds_read_b128 v[38:41], v21 offset:48
	ds_read_b128 v[42:45], v21 offset:1024
	ds_read2_b64 v[46:49], v20 offset0:32 offset1:48
	s_waitcnt lgkmcnt(5)
	v_fmac_f64_e32 v[10:11], v[22:23], v[26:27]
	v_fmac_f64_e32 v[4:5], v[24:25], v[26:27]
	ds_read_b128 v[50:53], v21 offset:1040
	s_waitcnt lgkmcnt(2)
	v_fmac_f64_e32 v[2:3], v[22:23], v[42:43]
	v_fmac_f64_e32 v[0:1], v[24:25], v[42:43]
	ds_read2_b64 v[22:25], v20 offset0:64 offset1:80
	s_waitcnt lgkmcnt(2)
	v_fmac_f64_e32 v[10:11], v[46:47], v[28:29]
	v_fmac_f64_e32 v[4:5], v[48:49], v[28:29]
	ds_read2_b64 v[26:29], v20 offset0:96 offset1:112
	v_fmac_f64_e32 v[2:3], v[46:47], v[44:45]
	v_fmac_f64_e32 v[0:1], v[48:49], v[44:45]
	s_waitcnt lgkmcnt(1)
	v_fmac_f64_e32 v[10:11], v[22:23], v[30:31]
	v_fmac_f64_e32 v[4:5], v[24:25], v[30:31]
	ds_read_b128 v[42:45], v21 offset:1072
	v_fmac_f64_e32 v[2:3], v[22:23], v[50:51]
	v_fmac_f64_e32 v[0:1], v[24:25], v[50:51]
	s_waitcnt lgkmcnt(1)
	v_fmac_f64_e32 v[10:11], v[26:27], v[32:33]
	ds_read2_b64 v[22:25], v20 offset0:128 offset1:144
	v_fmac_f64_e32 v[4:5], v[28:29], v[32:33]
	v_fmac_f64_e32 v[2:3], v[26:27], v[52:53]
	;; [unrolled: 1-line block ×3, first 2 shown]
	ds_read_b128 v[26:29], v21 offset:1056
	ds_read2_b64 v[30:33], v20 offset0:160 offset1:176
	s_waitcnt lgkmcnt(2)
	v_fmac_f64_e32 v[10:11], v[22:23], v[34:35]
	v_fmac_f64_e32 v[4:5], v[24:25], v[34:35]
	s_add_u32 s10, s10, 8
	s_waitcnt lgkmcnt(1)
	v_fmac_f64_e32 v[2:3], v[22:23], v[26:27]
	v_fmac_f64_e32 v[0:1], v[24:25], v[26:27]
	ds_read2_b64 v[22:25], v20 offset0:192 offset1:208
	s_waitcnt lgkmcnt(1)
	v_fmac_f64_e32 v[2:3], v[30:31], v[28:29]
	v_fmac_f64_e32 v[0:1], v[32:33], v[28:29]
	ds_read2_b64 v[26:29], v20 offset0:224 offset1:240
	v_fmac_f64_e32 v[10:11], v[30:31], v[36:37]
	s_addc_u32 s11, s11, 0
	v_fmac_f64_e32 v[4:5], v[32:33], v[36:37]
	s_waitcnt lgkmcnt(1)
	v_fmac_f64_e32 v[10:11], v[22:23], v[38:39]
	v_fmac_f64_e32 v[2:3], v[22:23], v[42:43]
	v_mov_b64_e32 v[22:23], s[10:11]
	v_fmac_f64_e32 v[4:5], v[24:25], v[38:39]
	v_fmac_f64_e32 v[0:1], v[24:25], v[42:43]
	v_cmp_gt_i64_e32 vcc, s[8:9], v[22:23]
	s_waitcnt lgkmcnt(0)
	v_fmac_f64_e32 v[10:11], v[26:27], v[40:41]
	v_fmac_f64_e32 v[4:5], v[28:29], v[40:41]
	;; [unrolled: 1-line block ×4, first 2 shown]
	s_barrier
	s_cbranch_vccz .LBB192_12
.LBB192_6:                              ; =>This Inner Loop Header: Depth=1
	v_mov_b64_e32 v[22:23], 0
	s_and_saveexec_b64 s[12:13], s[0:1]
	s_cbranch_execz .LBB192_10
; %bb.7:                                ;   in Loop: Header=BB192_6 Depth=1
	v_add_u32_e32 v16, s10, v8
	v_cmp_gt_u64_e32 vcc, s[8:9], v[16:17]
	v_mov_b64_e32 v[22:23], 0
	s_and_saveexec_b64 s[14:15], vcc
	s_cbranch_execz .LBB192_9
; %bb.8:                                ;   in Loop: Header=BB192_6 Depth=1
	v_lshl_add_u64 v[22:23], v[16:17], 3, v[12:13]
	global_load_dwordx2 v[22:23], v[22:23], off
.LBB192_9:                              ;   in Loop: Header=BB192_6 Depth=1
	s_or_b64 exec, exec, s[14:15]
.LBB192_10:                             ;   in Loop: Header=BB192_6 Depth=1
	s_or_b64 exec, exec, s[12:13]
	v_add_u32_e32 v16, s10, v6
	v_cmp_gt_u64_e32 vcc, s[8:9], v[16:17]
	s_waitcnt vmcnt(0)
	ds_write_b64 v18, v[22:23]
	s_and_b64 s[14:15], vcc, s[2:3]
	v_mov_b64_e32 v[22:23], 0
	s_and_saveexec_b64 s[12:13], s[14:15]
	s_cbranch_execz .LBB192_5
; %bb.11:                               ;   in Loop: Header=BB192_6 Depth=1
	v_lshl_add_u64 v[22:23], v[16:17], 3, v[14:15]
	global_load_dwordx2 v[22:23], v[22:23], off
	s_branch .LBB192_5
.LBB192_12:
	s_mul_i32 s0, s31, s4
	s_mul_hi_u32 s1, s30, s4
	s_add_i32 s1, s1, s0
	s_mul_i32 s0, s30, s4
	s_lshl_b64 s[0:1], s[0:1], 3
	v_add_u32_e32 v14, s25, v9
	s_add_u32 s8, s26, s0
	v_add_u32_e32 v6, s5, v7
	v_ashrrev_i32_e32 v7, 31, v14
	s_addc_u32 s9, s27, s1
	v_mul_lo_u32 v7, s28, v7
	v_mul_lo_u32 v12, s29, v14
	v_mad_u64_u32 v[8:9], s[0:1], s28, v14, 0
	v_add3_u32 v9, v9, v7, v12
	v_cmp_neq_f64_e64 s[0:1], s[6:7], 0
	v_lshl_add_u64 v[12:13], v[8:9], 3, s[8:9]
	v_cmp_le_i32_e32 vcc, v14, v6
	s_waitcnt lgkmcnt(0)
	v_cmp_gt_i32_e64 s[2:3], s24, v6
	v_cndmask_b32_e64 v8, 0, 1, s[0:1]
	s_and_b64 s[10:11], vcc, s[2:3]
	v_ashrrev_i32_e32 v7, 31, v6
	v_cmp_ne_u32_e64 s[0:1], 1, v8
	s_and_saveexec_b64 s[4:5], s[10:11]
	s_cbranch_execz .LBB192_16
; %bb.13:
	v_mul_f64 v[8:9], s[34:35], v[10:11]
	s_and_b64 vcc, exec, s[0:1]
	v_lshl_add_u64 v[10:11], v[6:7], 3, v[12:13]
	s_cbranch_vccnz .LBB192_15
; %bb.14:
	global_load_dwordx2 v[16:17], v[10:11], off
	s_waitcnt vmcnt(0)
	v_fmac_f64_e32 v[8:9], s[6:7], v[16:17]
.LBB192_15:
	global_store_dwordx2 v[10:11], v[8:9], off
.LBB192_16:
	s_or_b64 exec, exec, s[4:5]
	v_add_u32_e32 v8, 16, v6
	v_cmp_le_i32_e32 vcc, v14, v8
	v_cmp_gt_i32_e64 s[4:5], s24, v8
	s_and_b64 s[12:13], vcc, s[4:5]
	v_ashrrev_i32_e32 v9, 31, v8
	s_and_saveexec_b64 s[10:11], s[12:13]
	s_cbranch_execz .LBB192_20
; %bb.17:
	v_mul_f64 v[4:5], s[34:35], v[4:5]
	s_and_b64 vcc, exec, s[0:1]
	v_lshl_add_u64 v[10:11], v[8:9], 3, v[12:13]
	s_cbranch_vccnz .LBB192_19
; %bb.18:
	global_load_dwordx2 v[12:13], v[10:11], off
	s_waitcnt vmcnt(0)
	v_fmac_f64_e32 v[4:5], s[6:7], v[12:13]
.LBB192_19:
	global_store_dwordx2 v[10:11], v[4:5], off
.LBB192_20:
	s_or_b64 exec, exec, s[10:11]
	v_add_u32_e32 v10, 16, v14
	v_ashrrev_i32_e32 v4, 31, v10
	v_mul_lo_u32 v11, s28, v4
	v_mul_lo_u32 v12, s29, v10
	v_mad_u64_u32 v[4:5], s[10:11], s28, v10, 0
	v_add3_u32 v5, v5, v11, v12
	v_cmp_le_i32_e32 vcc, v10, v6
	v_lshl_add_u64 v[4:5], v[4:5], 3, s[8:9]
	s_and_b64 s[8:9], vcc, s[2:3]
	s_and_saveexec_b64 s[2:3], s[8:9]
	s_cbranch_execz .LBB192_24
; %bb.21:
	v_mul_f64 v[2:3], s[34:35], v[2:3]
	s_and_b64 vcc, exec, s[0:1]
	v_lshl_add_u64 v[6:7], v[6:7], 3, v[4:5]
	s_cbranch_vccnz .LBB192_23
; %bb.22:
	global_load_dwordx2 v[12:13], v[6:7], off
	s_waitcnt vmcnt(0)
	v_fmac_f64_e32 v[2:3], s[6:7], v[12:13]
.LBB192_23:
	global_store_dwordx2 v[6:7], v[2:3], off
.LBB192_24:
	s_or_b64 exec, exec, s[2:3]
	v_cmp_le_i32_e32 vcc, v10, v8
	s_and_b64 s[2:3], vcc, s[4:5]
	s_and_saveexec_b64 s[4:5], s[2:3]
	s_cbranch_execz .LBB192_28
; %bb.25:
	v_mul_f64 v[0:1], s[34:35], v[0:1]
	s_and_b64 vcc, exec, s[0:1]
	v_lshl_add_u64 v[2:3], v[8:9], 3, v[4:5]
	s_cbranch_vccnz .LBB192_27
; %bb.26:
	global_load_dwordx2 v[4:5], v[2:3], off
	s_waitcnt vmcnt(0)
	v_fmac_f64_e32 v[0:1], s[6:7], v[4:5]
.LBB192_27:
	global_store_dwordx2 v[2:3], v[0:1], off
.LBB192_28:
	s_endpgm
	.section	.rodata,"a",@progbits
	.p2align	6, 0x0
	.amdhsa_kernel _ZL29rocblas_internal_gemmt_kernelIlLi16ELi32ELi8ELc84ELc78ELc76ELb0ELb0EdPKdS1_PdEviT_T9_T10_S3_lS5_S3_lS4_T11_S3_li
		.amdhsa_group_segment_fixed_size 4096
		.amdhsa_private_segment_fixed_size 0
		.amdhsa_kernarg_size 108
		.amdhsa_user_sgpr_count 2
		.amdhsa_user_sgpr_dispatch_ptr 0
		.amdhsa_user_sgpr_queue_ptr 0
		.amdhsa_user_sgpr_kernarg_segment_ptr 1
		.amdhsa_user_sgpr_dispatch_id 0
		.amdhsa_user_sgpr_kernarg_preload_length 0
		.amdhsa_user_sgpr_kernarg_preload_offset 0
		.amdhsa_user_sgpr_private_segment_size 0
		.amdhsa_uses_dynamic_stack 0
		.amdhsa_enable_private_segment 0
		.amdhsa_system_sgpr_workgroup_id_x 1
		.amdhsa_system_sgpr_workgroup_id_y 1
		.amdhsa_system_sgpr_workgroup_id_z 1
		.amdhsa_system_sgpr_workgroup_info 0
		.amdhsa_system_vgpr_workitem_id 1
		.amdhsa_next_free_vgpr 54
		.amdhsa_next_free_sgpr 36
		.amdhsa_accum_offset 56
		.amdhsa_reserve_vcc 1
		.amdhsa_float_round_mode_32 0
		.amdhsa_float_round_mode_16_64 0
		.amdhsa_float_denorm_mode_32 3
		.amdhsa_float_denorm_mode_16_64 3
		.amdhsa_dx10_clamp 1
		.amdhsa_ieee_mode 1
		.amdhsa_fp16_overflow 0
		.amdhsa_tg_split 0
		.amdhsa_exception_fp_ieee_invalid_op 0
		.amdhsa_exception_fp_denorm_src 0
		.amdhsa_exception_fp_ieee_div_zero 0
		.amdhsa_exception_fp_ieee_overflow 0
		.amdhsa_exception_fp_ieee_underflow 0
		.amdhsa_exception_fp_ieee_inexact 0
		.amdhsa_exception_int_div_zero 0
	.end_amdhsa_kernel
	.section	.text._ZL29rocblas_internal_gemmt_kernelIlLi16ELi32ELi8ELc84ELc78ELc76ELb0ELb0EdPKdS1_PdEviT_T9_T10_S3_lS5_S3_lS4_T11_S3_li,"axG",@progbits,_ZL29rocblas_internal_gemmt_kernelIlLi16ELi32ELi8ELc84ELc78ELc76ELb0ELb0EdPKdS1_PdEviT_T9_T10_S3_lS5_S3_lS4_T11_S3_li,comdat
.Lfunc_end192:
	.size	_ZL29rocblas_internal_gemmt_kernelIlLi16ELi32ELi8ELc84ELc78ELc76ELb0ELb0EdPKdS1_PdEviT_T9_T10_S3_lS5_S3_lS4_T11_S3_li, .Lfunc_end192-_ZL29rocblas_internal_gemmt_kernelIlLi16ELi32ELi8ELc84ELc78ELc76ELb0ELb0EdPKdS1_PdEviT_T9_T10_S3_lS5_S3_lS4_T11_S3_li
                                        ; -- End function
	.set _ZL29rocblas_internal_gemmt_kernelIlLi16ELi32ELi8ELc84ELc78ELc76ELb0ELb0EdPKdS1_PdEviT_T9_T10_S3_lS5_S3_lS4_T11_S3_li.num_vgpr, 54
	.set _ZL29rocblas_internal_gemmt_kernelIlLi16ELi32ELi8ELc84ELc78ELc76ELb0ELb0EdPKdS1_PdEviT_T9_T10_S3_lS5_S3_lS4_T11_S3_li.num_agpr, 0
	.set _ZL29rocblas_internal_gemmt_kernelIlLi16ELi32ELi8ELc84ELc78ELc76ELb0ELb0EdPKdS1_PdEviT_T9_T10_S3_lS5_S3_lS4_T11_S3_li.numbered_sgpr, 36
	.set _ZL29rocblas_internal_gemmt_kernelIlLi16ELi32ELi8ELc84ELc78ELc76ELb0ELb0EdPKdS1_PdEviT_T9_T10_S3_lS5_S3_lS4_T11_S3_li.num_named_barrier, 0
	.set _ZL29rocblas_internal_gemmt_kernelIlLi16ELi32ELi8ELc84ELc78ELc76ELb0ELb0EdPKdS1_PdEviT_T9_T10_S3_lS5_S3_lS4_T11_S3_li.private_seg_size, 0
	.set _ZL29rocblas_internal_gemmt_kernelIlLi16ELi32ELi8ELc84ELc78ELc76ELb0ELb0EdPKdS1_PdEviT_T9_T10_S3_lS5_S3_lS4_T11_S3_li.uses_vcc, 1
	.set _ZL29rocblas_internal_gemmt_kernelIlLi16ELi32ELi8ELc84ELc78ELc76ELb0ELb0EdPKdS1_PdEviT_T9_T10_S3_lS5_S3_lS4_T11_S3_li.uses_flat_scratch, 0
	.set _ZL29rocblas_internal_gemmt_kernelIlLi16ELi32ELi8ELc84ELc78ELc76ELb0ELb0EdPKdS1_PdEviT_T9_T10_S3_lS5_S3_lS4_T11_S3_li.has_dyn_sized_stack, 0
	.set _ZL29rocblas_internal_gemmt_kernelIlLi16ELi32ELi8ELc84ELc78ELc76ELb0ELb0EdPKdS1_PdEviT_T9_T10_S3_lS5_S3_lS4_T11_S3_li.has_recursion, 0
	.set _ZL29rocblas_internal_gemmt_kernelIlLi16ELi32ELi8ELc84ELc78ELc76ELb0ELb0EdPKdS1_PdEviT_T9_T10_S3_lS5_S3_lS4_T11_S3_li.has_indirect_call, 0
	.section	.AMDGPU.csdata,"",@progbits
; Kernel info:
; codeLenInByte = 1344
; TotalNumSgprs: 42
; NumVgprs: 54
; NumAgprs: 0
; TotalNumVgprs: 54
; ScratchSize: 0
; MemoryBound: 0
; FloatMode: 240
; IeeeMode: 1
; LDSByteSize: 4096 bytes/workgroup (compile time only)
; SGPRBlocks: 5
; VGPRBlocks: 6
; NumSGPRsForWavesPerEU: 42
; NumVGPRsForWavesPerEU: 54
; AccumOffset: 56
; Occupancy: 8
; WaveLimiterHint : 0
; COMPUTE_PGM_RSRC2:SCRATCH_EN: 0
; COMPUTE_PGM_RSRC2:USER_SGPR: 2
; COMPUTE_PGM_RSRC2:TRAP_HANDLER: 0
; COMPUTE_PGM_RSRC2:TGID_X_EN: 1
; COMPUTE_PGM_RSRC2:TGID_Y_EN: 1
; COMPUTE_PGM_RSRC2:TGID_Z_EN: 1
; COMPUTE_PGM_RSRC2:TIDIG_COMP_CNT: 1
; COMPUTE_PGM_RSRC3_GFX90A:ACCUM_OFFSET: 13
; COMPUTE_PGM_RSRC3_GFX90A:TG_SPLIT: 0
	.section	.text._ZL29rocblas_internal_gemmt_kernelIlLi16ELi32ELi8ELc84ELc84ELc76ELb0ELb0EdPKdS1_PdEviT_T9_T10_S3_lS5_S3_lS4_T11_S3_li,"axG",@progbits,_ZL29rocblas_internal_gemmt_kernelIlLi16ELi32ELi8ELc84ELc84ELc76ELb0ELb0EdPKdS1_PdEviT_T9_T10_S3_lS5_S3_lS4_T11_S3_li,comdat
	.globl	_ZL29rocblas_internal_gemmt_kernelIlLi16ELi32ELi8ELc84ELc84ELc76ELb0ELb0EdPKdS1_PdEviT_T9_T10_S3_lS5_S3_lS4_T11_S3_li ; -- Begin function _ZL29rocblas_internal_gemmt_kernelIlLi16ELi32ELi8ELc84ELc84ELc76ELb0ELb0EdPKdS1_PdEviT_T9_T10_S3_lS5_S3_lS4_T11_S3_li
	.p2align	8
	.type	_ZL29rocblas_internal_gemmt_kernelIlLi16ELi32ELi8ELc84ELc84ELc76ELb0ELb0EdPKdS1_PdEviT_T9_T10_S3_lS5_S3_lS4_T11_S3_li,@function
_ZL29rocblas_internal_gemmt_kernelIlLi16ELi32ELi8ELc84ELc84ELc76ELb0ELb0EdPKdS1_PdEviT_T9_T10_S3_lS5_S3_lS4_T11_S3_li: ; @_ZL29rocblas_internal_gemmt_kernelIlLi16ELi32ELi8ELc84ELc84ELc76ELb0ELb0EdPKdS1_PdEviT_T9_T10_S3_lS5_S3_lS4_T11_S3_li
; %bb.0:
	s_load_dwordx8 s[24:31], s[0:1], 0x48
	s_load_dwordx16 s[8:23], s[0:1], 0x8
	s_waitcnt lgkmcnt(0)
	s_load_dwordx2 s[6:7], s[24:25], 0x0
	s_load_dwordx2 s[34:35], s[10:11], 0x0
	s_waitcnt lgkmcnt(0)
	v_cmp_neq_f64_e64 s[10:11], s[6:7], 1.0
	s_and_b64 vcc, exec, s[10:11]
	s_cbranch_vccnz .LBB193_2
; %bb.1:
	s_cmp_lg_u64 s[8:9], 0
	s_cselect_b64 s[10:11], -1, 0
	v_cmp_neq_f64_e64 s[24:25], s[34:35], 0
	s_and_b64 s[10:11], s[10:11], s[24:25]
.LBB193_2:
	s_andn2_b64 vcc, exec, s[10:11]
	s_cbranch_vccnz .LBB193_28
; %bb.3:
	s_load_dword s24, s[0:1], 0x0
	s_lshl_b32 s5, s2, 5
	s_lshl_b32 s25, s3, 5
	v_cmp_eq_f64_e64 s[0:1], s[34:35], 0
	v_cmp_lt_i64_e64 s[2:3], s[8:9], 1
	s_or_b64 s[0:1], s[0:1], s[2:3]
	v_and_b32_e32 v7, 0x3ff, v0
	v_bfe_u32 v11, v0, 10, 10
	v_mov_b64_e32 v[8:9], 0
	s_and_b64 vcc, exec, s[0:1]
	v_mov_b64_e32 v[4:5], 0
	v_mov_b64_e32 v[2:3], 0
	;; [unrolled: 1-line block ×3, first 2 shown]
	s_cbranch_vccnz .LBB193_12
; %bb.4:
	s_mul_i32 s0, s23, s4
	s_mul_hi_u32 s1, s22, s4
	s_add_i32 s1, s1, s0
	s_mul_i32 s0, s22, s4
	s_lshl_b64 s[0:1], s[0:1], 3
	s_add_u32 s10, s18, s0
	s_addc_u32 s11, s19, s1
	s_mul_i32 s0, s17, s4
	s_mul_hi_u32 s1, s16, s4
	v_lshl_add_u32 v1, v11, 4, v7
	s_add_i32 s1, s1, s0
	s_mul_i32 s0, s16, s4
	v_lshrrev_b32_e32 v10, 5, v1
	v_lshrrev_b32_e32 v4, 3, v1
	v_and_b32_e32 v1, 31, v1
	s_lshl_b64 s[0:1], s[0:1], 3
	v_or_b32_e32 v2, s5, v1
	s_add_u32 s2, s12, s0
	v_lshlrev_b32_e32 v1, 3, v1
	s_addc_u32 s3, s13, s1
	s_waitcnt lgkmcnt(0)
	v_cmp_gt_i32_e64 s[0:1], s24, v2
	v_lshl_or_b32 v18, v10, 8, v1
	s_ashr_i32 s16, s5, 31
	v_mul_lo_u32 v1, s15, v2
	v_mad_u64_u32 v[2:3], s[12:13], s14, v2, 0
	v_and_b32_e32 v6, 7, v7
	s_mul_i32 s12, s14, s16
	v_add3_u32 v3, v3, s12, v1
	v_lshlrev_b32_e32 v1, 3, v6
	v_add_u32_e32 v0, s25, v4
	v_lshl_or_b32 v1, v4, 6, v1
	v_add_u32_e32 v19, 0x800, v1
	v_ashrrev_i32_e32 v1, 31, v0
	v_lshl_add_u64 v[12:13], v[2:3], 3, s[2:3]
	v_cmp_gt_i32_e64 s[2:3], s24, v0
	v_lshl_add_u64 v[14:15], v[0:1], 3, s[10:11]
	v_mov_b32_e32 v0, 0x800
	v_lshlrev_b32_e32 v20, 3, v7
	v_lshl_add_u32 v21, v11, 6, v0
	v_mov_b32_e32 v17, 0
	v_mov_b64_e32 v[0:1], 0
	s_mov_b64 s[10:11], 0
	v_mov_b64_e32 v[2:3], 0
	v_mov_b64_e32 v[4:5], 0
	;; [unrolled: 1-line block ×3, first 2 shown]
	s_branch .LBB193_6
.LBB193_5:                              ;   in Loop: Header=BB193_6 Depth=1
	s_or_b64 exec, exec, s[12:13]
	s_waitcnt vmcnt(0)
	ds_write_b64 v19, v[22:23]
	s_waitcnt lgkmcnt(0)
	s_barrier
	ds_read2_b64 v[22:25], v20 offset1:16
	ds_read_b128 v[26:29], v21
	ds_read_b128 v[30:33], v21 offset:16
	ds_read_b128 v[34:37], v21 offset:32
	;; [unrolled: 1-line block ×4, first 2 shown]
	ds_read2_b64 v[46:49], v20 offset0:32 offset1:48
	s_waitcnt lgkmcnt(5)
	v_fmac_f64_e32 v[8:9], v[22:23], v[26:27]
	v_fmac_f64_e32 v[4:5], v[24:25], v[26:27]
	ds_read_b128 v[50:53], v21 offset:1040
	s_waitcnt lgkmcnt(2)
	v_fmac_f64_e32 v[2:3], v[22:23], v[42:43]
	v_fmac_f64_e32 v[0:1], v[24:25], v[42:43]
	ds_read2_b64 v[22:25], v20 offset0:64 offset1:80
	s_waitcnt lgkmcnt(2)
	v_fmac_f64_e32 v[8:9], v[46:47], v[28:29]
	v_fmac_f64_e32 v[4:5], v[48:49], v[28:29]
	ds_read2_b64 v[26:29], v20 offset0:96 offset1:112
	v_fmac_f64_e32 v[2:3], v[46:47], v[44:45]
	v_fmac_f64_e32 v[0:1], v[48:49], v[44:45]
	s_waitcnt lgkmcnt(1)
	v_fmac_f64_e32 v[8:9], v[22:23], v[30:31]
	v_fmac_f64_e32 v[4:5], v[24:25], v[30:31]
	ds_read_b128 v[42:45], v21 offset:1072
	v_fmac_f64_e32 v[2:3], v[22:23], v[50:51]
	v_fmac_f64_e32 v[0:1], v[24:25], v[50:51]
	s_waitcnt lgkmcnt(1)
	v_fmac_f64_e32 v[8:9], v[26:27], v[32:33]
	ds_read2_b64 v[22:25], v20 offset0:128 offset1:144
	v_fmac_f64_e32 v[4:5], v[28:29], v[32:33]
	v_fmac_f64_e32 v[2:3], v[26:27], v[52:53]
	;; [unrolled: 1-line block ×3, first 2 shown]
	ds_read_b128 v[26:29], v21 offset:1056
	ds_read2_b64 v[30:33], v20 offset0:160 offset1:176
	s_waitcnt lgkmcnt(2)
	v_fmac_f64_e32 v[8:9], v[22:23], v[34:35]
	v_fmac_f64_e32 v[4:5], v[24:25], v[34:35]
	s_add_u32 s10, s10, 8
	s_waitcnt lgkmcnt(1)
	v_fmac_f64_e32 v[2:3], v[22:23], v[26:27]
	v_fmac_f64_e32 v[0:1], v[24:25], v[26:27]
	ds_read2_b64 v[22:25], v20 offset0:192 offset1:208
	s_waitcnt lgkmcnt(1)
	v_fmac_f64_e32 v[2:3], v[30:31], v[28:29]
	v_fmac_f64_e32 v[0:1], v[32:33], v[28:29]
	ds_read2_b64 v[26:29], v20 offset0:224 offset1:240
	v_fmac_f64_e32 v[8:9], v[30:31], v[36:37]
	s_addc_u32 s11, s11, 0
	v_fmac_f64_e32 v[4:5], v[32:33], v[36:37]
	s_waitcnt lgkmcnt(1)
	v_fmac_f64_e32 v[8:9], v[22:23], v[38:39]
	v_fmac_f64_e32 v[2:3], v[22:23], v[42:43]
	v_mov_b64_e32 v[22:23], s[10:11]
	v_fmac_f64_e32 v[4:5], v[24:25], v[38:39]
	v_fmac_f64_e32 v[0:1], v[24:25], v[42:43]
	v_cmp_gt_i64_e32 vcc, s[8:9], v[22:23]
	s_waitcnt lgkmcnt(0)
	v_fmac_f64_e32 v[8:9], v[26:27], v[40:41]
	v_fmac_f64_e32 v[4:5], v[28:29], v[40:41]
	;; [unrolled: 1-line block ×4, first 2 shown]
	s_barrier
	s_cbranch_vccz .LBB193_12
.LBB193_6:                              ; =>This Inner Loop Header: Depth=1
	v_mov_b64_e32 v[22:23], 0
	s_and_saveexec_b64 s[12:13], s[0:1]
	s_cbranch_execz .LBB193_10
; %bb.7:                                ;   in Loop: Header=BB193_6 Depth=1
	v_add_u32_e32 v16, s10, v10
	v_cmp_gt_u64_e32 vcc, s[8:9], v[16:17]
	v_mov_b64_e32 v[22:23], 0
	s_and_saveexec_b64 s[14:15], vcc
	s_cbranch_execz .LBB193_9
; %bb.8:                                ;   in Loop: Header=BB193_6 Depth=1
	v_lshl_add_u64 v[22:23], v[16:17], 3, v[12:13]
	global_load_dwordx2 v[22:23], v[22:23], off
.LBB193_9:                              ;   in Loop: Header=BB193_6 Depth=1
	s_or_b64 exec, exec, s[14:15]
.LBB193_10:                             ;   in Loop: Header=BB193_6 Depth=1
	s_or_b64 exec, exec, s[12:13]
	v_add_u32_e32 v16, s10, v6
	v_cmp_gt_u64_e32 vcc, s[8:9], v[16:17]
	s_waitcnt vmcnt(0)
	ds_write_b64 v18, v[22:23]
	s_and_b64 s[14:15], vcc, s[2:3]
	v_mov_b64_e32 v[22:23], 0
	s_and_saveexec_b64 s[12:13], s[14:15]
	s_cbranch_execz .LBB193_5
; %bb.11:                               ;   in Loop: Header=BB193_6 Depth=1
	v_mad_u64_u32 v[22:23], s[14:15], s20, v16, 0
	v_mov_b32_e32 v24, v23
	v_mad_u64_u32 v[24:25], s[14:15], s21, v16, v[24:25]
	v_mov_b32_e32 v23, v24
	v_lshl_add_u64 v[22:23], v[22:23], 3, v[14:15]
	global_load_dwordx2 v[22:23], v[22:23], off
	s_branch .LBB193_5
.LBB193_12:
	s_mul_i32 s0, s31, s4
	s_mul_hi_u32 s1, s30, s4
	s_add_i32 s1, s1, s0
	s_mul_i32 s0, s30, s4
	s_lshl_b64 s[0:1], s[0:1], 3
	s_add_u32 s8, s26, s0
	v_add_u32_e32 v14, s25, v11
	s_addc_u32 s9, s27, s1
	v_add_u32_e32 v6, s5, v7
	v_ashrrev_i32_e32 v7, 31, v14
	v_mad_u64_u32 v[10:11], s[0:1], s28, v14, 0
	v_mul_lo_u32 v7, s28, v7
	v_mul_lo_u32 v12, s29, v14
	v_cmp_neq_f64_e64 s[0:1], s[6:7], 0
	v_add3_u32 v11, v11, v7, v12
	v_cmp_le_i32_e32 vcc, v14, v6
	s_waitcnt lgkmcnt(0)
	v_cmp_gt_i32_e64 s[2:3], s24, v6
	v_cndmask_b32_e64 v12, 0, 1, s[0:1]
	v_lshl_add_u64 v[10:11], v[10:11], 3, s[8:9]
	s_and_b64 s[10:11], vcc, s[2:3]
	v_ashrrev_i32_e32 v7, 31, v6
	v_cmp_ne_u32_e64 s[0:1], 1, v12
	s_and_saveexec_b64 s[4:5], s[10:11]
	s_cbranch_execz .LBB193_16
; %bb.13:
	v_mul_f64 v[8:9], s[34:35], v[8:9]
	s_and_b64 vcc, exec, s[0:1]
	v_lshl_add_u64 v[12:13], v[6:7], 3, v[10:11]
	s_cbranch_vccnz .LBB193_15
; %bb.14:
	global_load_dwordx2 v[16:17], v[12:13], off
	s_waitcnt vmcnt(0)
	v_fmac_f64_e32 v[8:9], s[6:7], v[16:17]
.LBB193_15:
	global_store_dwordx2 v[12:13], v[8:9], off
.LBB193_16:
	s_or_b64 exec, exec, s[4:5]
	v_add_u32_e32 v8, 16, v6
	v_cmp_le_i32_e32 vcc, v14, v8
	v_cmp_gt_i32_e64 s[4:5], s24, v8
	s_and_b64 s[12:13], vcc, s[4:5]
	v_ashrrev_i32_e32 v9, 31, v8
	s_and_saveexec_b64 s[10:11], s[12:13]
	s_cbranch_execz .LBB193_20
; %bb.17:
	v_mul_f64 v[4:5], s[34:35], v[4:5]
	s_and_b64 vcc, exec, s[0:1]
	v_lshl_add_u64 v[10:11], v[8:9], 3, v[10:11]
	s_cbranch_vccnz .LBB193_19
; %bb.18:
	global_load_dwordx2 v[12:13], v[10:11], off
	s_waitcnt vmcnt(0)
	v_fmac_f64_e32 v[4:5], s[6:7], v[12:13]
.LBB193_19:
	global_store_dwordx2 v[10:11], v[4:5], off
.LBB193_20:
	s_or_b64 exec, exec, s[10:11]
	v_add_u32_e32 v10, 16, v14
	v_ashrrev_i32_e32 v4, 31, v10
	v_mul_lo_u32 v11, s28, v4
	v_mul_lo_u32 v12, s29, v10
	v_mad_u64_u32 v[4:5], s[10:11], s28, v10, 0
	v_add3_u32 v5, v5, v11, v12
	v_cmp_le_i32_e32 vcc, v10, v6
	v_lshl_add_u64 v[4:5], v[4:5], 3, s[8:9]
	s_and_b64 s[8:9], vcc, s[2:3]
	s_and_saveexec_b64 s[2:3], s[8:9]
	s_cbranch_execz .LBB193_24
; %bb.21:
	v_mul_f64 v[2:3], s[34:35], v[2:3]
	s_and_b64 vcc, exec, s[0:1]
	v_lshl_add_u64 v[6:7], v[6:7], 3, v[4:5]
	s_cbranch_vccnz .LBB193_23
; %bb.22:
	global_load_dwordx2 v[12:13], v[6:7], off
	s_waitcnt vmcnt(0)
	v_fmac_f64_e32 v[2:3], s[6:7], v[12:13]
.LBB193_23:
	global_store_dwordx2 v[6:7], v[2:3], off
.LBB193_24:
	s_or_b64 exec, exec, s[2:3]
	v_cmp_le_i32_e32 vcc, v10, v8
	s_and_b64 s[2:3], vcc, s[4:5]
	s_and_saveexec_b64 s[4:5], s[2:3]
	s_cbranch_execz .LBB193_28
; %bb.25:
	v_mul_f64 v[0:1], s[34:35], v[0:1]
	s_and_b64 vcc, exec, s[0:1]
	v_lshl_add_u64 v[2:3], v[8:9], 3, v[4:5]
	s_cbranch_vccnz .LBB193_27
; %bb.26:
	global_load_dwordx2 v[4:5], v[2:3], off
	s_waitcnt vmcnt(0)
	v_fmac_f64_e32 v[0:1], s[6:7], v[4:5]
.LBB193_27:
	global_store_dwordx2 v[2:3], v[0:1], off
.LBB193_28:
	s_endpgm
	.section	.rodata,"a",@progbits
	.p2align	6, 0x0
	.amdhsa_kernel _ZL29rocblas_internal_gemmt_kernelIlLi16ELi32ELi8ELc84ELc84ELc76ELb0ELb0EdPKdS1_PdEviT_T9_T10_S3_lS5_S3_lS4_T11_S3_li
		.amdhsa_group_segment_fixed_size 4096
		.amdhsa_private_segment_fixed_size 0
		.amdhsa_kernarg_size 108
		.amdhsa_user_sgpr_count 2
		.amdhsa_user_sgpr_dispatch_ptr 0
		.amdhsa_user_sgpr_queue_ptr 0
		.amdhsa_user_sgpr_kernarg_segment_ptr 1
		.amdhsa_user_sgpr_dispatch_id 0
		.amdhsa_user_sgpr_kernarg_preload_length 0
		.amdhsa_user_sgpr_kernarg_preload_offset 0
		.amdhsa_user_sgpr_private_segment_size 0
		.amdhsa_uses_dynamic_stack 0
		.amdhsa_enable_private_segment 0
		.amdhsa_system_sgpr_workgroup_id_x 1
		.amdhsa_system_sgpr_workgroup_id_y 1
		.amdhsa_system_sgpr_workgroup_id_z 1
		.amdhsa_system_sgpr_workgroup_info 0
		.amdhsa_system_vgpr_workitem_id 1
		.amdhsa_next_free_vgpr 54
		.amdhsa_next_free_sgpr 36
		.amdhsa_accum_offset 56
		.amdhsa_reserve_vcc 1
		.amdhsa_float_round_mode_32 0
		.amdhsa_float_round_mode_16_64 0
		.amdhsa_float_denorm_mode_32 3
		.amdhsa_float_denorm_mode_16_64 3
		.amdhsa_dx10_clamp 1
		.amdhsa_ieee_mode 1
		.amdhsa_fp16_overflow 0
		.amdhsa_tg_split 0
		.amdhsa_exception_fp_ieee_invalid_op 0
		.amdhsa_exception_fp_denorm_src 0
		.amdhsa_exception_fp_ieee_div_zero 0
		.amdhsa_exception_fp_ieee_overflow 0
		.amdhsa_exception_fp_ieee_underflow 0
		.amdhsa_exception_fp_ieee_inexact 0
		.amdhsa_exception_int_div_zero 0
	.end_amdhsa_kernel
	.section	.text._ZL29rocblas_internal_gemmt_kernelIlLi16ELi32ELi8ELc84ELc84ELc76ELb0ELb0EdPKdS1_PdEviT_T9_T10_S3_lS5_S3_lS4_T11_S3_li,"axG",@progbits,_ZL29rocblas_internal_gemmt_kernelIlLi16ELi32ELi8ELc84ELc84ELc76ELb0ELb0EdPKdS1_PdEviT_T9_T10_S3_lS5_S3_lS4_T11_S3_li,comdat
.Lfunc_end193:
	.size	_ZL29rocblas_internal_gemmt_kernelIlLi16ELi32ELi8ELc84ELc84ELc76ELb0ELb0EdPKdS1_PdEviT_T9_T10_S3_lS5_S3_lS4_T11_S3_li, .Lfunc_end193-_ZL29rocblas_internal_gemmt_kernelIlLi16ELi32ELi8ELc84ELc84ELc76ELb0ELb0EdPKdS1_PdEviT_T9_T10_S3_lS5_S3_lS4_T11_S3_li
                                        ; -- End function
	.set _ZL29rocblas_internal_gemmt_kernelIlLi16ELi32ELi8ELc84ELc84ELc76ELb0ELb0EdPKdS1_PdEviT_T9_T10_S3_lS5_S3_lS4_T11_S3_li.num_vgpr, 54
	.set _ZL29rocblas_internal_gemmt_kernelIlLi16ELi32ELi8ELc84ELc84ELc76ELb0ELb0EdPKdS1_PdEviT_T9_T10_S3_lS5_S3_lS4_T11_S3_li.num_agpr, 0
	.set _ZL29rocblas_internal_gemmt_kernelIlLi16ELi32ELi8ELc84ELc84ELc76ELb0ELb0EdPKdS1_PdEviT_T9_T10_S3_lS5_S3_lS4_T11_S3_li.numbered_sgpr, 36
	.set _ZL29rocblas_internal_gemmt_kernelIlLi16ELi32ELi8ELc84ELc84ELc76ELb0ELb0EdPKdS1_PdEviT_T9_T10_S3_lS5_S3_lS4_T11_S3_li.num_named_barrier, 0
	.set _ZL29rocblas_internal_gemmt_kernelIlLi16ELi32ELi8ELc84ELc84ELc76ELb0ELb0EdPKdS1_PdEviT_T9_T10_S3_lS5_S3_lS4_T11_S3_li.private_seg_size, 0
	.set _ZL29rocblas_internal_gemmt_kernelIlLi16ELi32ELi8ELc84ELc84ELc76ELb0ELb0EdPKdS1_PdEviT_T9_T10_S3_lS5_S3_lS4_T11_S3_li.uses_vcc, 1
	.set _ZL29rocblas_internal_gemmt_kernelIlLi16ELi32ELi8ELc84ELc84ELc76ELb0ELb0EdPKdS1_PdEviT_T9_T10_S3_lS5_S3_lS4_T11_S3_li.uses_flat_scratch, 0
	.set _ZL29rocblas_internal_gemmt_kernelIlLi16ELi32ELi8ELc84ELc84ELc76ELb0ELb0EdPKdS1_PdEviT_T9_T10_S3_lS5_S3_lS4_T11_S3_li.has_dyn_sized_stack, 0
	.set _ZL29rocblas_internal_gemmt_kernelIlLi16ELi32ELi8ELc84ELc84ELc76ELb0ELb0EdPKdS1_PdEviT_T9_T10_S3_lS5_S3_lS4_T11_S3_li.has_recursion, 0
	.set _ZL29rocblas_internal_gemmt_kernelIlLi16ELi32ELi8ELc84ELc84ELc76ELb0ELb0EdPKdS1_PdEviT_T9_T10_S3_lS5_S3_lS4_T11_S3_li.has_indirect_call, 0
	.section	.AMDGPU.csdata,"",@progbits
; Kernel info:
; codeLenInByte = 1336
; TotalNumSgprs: 42
; NumVgprs: 54
; NumAgprs: 0
; TotalNumVgprs: 54
; ScratchSize: 0
; MemoryBound: 0
; FloatMode: 240
; IeeeMode: 1
; LDSByteSize: 4096 bytes/workgroup (compile time only)
; SGPRBlocks: 5
; VGPRBlocks: 6
; NumSGPRsForWavesPerEU: 42
; NumVGPRsForWavesPerEU: 54
; AccumOffset: 56
; Occupancy: 8
; WaveLimiterHint : 0
; COMPUTE_PGM_RSRC2:SCRATCH_EN: 0
; COMPUTE_PGM_RSRC2:USER_SGPR: 2
; COMPUTE_PGM_RSRC2:TRAP_HANDLER: 0
; COMPUTE_PGM_RSRC2:TGID_X_EN: 1
; COMPUTE_PGM_RSRC2:TGID_Y_EN: 1
; COMPUTE_PGM_RSRC2:TGID_Z_EN: 1
; COMPUTE_PGM_RSRC2:TIDIG_COMP_CNT: 1
; COMPUTE_PGM_RSRC3_GFX90A:ACCUM_OFFSET: 13
; COMPUTE_PGM_RSRC3_GFX90A:TG_SPLIT: 0
	.section	.text._ZL29rocblas_internal_gemmt_kernelIlLi16ELi32ELi8ELc84ELc67ELc76ELb0ELb0EdPKdS1_PdEviT_T9_T10_S3_lS5_S3_lS4_T11_S3_li,"axG",@progbits,_ZL29rocblas_internal_gemmt_kernelIlLi16ELi32ELi8ELc84ELc67ELc76ELb0ELb0EdPKdS1_PdEviT_T9_T10_S3_lS5_S3_lS4_T11_S3_li,comdat
	.globl	_ZL29rocblas_internal_gemmt_kernelIlLi16ELi32ELi8ELc84ELc67ELc76ELb0ELb0EdPKdS1_PdEviT_T9_T10_S3_lS5_S3_lS4_T11_S3_li ; -- Begin function _ZL29rocblas_internal_gemmt_kernelIlLi16ELi32ELi8ELc84ELc67ELc76ELb0ELb0EdPKdS1_PdEviT_T9_T10_S3_lS5_S3_lS4_T11_S3_li
	.p2align	8
	.type	_ZL29rocblas_internal_gemmt_kernelIlLi16ELi32ELi8ELc84ELc67ELc76ELb0ELb0EdPKdS1_PdEviT_T9_T10_S3_lS5_S3_lS4_T11_S3_li,@function
_ZL29rocblas_internal_gemmt_kernelIlLi16ELi32ELi8ELc84ELc67ELc76ELb0ELb0EdPKdS1_PdEviT_T9_T10_S3_lS5_S3_lS4_T11_S3_li: ; @_ZL29rocblas_internal_gemmt_kernelIlLi16ELi32ELi8ELc84ELc67ELc76ELb0ELb0EdPKdS1_PdEviT_T9_T10_S3_lS5_S3_lS4_T11_S3_li
; %bb.0:
	s_load_dwordx8 s[24:31], s[0:1], 0x48
	s_load_dwordx16 s[8:23], s[0:1], 0x8
	s_waitcnt lgkmcnt(0)
	s_load_dwordx2 s[6:7], s[24:25], 0x0
	s_load_dwordx2 s[34:35], s[10:11], 0x0
	s_waitcnt lgkmcnt(0)
	v_cmp_neq_f64_e64 s[10:11], s[6:7], 1.0
	s_and_b64 vcc, exec, s[10:11]
	s_cbranch_vccnz .LBB194_2
; %bb.1:
	s_cmp_lg_u64 s[8:9], 0
	s_cselect_b64 s[10:11], -1, 0
	v_cmp_neq_f64_e64 s[24:25], s[34:35], 0
	s_and_b64 s[10:11], s[10:11], s[24:25]
.LBB194_2:
	s_andn2_b64 vcc, exec, s[10:11]
	s_cbranch_vccnz .LBB194_28
; %bb.3:
	s_load_dword s24, s[0:1], 0x0
	s_lshl_b32 s5, s2, 5
	s_lshl_b32 s25, s3, 5
	v_cmp_eq_f64_e64 s[0:1], s[34:35], 0
	v_cmp_lt_i64_e64 s[2:3], s[8:9], 1
	s_or_b64 s[0:1], s[0:1], s[2:3]
	v_and_b32_e32 v7, 0x3ff, v0
	v_bfe_u32 v11, v0, 10, 10
	v_mov_b64_e32 v[8:9], 0
	s_and_b64 vcc, exec, s[0:1]
	v_mov_b64_e32 v[4:5], 0
	v_mov_b64_e32 v[2:3], 0
	;; [unrolled: 1-line block ×3, first 2 shown]
	s_cbranch_vccnz .LBB194_12
; %bb.4:
	s_mul_i32 s0, s23, s4
	s_mul_hi_u32 s1, s22, s4
	s_add_i32 s1, s1, s0
	s_mul_i32 s0, s22, s4
	s_lshl_b64 s[0:1], s[0:1], 3
	s_add_u32 s10, s18, s0
	s_addc_u32 s11, s19, s1
	s_mul_i32 s0, s17, s4
	s_mul_hi_u32 s1, s16, s4
	v_lshl_add_u32 v1, v11, 4, v7
	s_add_i32 s1, s1, s0
	s_mul_i32 s0, s16, s4
	v_lshrrev_b32_e32 v10, 5, v1
	v_lshrrev_b32_e32 v4, 3, v1
	v_and_b32_e32 v1, 31, v1
	s_lshl_b64 s[0:1], s[0:1], 3
	v_or_b32_e32 v2, s5, v1
	s_add_u32 s2, s12, s0
	v_lshlrev_b32_e32 v1, 3, v1
	s_addc_u32 s3, s13, s1
	s_waitcnt lgkmcnt(0)
	v_cmp_gt_i32_e64 s[0:1], s24, v2
	v_lshl_or_b32 v18, v10, 8, v1
	s_ashr_i32 s16, s5, 31
	v_mul_lo_u32 v1, s15, v2
	v_mad_u64_u32 v[2:3], s[12:13], s14, v2, 0
	v_and_b32_e32 v6, 7, v7
	s_mul_i32 s12, s14, s16
	v_add3_u32 v3, v3, s12, v1
	v_lshlrev_b32_e32 v1, 3, v6
	v_add_u32_e32 v0, s25, v4
	v_lshl_or_b32 v1, v4, 6, v1
	v_add_u32_e32 v19, 0x800, v1
	v_ashrrev_i32_e32 v1, 31, v0
	v_lshl_add_u64 v[12:13], v[2:3], 3, s[2:3]
	v_cmp_gt_i32_e64 s[2:3], s24, v0
	v_lshl_add_u64 v[14:15], v[0:1], 3, s[10:11]
	v_mov_b32_e32 v0, 0x800
	v_lshlrev_b32_e32 v20, 3, v7
	v_lshl_add_u32 v21, v11, 6, v0
	v_mov_b32_e32 v17, 0
	v_mov_b64_e32 v[0:1], 0
	s_mov_b64 s[10:11], 0
	v_mov_b64_e32 v[2:3], 0
	v_mov_b64_e32 v[4:5], 0
	v_mov_b64_e32 v[8:9], 0
	s_branch .LBB194_6
.LBB194_5:                              ;   in Loop: Header=BB194_6 Depth=1
	s_or_b64 exec, exec, s[12:13]
	s_waitcnt vmcnt(0)
	ds_write_b64 v19, v[22:23]
	s_waitcnt lgkmcnt(0)
	s_barrier
	ds_read2_b64 v[22:25], v20 offset1:16
	ds_read_b128 v[26:29], v21
	ds_read_b128 v[30:33], v21 offset:16
	ds_read_b128 v[34:37], v21 offset:32
	;; [unrolled: 1-line block ×4, first 2 shown]
	ds_read2_b64 v[46:49], v20 offset0:32 offset1:48
	s_waitcnt lgkmcnt(5)
	v_fmac_f64_e32 v[8:9], v[22:23], v[26:27]
	v_fmac_f64_e32 v[4:5], v[24:25], v[26:27]
	ds_read_b128 v[50:53], v21 offset:1040
	s_waitcnt lgkmcnt(2)
	v_fmac_f64_e32 v[2:3], v[22:23], v[42:43]
	v_fmac_f64_e32 v[0:1], v[24:25], v[42:43]
	ds_read2_b64 v[22:25], v20 offset0:64 offset1:80
	s_waitcnt lgkmcnt(2)
	v_fmac_f64_e32 v[8:9], v[46:47], v[28:29]
	v_fmac_f64_e32 v[4:5], v[48:49], v[28:29]
	ds_read2_b64 v[26:29], v20 offset0:96 offset1:112
	v_fmac_f64_e32 v[2:3], v[46:47], v[44:45]
	v_fmac_f64_e32 v[0:1], v[48:49], v[44:45]
	s_waitcnt lgkmcnt(1)
	v_fmac_f64_e32 v[8:9], v[22:23], v[30:31]
	v_fmac_f64_e32 v[4:5], v[24:25], v[30:31]
	ds_read_b128 v[42:45], v21 offset:1072
	v_fmac_f64_e32 v[2:3], v[22:23], v[50:51]
	v_fmac_f64_e32 v[0:1], v[24:25], v[50:51]
	s_waitcnt lgkmcnt(1)
	v_fmac_f64_e32 v[8:9], v[26:27], v[32:33]
	ds_read2_b64 v[22:25], v20 offset0:128 offset1:144
	v_fmac_f64_e32 v[4:5], v[28:29], v[32:33]
	v_fmac_f64_e32 v[2:3], v[26:27], v[52:53]
	v_fmac_f64_e32 v[0:1], v[28:29], v[52:53]
	ds_read_b128 v[26:29], v21 offset:1056
	ds_read2_b64 v[30:33], v20 offset0:160 offset1:176
	s_waitcnt lgkmcnt(2)
	v_fmac_f64_e32 v[8:9], v[22:23], v[34:35]
	v_fmac_f64_e32 v[4:5], v[24:25], v[34:35]
	s_add_u32 s10, s10, 8
	s_waitcnt lgkmcnt(1)
	v_fmac_f64_e32 v[2:3], v[22:23], v[26:27]
	v_fmac_f64_e32 v[0:1], v[24:25], v[26:27]
	ds_read2_b64 v[22:25], v20 offset0:192 offset1:208
	s_waitcnt lgkmcnt(1)
	v_fmac_f64_e32 v[2:3], v[30:31], v[28:29]
	v_fmac_f64_e32 v[0:1], v[32:33], v[28:29]
	ds_read2_b64 v[26:29], v20 offset0:224 offset1:240
	v_fmac_f64_e32 v[8:9], v[30:31], v[36:37]
	s_addc_u32 s11, s11, 0
	v_fmac_f64_e32 v[4:5], v[32:33], v[36:37]
	s_waitcnt lgkmcnt(1)
	v_fmac_f64_e32 v[8:9], v[22:23], v[38:39]
	v_fmac_f64_e32 v[2:3], v[22:23], v[42:43]
	v_mov_b64_e32 v[22:23], s[10:11]
	v_fmac_f64_e32 v[4:5], v[24:25], v[38:39]
	v_fmac_f64_e32 v[0:1], v[24:25], v[42:43]
	v_cmp_gt_i64_e32 vcc, s[8:9], v[22:23]
	s_waitcnt lgkmcnt(0)
	v_fmac_f64_e32 v[8:9], v[26:27], v[40:41]
	v_fmac_f64_e32 v[4:5], v[28:29], v[40:41]
	;; [unrolled: 1-line block ×4, first 2 shown]
	s_barrier
	s_cbranch_vccz .LBB194_12
.LBB194_6:                              ; =>This Inner Loop Header: Depth=1
	v_mov_b64_e32 v[22:23], 0
	s_and_saveexec_b64 s[12:13], s[0:1]
	s_cbranch_execz .LBB194_10
; %bb.7:                                ;   in Loop: Header=BB194_6 Depth=1
	v_add_u32_e32 v16, s10, v10
	v_cmp_gt_u64_e32 vcc, s[8:9], v[16:17]
	v_mov_b64_e32 v[22:23], 0
	s_and_saveexec_b64 s[14:15], vcc
	s_cbranch_execz .LBB194_9
; %bb.8:                                ;   in Loop: Header=BB194_6 Depth=1
	v_lshl_add_u64 v[22:23], v[16:17], 3, v[12:13]
	global_load_dwordx2 v[22:23], v[22:23], off
.LBB194_9:                              ;   in Loop: Header=BB194_6 Depth=1
	s_or_b64 exec, exec, s[14:15]
.LBB194_10:                             ;   in Loop: Header=BB194_6 Depth=1
	s_or_b64 exec, exec, s[12:13]
	v_add_u32_e32 v16, s10, v6
	v_cmp_gt_u64_e32 vcc, s[8:9], v[16:17]
	s_waitcnt vmcnt(0)
	ds_write_b64 v18, v[22:23]
	s_and_b64 s[14:15], vcc, s[2:3]
	v_mov_b64_e32 v[22:23], 0
	s_and_saveexec_b64 s[12:13], s[14:15]
	s_cbranch_execz .LBB194_5
; %bb.11:                               ;   in Loop: Header=BB194_6 Depth=1
	v_mad_u64_u32 v[22:23], s[14:15], s20, v16, 0
	v_mov_b32_e32 v24, v23
	v_mad_u64_u32 v[24:25], s[14:15], s21, v16, v[24:25]
	v_mov_b32_e32 v23, v24
	v_lshl_add_u64 v[22:23], v[22:23], 3, v[14:15]
	global_load_dwordx2 v[22:23], v[22:23], off
	s_branch .LBB194_5
.LBB194_12:
	s_mul_i32 s0, s31, s4
	s_mul_hi_u32 s1, s30, s4
	s_add_i32 s1, s1, s0
	s_mul_i32 s0, s30, s4
	s_lshl_b64 s[0:1], s[0:1], 3
	s_add_u32 s8, s26, s0
	v_add_u32_e32 v14, s25, v11
	s_addc_u32 s9, s27, s1
	v_add_u32_e32 v6, s5, v7
	v_ashrrev_i32_e32 v7, 31, v14
	v_mad_u64_u32 v[10:11], s[0:1], s28, v14, 0
	v_mul_lo_u32 v7, s28, v7
	v_mul_lo_u32 v12, s29, v14
	v_cmp_neq_f64_e64 s[0:1], s[6:7], 0
	v_add3_u32 v11, v11, v7, v12
	v_cmp_le_i32_e32 vcc, v14, v6
	s_waitcnt lgkmcnt(0)
	v_cmp_gt_i32_e64 s[2:3], s24, v6
	v_cndmask_b32_e64 v12, 0, 1, s[0:1]
	v_lshl_add_u64 v[10:11], v[10:11], 3, s[8:9]
	s_and_b64 s[10:11], vcc, s[2:3]
	v_ashrrev_i32_e32 v7, 31, v6
	v_cmp_ne_u32_e64 s[0:1], 1, v12
	s_and_saveexec_b64 s[4:5], s[10:11]
	s_cbranch_execz .LBB194_16
; %bb.13:
	v_mul_f64 v[8:9], s[34:35], v[8:9]
	s_and_b64 vcc, exec, s[0:1]
	v_lshl_add_u64 v[12:13], v[6:7], 3, v[10:11]
	s_cbranch_vccnz .LBB194_15
; %bb.14:
	global_load_dwordx2 v[16:17], v[12:13], off
	s_waitcnt vmcnt(0)
	v_fmac_f64_e32 v[8:9], s[6:7], v[16:17]
.LBB194_15:
	global_store_dwordx2 v[12:13], v[8:9], off
.LBB194_16:
	s_or_b64 exec, exec, s[4:5]
	v_add_u32_e32 v8, 16, v6
	v_cmp_le_i32_e32 vcc, v14, v8
	v_cmp_gt_i32_e64 s[4:5], s24, v8
	s_and_b64 s[12:13], vcc, s[4:5]
	v_ashrrev_i32_e32 v9, 31, v8
	s_and_saveexec_b64 s[10:11], s[12:13]
	s_cbranch_execz .LBB194_20
; %bb.17:
	v_mul_f64 v[4:5], s[34:35], v[4:5]
	s_and_b64 vcc, exec, s[0:1]
	v_lshl_add_u64 v[10:11], v[8:9], 3, v[10:11]
	s_cbranch_vccnz .LBB194_19
; %bb.18:
	global_load_dwordx2 v[12:13], v[10:11], off
	s_waitcnt vmcnt(0)
	v_fmac_f64_e32 v[4:5], s[6:7], v[12:13]
.LBB194_19:
	global_store_dwordx2 v[10:11], v[4:5], off
.LBB194_20:
	s_or_b64 exec, exec, s[10:11]
	v_add_u32_e32 v10, 16, v14
	v_ashrrev_i32_e32 v4, 31, v10
	v_mul_lo_u32 v11, s28, v4
	v_mul_lo_u32 v12, s29, v10
	v_mad_u64_u32 v[4:5], s[10:11], s28, v10, 0
	v_add3_u32 v5, v5, v11, v12
	v_cmp_le_i32_e32 vcc, v10, v6
	v_lshl_add_u64 v[4:5], v[4:5], 3, s[8:9]
	s_and_b64 s[8:9], vcc, s[2:3]
	s_and_saveexec_b64 s[2:3], s[8:9]
	s_cbranch_execz .LBB194_24
; %bb.21:
	v_mul_f64 v[2:3], s[34:35], v[2:3]
	s_and_b64 vcc, exec, s[0:1]
	v_lshl_add_u64 v[6:7], v[6:7], 3, v[4:5]
	s_cbranch_vccnz .LBB194_23
; %bb.22:
	global_load_dwordx2 v[12:13], v[6:7], off
	s_waitcnt vmcnt(0)
	v_fmac_f64_e32 v[2:3], s[6:7], v[12:13]
.LBB194_23:
	global_store_dwordx2 v[6:7], v[2:3], off
.LBB194_24:
	s_or_b64 exec, exec, s[2:3]
	v_cmp_le_i32_e32 vcc, v10, v8
	s_and_b64 s[2:3], vcc, s[4:5]
	s_and_saveexec_b64 s[4:5], s[2:3]
	s_cbranch_execz .LBB194_28
; %bb.25:
	v_mul_f64 v[0:1], s[34:35], v[0:1]
	s_and_b64 vcc, exec, s[0:1]
	v_lshl_add_u64 v[2:3], v[8:9], 3, v[4:5]
	s_cbranch_vccnz .LBB194_27
; %bb.26:
	global_load_dwordx2 v[4:5], v[2:3], off
	s_waitcnt vmcnt(0)
	v_fmac_f64_e32 v[0:1], s[6:7], v[4:5]
.LBB194_27:
	global_store_dwordx2 v[2:3], v[0:1], off
.LBB194_28:
	s_endpgm
	.section	.rodata,"a",@progbits
	.p2align	6, 0x0
	.amdhsa_kernel _ZL29rocblas_internal_gemmt_kernelIlLi16ELi32ELi8ELc84ELc67ELc76ELb0ELb0EdPKdS1_PdEviT_T9_T10_S3_lS5_S3_lS4_T11_S3_li
		.amdhsa_group_segment_fixed_size 4096
		.amdhsa_private_segment_fixed_size 0
		.amdhsa_kernarg_size 108
		.amdhsa_user_sgpr_count 2
		.amdhsa_user_sgpr_dispatch_ptr 0
		.amdhsa_user_sgpr_queue_ptr 0
		.amdhsa_user_sgpr_kernarg_segment_ptr 1
		.amdhsa_user_sgpr_dispatch_id 0
		.amdhsa_user_sgpr_kernarg_preload_length 0
		.amdhsa_user_sgpr_kernarg_preload_offset 0
		.amdhsa_user_sgpr_private_segment_size 0
		.amdhsa_uses_dynamic_stack 0
		.amdhsa_enable_private_segment 0
		.amdhsa_system_sgpr_workgroup_id_x 1
		.amdhsa_system_sgpr_workgroup_id_y 1
		.amdhsa_system_sgpr_workgroup_id_z 1
		.amdhsa_system_sgpr_workgroup_info 0
		.amdhsa_system_vgpr_workitem_id 1
		.amdhsa_next_free_vgpr 54
		.amdhsa_next_free_sgpr 36
		.amdhsa_accum_offset 56
		.amdhsa_reserve_vcc 1
		.amdhsa_float_round_mode_32 0
		.amdhsa_float_round_mode_16_64 0
		.amdhsa_float_denorm_mode_32 3
		.amdhsa_float_denorm_mode_16_64 3
		.amdhsa_dx10_clamp 1
		.amdhsa_ieee_mode 1
		.amdhsa_fp16_overflow 0
		.amdhsa_tg_split 0
		.amdhsa_exception_fp_ieee_invalid_op 0
		.amdhsa_exception_fp_denorm_src 0
		.amdhsa_exception_fp_ieee_div_zero 0
		.amdhsa_exception_fp_ieee_overflow 0
		.amdhsa_exception_fp_ieee_underflow 0
		.amdhsa_exception_fp_ieee_inexact 0
		.amdhsa_exception_int_div_zero 0
	.end_amdhsa_kernel
	.section	.text._ZL29rocblas_internal_gemmt_kernelIlLi16ELi32ELi8ELc84ELc67ELc76ELb0ELb0EdPKdS1_PdEviT_T9_T10_S3_lS5_S3_lS4_T11_S3_li,"axG",@progbits,_ZL29rocblas_internal_gemmt_kernelIlLi16ELi32ELi8ELc84ELc67ELc76ELb0ELb0EdPKdS1_PdEviT_T9_T10_S3_lS5_S3_lS4_T11_S3_li,comdat
.Lfunc_end194:
	.size	_ZL29rocblas_internal_gemmt_kernelIlLi16ELi32ELi8ELc84ELc67ELc76ELb0ELb0EdPKdS1_PdEviT_T9_T10_S3_lS5_S3_lS4_T11_S3_li, .Lfunc_end194-_ZL29rocblas_internal_gemmt_kernelIlLi16ELi32ELi8ELc84ELc67ELc76ELb0ELb0EdPKdS1_PdEviT_T9_T10_S3_lS5_S3_lS4_T11_S3_li
                                        ; -- End function
	.set _ZL29rocblas_internal_gemmt_kernelIlLi16ELi32ELi8ELc84ELc67ELc76ELb0ELb0EdPKdS1_PdEviT_T9_T10_S3_lS5_S3_lS4_T11_S3_li.num_vgpr, 54
	.set _ZL29rocblas_internal_gemmt_kernelIlLi16ELi32ELi8ELc84ELc67ELc76ELb0ELb0EdPKdS1_PdEviT_T9_T10_S3_lS5_S3_lS4_T11_S3_li.num_agpr, 0
	.set _ZL29rocblas_internal_gemmt_kernelIlLi16ELi32ELi8ELc84ELc67ELc76ELb0ELb0EdPKdS1_PdEviT_T9_T10_S3_lS5_S3_lS4_T11_S3_li.numbered_sgpr, 36
	.set _ZL29rocblas_internal_gemmt_kernelIlLi16ELi32ELi8ELc84ELc67ELc76ELb0ELb0EdPKdS1_PdEviT_T9_T10_S3_lS5_S3_lS4_T11_S3_li.num_named_barrier, 0
	.set _ZL29rocblas_internal_gemmt_kernelIlLi16ELi32ELi8ELc84ELc67ELc76ELb0ELb0EdPKdS1_PdEviT_T9_T10_S3_lS5_S3_lS4_T11_S3_li.private_seg_size, 0
	.set _ZL29rocblas_internal_gemmt_kernelIlLi16ELi32ELi8ELc84ELc67ELc76ELb0ELb0EdPKdS1_PdEviT_T9_T10_S3_lS5_S3_lS4_T11_S3_li.uses_vcc, 1
	.set _ZL29rocblas_internal_gemmt_kernelIlLi16ELi32ELi8ELc84ELc67ELc76ELb0ELb0EdPKdS1_PdEviT_T9_T10_S3_lS5_S3_lS4_T11_S3_li.uses_flat_scratch, 0
	.set _ZL29rocblas_internal_gemmt_kernelIlLi16ELi32ELi8ELc84ELc67ELc76ELb0ELb0EdPKdS1_PdEviT_T9_T10_S3_lS5_S3_lS4_T11_S3_li.has_dyn_sized_stack, 0
	.set _ZL29rocblas_internal_gemmt_kernelIlLi16ELi32ELi8ELc84ELc67ELc76ELb0ELb0EdPKdS1_PdEviT_T9_T10_S3_lS5_S3_lS4_T11_S3_li.has_recursion, 0
	.set _ZL29rocblas_internal_gemmt_kernelIlLi16ELi32ELi8ELc84ELc67ELc76ELb0ELb0EdPKdS1_PdEviT_T9_T10_S3_lS5_S3_lS4_T11_S3_li.has_indirect_call, 0
	.section	.AMDGPU.csdata,"",@progbits
; Kernel info:
; codeLenInByte = 1336
; TotalNumSgprs: 42
; NumVgprs: 54
; NumAgprs: 0
; TotalNumVgprs: 54
; ScratchSize: 0
; MemoryBound: 0
; FloatMode: 240
; IeeeMode: 1
; LDSByteSize: 4096 bytes/workgroup (compile time only)
; SGPRBlocks: 5
; VGPRBlocks: 6
; NumSGPRsForWavesPerEU: 42
; NumVGPRsForWavesPerEU: 54
; AccumOffset: 56
; Occupancy: 8
; WaveLimiterHint : 0
; COMPUTE_PGM_RSRC2:SCRATCH_EN: 0
; COMPUTE_PGM_RSRC2:USER_SGPR: 2
; COMPUTE_PGM_RSRC2:TRAP_HANDLER: 0
; COMPUTE_PGM_RSRC2:TGID_X_EN: 1
; COMPUTE_PGM_RSRC2:TGID_Y_EN: 1
; COMPUTE_PGM_RSRC2:TGID_Z_EN: 1
; COMPUTE_PGM_RSRC2:TIDIG_COMP_CNT: 1
; COMPUTE_PGM_RSRC3_GFX90A:ACCUM_OFFSET: 13
; COMPUTE_PGM_RSRC3_GFX90A:TG_SPLIT: 0
	.section	.text._ZL29rocblas_internal_gemmt_kernelIlLi16ELi32ELi8ELc67ELc78ELc76ELb0ELb0EdPKdS1_PdEviT_T9_T10_S3_lS5_S3_lS4_T11_S3_li,"axG",@progbits,_ZL29rocblas_internal_gemmt_kernelIlLi16ELi32ELi8ELc67ELc78ELc76ELb0ELb0EdPKdS1_PdEviT_T9_T10_S3_lS5_S3_lS4_T11_S3_li,comdat
	.globl	_ZL29rocblas_internal_gemmt_kernelIlLi16ELi32ELi8ELc67ELc78ELc76ELb0ELb0EdPKdS1_PdEviT_T9_T10_S3_lS5_S3_lS4_T11_S3_li ; -- Begin function _ZL29rocblas_internal_gemmt_kernelIlLi16ELi32ELi8ELc67ELc78ELc76ELb0ELb0EdPKdS1_PdEviT_T9_T10_S3_lS5_S3_lS4_T11_S3_li
	.p2align	8
	.type	_ZL29rocblas_internal_gemmt_kernelIlLi16ELi32ELi8ELc67ELc78ELc76ELb0ELb0EdPKdS1_PdEviT_T9_T10_S3_lS5_S3_lS4_T11_S3_li,@function
_ZL29rocblas_internal_gemmt_kernelIlLi16ELi32ELi8ELc67ELc78ELc76ELb0ELb0EdPKdS1_PdEviT_T9_T10_S3_lS5_S3_lS4_T11_S3_li: ; @_ZL29rocblas_internal_gemmt_kernelIlLi16ELi32ELi8ELc67ELc78ELc76ELb0ELb0EdPKdS1_PdEviT_T9_T10_S3_lS5_S3_lS4_T11_S3_li
; %bb.0:
	s_load_dwordx8 s[24:31], s[0:1], 0x48
	s_load_dwordx16 s[8:23], s[0:1], 0x8
	s_waitcnt lgkmcnt(0)
	s_load_dwordx2 s[6:7], s[24:25], 0x0
	s_load_dwordx2 s[34:35], s[10:11], 0x0
	s_waitcnt lgkmcnt(0)
	v_cmp_neq_f64_e64 s[10:11], s[6:7], 1.0
	s_and_b64 vcc, exec, s[10:11]
	s_cbranch_vccnz .LBB195_2
; %bb.1:
	s_cmp_lg_u64 s[8:9], 0
	s_cselect_b64 s[10:11], -1, 0
	v_cmp_neq_f64_e64 s[24:25], s[34:35], 0
	s_and_b64 s[10:11], s[10:11], s[24:25]
.LBB195_2:
	s_andn2_b64 vcc, exec, s[10:11]
	s_cbranch_vccnz .LBB195_28
; %bb.3:
	s_load_dword s24, s[0:1], 0x0
	s_lshl_b32 s5, s2, 5
	s_lshl_b32 s25, s3, 5
	v_cmp_eq_f64_e64 s[0:1], s[34:35], 0
	v_cmp_lt_i64_e64 s[2:3], s[8:9], 1
	s_or_b64 s[0:1], s[0:1], s[2:3]
	v_and_b32_e32 v7, 0x3ff, v0
	v_bfe_u32 v9, v0, 10, 10
	v_mov_b64_e32 v[10:11], 0
	s_and_b64 vcc, exec, s[0:1]
	v_mov_b64_e32 v[4:5], 0
	v_mov_b64_e32 v[2:3], 0
	;; [unrolled: 1-line block ×3, first 2 shown]
	s_cbranch_vccnz .LBB195_12
; %bb.4:
	s_mul_i32 s0, s23, s4
	s_mul_hi_u32 s1, s22, s4
	s_add_i32 s1, s1, s0
	s_mul_i32 s0, s22, s4
	s_lshl_b64 s[0:1], s[0:1], 3
	s_add_u32 s10, s18, s0
	s_addc_u32 s11, s19, s1
	s_mul_i32 s0, s17, s4
	s_mul_hi_u32 s1, s16, s4
	v_lshl_add_u32 v0, v9, 4, v7
	s_add_i32 s1, s1, s0
	s_mul_i32 s0, s16, s4
	v_lshrrev_b32_e32 v8, 5, v0
	v_lshrrev_b32_e32 v2, 3, v0
	v_and_b32_e32 v0, 31, v0
	s_lshl_b64 s[0:1], s[0:1], 3
	v_or_b32_e32 v1, s5, v0
	s_add_u32 s2, s12, s0
	v_lshlrev_b32_e32 v0, 3, v0
	s_addc_u32 s3, s13, s1
	s_waitcnt lgkmcnt(0)
	v_cmp_gt_i32_e64 s[0:1], s24, v1
	v_lshl_or_b32 v18, v8, 8, v0
	s_ashr_i32 s16, s5, 31
	v_mul_lo_u32 v4, s15, v1
	v_mad_u64_u32 v[0:1], s[12:13], s14, v1, 0
	s_mul_i32 s12, s14, s16
	v_and_b32_e32 v6, 7, v7
	v_add3_u32 v1, v1, s12, v4
	v_lshl_add_u64 v[12:13], v[0:1], 3, s[2:3]
	v_lshlrev_b32_e32 v0, 3, v6
	v_add_u32_e32 v3, s25, v2
	v_lshl_or_b32 v0, v2, 6, v0
	v_add_u32_e32 v19, 0x800, v0
	v_ashrrev_i32_e32 v0, 31, v3
	v_mul_lo_u32 v2, s20, v0
	v_mul_lo_u32 v4, s21, v3
	v_mad_u64_u32 v[0:1], s[12:13], s20, v3, 0
	v_add3_u32 v1, v1, v2, v4
	v_lshl_add_u64 v[14:15], v[0:1], 3, s[10:11]
	v_mov_b32_e32 v0, 0x800
	v_cmp_gt_i32_e64 s[2:3], s24, v3
	v_lshlrev_b32_e32 v20, 3, v7
	v_lshl_add_u32 v21, v9, 6, v0
	v_mov_b32_e32 v17, 0
	v_mov_b64_e32 v[0:1], 0
	s_mov_b64 s[10:11], 0
	v_mov_b64_e32 v[2:3], 0
	v_mov_b64_e32 v[4:5], 0
	;; [unrolled: 1-line block ×3, first 2 shown]
	s_branch .LBB195_6
.LBB195_5:                              ;   in Loop: Header=BB195_6 Depth=1
	s_or_b64 exec, exec, s[12:13]
	s_waitcnt vmcnt(0)
	ds_write_b64 v19, v[22:23]
	s_waitcnt lgkmcnt(0)
	s_barrier
	ds_read2_b64 v[22:25], v20 offset1:16
	ds_read_b128 v[26:29], v21
	ds_read_b128 v[30:33], v21 offset:16
	ds_read_b128 v[34:37], v21 offset:32
	;; [unrolled: 1-line block ×4, first 2 shown]
	ds_read2_b64 v[46:49], v20 offset0:32 offset1:48
	s_waitcnt lgkmcnt(5)
	v_fmac_f64_e32 v[10:11], v[22:23], v[26:27]
	v_fmac_f64_e32 v[4:5], v[24:25], v[26:27]
	ds_read_b128 v[50:53], v21 offset:1040
	s_waitcnt lgkmcnt(2)
	v_fmac_f64_e32 v[2:3], v[22:23], v[42:43]
	v_fmac_f64_e32 v[0:1], v[24:25], v[42:43]
	ds_read2_b64 v[22:25], v20 offset0:64 offset1:80
	s_waitcnt lgkmcnt(2)
	v_fmac_f64_e32 v[10:11], v[46:47], v[28:29]
	v_fmac_f64_e32 v[4:5], v[48:49], v[28:29]
	ds_read2_b64 v[26:29], v20 offset0:96 offset1:112
	v_fmac_f64_e32 v[2:3], v[46:47], v[44:45]
	v_fmac_f64_e32 v[0:1], v[48:49], v[44:45]
	s_waitcnt lgkmcnt(1)
	v_fmac_f64_e32 v[10:11], v[22:23], v[30:31]
	v_fmac_f64_e32 v[4:5], v[24:25], v[30:31]
	ds_read_b128 v[42:45], v21 offset:1072
	v_fmac_f64_e32 v[2:3], v[22:23], v[50:51]
	v_fmac_f64_e32 v[0:1], v[24:25], v[50:51]
	s_waitcnt lgkmcnt(1)
	v_fmac_f64_e32 v[10:11], v[26:27], v[32:33]
	ds_read2_b64 v[22:25], v20 offset0:128 offset1:144
	v_fmac_f64_e32 v[4:5], v[28:29], v[32:33]
	v_fmac_f64_e32 v[2:3], v[26:27], v[52:53]
	v_fmac_f64_e32 v[0:1], v[28:29], v[52:53]
	ds_read_b128 v[26:29], v21 offset:1056
	ds_read2_b64 v[30:33], v20 offset0:160 offset1:176
	s_waitcnt lgkmcnt(2)
	v_fmac_f64_e32 v[10:11], v[22:23], v[34:35]
	v_fmac_f64_e32 v[4:5], v[24:25], v[34:35]
	s_add_u32 s10, s10, 8
	s_waitcnt lgkmcnt(1)
	v_fmac_f64_e32 v[2:3], v[22:23], v[26:27]
	v_fmac_f64_e32 v[0:1], v[24:25], v[26:27]
	ds_read2_b64 v[22:25], v20 offset0:192 offset1:208
	s_waitcnt lgkmcnt(1)
	v_fmac_f64_e32 v[2:3], v[30:31], v[28:29]
	v_fmac_f64_e32 v[0:1], v[32:33], v[28:29]
	ds_read2_b64 v[26:29], v20 offset0:224 offset1:240
	v_fmac_f64_e32 v[10:11], v[30:31], v[36:37]
	s_addc_u32 s11, s11, 0
	v_fmac_f64_e32 v[4:5], v[32:33], v[36:37]
	s_waitcnt lgkmcnt(1)
	v_fmac_f64_e32 v[10:11], v[22:23], v[38:39]
	v_fmac_f64_e32 v[2:3], v[22:23], v[42:43]
	v_mov_b64_e32 v[22:23], s[10:11]
	v_fmac_f64_e32 v[4:5], v[24:25], v[38:39]
	v_fmac_f64_e32 v[0:1], v[24:25], v[42:43]
	v_cmp_gt_i64_e32 vcc, s[8:9], v[22:23]
	s_waitcnt lgkmcnt(0)
	v_fmac_f64_e32 v[10:11], v[26:27], v[40:41]
	v_fmac_f64_e32 v[4:5], v[28:29], v[40:41]
	v_fmac_f64_e32 v[2:3], v[26:27], v[44:45]
	v_fmac_f64_e32 v[0:1], v[28:29], v[44:45]
	s_barrier
	s_cbranch_vccz .LBB195_12
.LBB195_6:                              ; =>This Inner Loop Header: Depth=1
	v_mov_b64_e32 v[22:23], 0
	s_and_saveexec_b64 s[12:13], s[0:1]
	s_cbranch_execz .LBB195_10
; %bb.7:                                ;   in Loop: Header=BB195_6 Depth=1
	v_add_u32_e32 v16, s10, v8
	v_cmp_gt_u64_e32 vcc, s[8:9], v[16:17]
	v_mov_b64_e32 v[22:23], 0
	s_and_saveexec_b64 s[14:15], vcc
	s_cbranch_execz .LBB195_9
; %bb.8:                                ;   in Loop: Header=BB195_6 Depth=1
	v_lshl_add_u64 v[22:23], v[16:17], 3, v[12:13]
	global_load_dwordx2 v[22:23], v[22:23], off
.LBB195_9:                              ;   in Loop: Header=BB195_6 Depth=1
	s_or_b64 exec, exec, s[14:15]
.LBB195_10:                             ;   in Loop: Header=BB195_6 Depth=1
	s_or_b64 exec, exec, s[12:13]
	v_add_u32_e32 v16, s10, v6
	v_cmp_gt_u64_e32 vcc, s[8:9], v[16:17]
	s_waitcnt vmcnt(0)
	ds_write_b64 v18, v[22:23]
	s_and_b64 s[14:15], vcc, s[2:3]
	v_mov_b64_e32 v[22:23], 0
	s_and_saveexec_b64 s[12:13], s[14:15]
	s_cbranch_execz .LBB195_5
; %bb.11:                               ;   in Loop: Header=BB195_6 Depth=1
	v_lshl_add_u64 v[22:23], v[16:17], 3, v[14:15]
	global_load_dwordx2 v[22:23], v[22:23], off
	s_branch .LBB195_5
.LBB195_12:
	s_mul_i32 s0, s31, s4
	s_mul_hi_u32 s1, s30, s4
	s_add_i32 s1, s1, s0
	s_mul_i32 s0, s30, s4
	s_lshl_b64 s[0:1], s[0:1], 3
	v_add_u32_e32 v14, s25, v9
	s_add_u32 s8, s26, s0
	v_add_u32_e32 v6, s5, v7
	v_ashrrev_i32_e32 v7, 31, v14
	s_addc_u32 s9, s27, s1
	v_mul_lo_u32 v7, s28, v7
	v_mul_lo_u32 v12, s29, v14
	v_mad_u64_u32 v[8:9], s[0:1], s28, v14, 0
	v_add3_u32 v9, v9, v7, v12
	v_cmp_neq_f64_e64 s[0:1], s[6:7], 0
	v_lshl_add_u64 v[12:13], v[8:9], 3, s[8:9]
	v_cmp_le_i32_e32 vcc, v14, v6
	s_waitcnt lgkmcnt(0)
	v_cmp_gt_i32_e64 s[2:3], s24, v6
	v_cndmask_b32_e64 v8, 0, 1, s[0:1]
	s_and_b64 s[10:11], vcc, s[2:3]
	v_ashrrev_i32_e32 v7, 31, v6
	v_cmp_ne_u32_e64 s[0:1], 1, v8
	s_and_saveexec_b64 s[4:5], s[10:11]
	s_cbranch_execz .LBB195_16
; %bb.13:
	v_mul_f64 v[8:9], s[34:35], v[10:11]
	s_and_b64 vcc, exec, s[0:1]
	v_lshl_add_u64 v[10:11], v[6:7], 3, v[12:13]
	s_cbranch_vccnz .LBB195_15
; %bb.14:
	global_load_dwordx2 v[16:17], v[10:11], off
	s_waitcnt vmcnt(0)
	v_fmac_f64_e32 v[8:9], s[6:7], v[16:17]
.LBB195_15:
	global_store_dwordx2 v[10:11], v[8:9], off
.LBB195_16:
	s_or_b64 exec, exec, s[4:5]
	v_add_u32_e32 v8, 16, v6
	v_cmp_le_i32_e32 vcc, v14, v8
	v_cmp_gt_i32_e64 s[4:5], s24, v8
	s_and_b64 s[12:13], vcc, s[4:5]
	v_ashrrev_i32_e32 v9, 31, v8
	s_and_saveexec_b64 s[10:11], s[12:13]
	s_cbranch_execz .LBB195_20
; %bb.17:
	v_mul_f64 v[4:5], s[34:35], v[4:5]
	s_and_b64 vcc, exec, s[0:1]
	v_lshl_add_u64 v[10:11], v[8:9], 3, v[12:13]
	s_cbranch_vccnz .LBB195_19
; %bb.18:
	global_load_dwordx2 v[12:13], v[10:11], off
	s_waitcnt vmcnt(0)
	v_fmac_f64_e32 v[4:5], s[6:7], v[12:13]
.LBB195_19:
	global_store_dwordx2 v[10:11], v[4:5], off
.LBB195_20:
	s_or_b64 exec, exec, s[10:11]
	v_add_u32_e32 v10, 16, v14
	v_ashrrev_i32_e32 v4, 31, v10
	v_mul_lo_u32 v11, s28, v4
	v_mul_lo_u32 v12, s29, v10
	v_mad_u64_u32 v[4:5], s[10:11], s28, v10, 0
	v_add3_u32 v5, v5, v11, v12
	v_cmp_le_i32_e32 vcc, v10, v6
	v_lshl_add_u64 v[4:5], v[4:5], 3, s[8:9]
	s_and_b64 s[8:9], vcc, s[2:3]
	s_and_saveexec_b64 s[2:3], s[8:9]
	s_cbranch_execz .LBB195_24
; %bb.21:
	v_mul_f64 v[2:3], s[34:35], v[2:3]
	s_and_b64 vcc, exec, s[0:1]
	v_lshl_add_u64 v[6:7], v[6:7], 3, v[4:5]
	s_cbranch_vccnz .LBB195_23
; %bb.22:
	global_load_dwordx2 v[12:13], v[6:7], off
	s_waitcnt vmcnt(0)
	v_fmac_f64_e32 v[2:3], s[6:7], v[12:13]
.LBB195_23:
	global_store_dwordx2 v[6:7], v[2:3], off
.LBB195_24:
	s_or_b64 exec, exec, s[2:3]
	v_cmp_le_i32_e32 vcc, v10, v8
	s_and_b64 s[2:3], vcc, s[4:5]
	s_and_saveexec_b64 s[4:5], s[2:3]
	s_cbranch_execz .LBB195_28
; %bb.25:
	v_mul_f64 v[0:1], s[34:35], v[0:1]
	s_and_b64 vcc, exec, s[0:1]
	v_lshl_add_u64 v[2:3], v[8:9], 3, v[4:5]
	s_cbranch_vccnz .LBB195_27
; %bb.26:
	global_load_dwordx2 v[4:5], v[2:3], off
	s_waitcnt vmcnt(0)
	v_fmac_f64_e32 v[0:1], s[6:7], v[4:5]
.LBB195_27:
	global_store_dwordx2 v[2:3], v[0:1], off
.LBB195_28:
	s_endpgm
	.section	.rodata,"a",@progbits
	.p2align	6, 0x0
	.amdhsa_kernel _ZL29rocblas_internal_gemmt_kernelIlLi16ELi32ELi8ELc67ELc78ELc76ELb0ELb0EdPKdS1_PdEviT_T9_T10_S3_lS5_S3_lS4_T11_S3_li
		.amdhsa_group_segment_fixed_size 4096
		.amdhsa_private_segment_fixed_size 0
		.amdhsa_kernarg_size 108
		.amdhsa_user_sgpr_count 2
		.amdhsa_user_sgpr_dispatch_ptr 0
		.amdhsa_user_sgpr_queue_ptr 0
		.amdhsa_user_sgpr_kernarg_segment_ptr 1
		.amdhsa_user_sgpr_dispatch_id 0
		.amdhsa_user_sgpr_kernarg_preload_length 0
		.amdhsa_user_sgpr_kernarg_preload_offset 0
		.amdhsa_user_sgpr_private_segment_size 0
		.amdhsa_uses_dynamic_stack 0
		.amdhsa_enable_private_segment 0
		.amdhsa_system_sgpr_workgroup_id_x 1
		.amdhsa_system_sgpr_workgroup_id_y 1
		.amdhsa_system_sgpr_workgroup_id_z 1
		.amdhsa_system_sgpr_workgroup_info 0
		.amdhsa_system_vgpr_workitem_id 1
		.amdhsa_next_free_vgpr 54
		.amdhsa_next_free_sgpr 36
		.amdhsa_accum_offset 56
		.amdhsa_reserve_vcc 1
		.amdhsa_float_round_mode_32 0
		.amdhsa_float_round_mode_16_64 0
		.amdhsa_float_denorm_mode_32 3
		.amdhsa_float_denorm_mode_16_64 3
		.amdhsa_dx10_clamp 1
		.amdhsa_ieee_mode 1
		.amdhsa_fp16_overflow 0
		.amdhsa_tg_split 0
		.amdhsa_exception_fp_ieee_invalid_op 0
		.amdhsa_exception_fp_denorm_src 0
		.amdhsa_exception_fp_ieee_div_zero 0
		.amdhsa_exception_fp_ieee_overflow 0
		.amdhsa_exception_fp_ieee_underflow 0
		.amdhsa_exception_fp_ieee_inexact 0
		.amdhsa_exception_int_div_zero 0
	.end_amdhsa_kernel
	.section	.text._ZL29rocblas_internal_gemmt_kernelIlLi16ELi32ELi8ELc67ELc78ELc76ELb0ELb0EdPKdS1_PdEviT_T9_T10_S3_lS5_S3_lS4_T11_S3_li,"axG",@progbits,_ZL29rocblas_internal_gemmt_kernelIlLi16ELi32ELi8ELc67ELc78ELc76ELb0ELb0EdPKdS1_PdEviT_T9_T10_S3_lS5_S3_lS4_T11_S3_li,comdat
.Lfunc_end195:
	.size	_ZL29rocblas_internal_gemmt_kernelIlLi16ELi32ELi8ELc67ELc78ELc76ELb0ELb0EdPKdS1_PdEviT_T9_T10_S3_lS5_S3_lS4_T11_S3_li, .Lfunc_end195-_ZL29rocblas_internal_gemmt_kernelIlLi16ELi32ELi8ELc67ELc78ELc76ELb0ELb0EdPKdS1_PdEviT_T9_T10_S3_lS5_S3_lS4_T11_S3_li
                                        ; -- End function
	.set _ZL29rocblas_internal_gemmt_kernelIlLi16ELi32ELi8ELc67ELc78ELc76ELb0ELb0EdPKdS1_PdEviT_T9_T10_S3_lS5_S3_lS4_T11_S3_li.num_vgpr, 54
	.set _ZL29rocblas_internal_gemmt_kernelIlLi16ELi32ELi8ELc67ELc78ELc76ELb0ELb0EdPKdS1_PdEviT_T9_T10_S3_lS5_S3_lS4_T11_S3_li.num_agpr, 0
	.set _ZL29rocblas_internal_gemmt_kernelIlLi16ELi32ELi8ELc67ELc78ELc76ELb0ELb0EdPKdS1_PdEviT_T9_T10_S3_lS5_S3_lS4_T11_S3_li.numbered_sgpr, 36
	.set _ZL29rocblas_internal_gemmt_kernelIlLi16ELi32ELi8ELc67ELc78ELc76ELb0ELb0EdPKdS1_PdEviT_T9_T10_S3_lS5_S3_lS4_T11_S3_li.num_named_barrier, 0
	.set _ZL29rocblas_internal_gemmt_kernelIlLi16ELi32ELi8ELc67ELc78ELc76ELb0ELb0EdPKdS1_PdEviT_T9_T10_S3_lS5_S3_lS4_T11_S3_li.private_seg_size, 0
	.set _ZL29rocblas_internal_gemmt_kernelIlLi16ELi32ELi8ELc67ELc78ELc76ELb0ELb0EdPKdS1_PdEviT_T9_T10_S3_lS5_S3_lS4_T11_S3_li.uses_vcc, 1
	.set _ZL29rocblas_internal_gemmt_kernelIlLi16ELi32ELi8ELc67ELc78ELc76ELb0ELb0EdPKdS1_PdEviT_T9_T10_S3_lS5_S3_lS4_T11_S3_li.uses_flat_scratch, 0
	.set _ZL29rocblas_internal_gemmt_kernelIlLi16ELi32ELi8ELc67ELc78ELc76ELb0ELb0EdPKdS1_PdEviT_T9_T10_S3_lS5_S3_lS4_T11_S3_li.has_dyn_sized_stack, 0
	.set _ZL29rocblas_internal_gemmt_kernelIlLi16ELi32ELi8ELc67ELc78ELc76ELb0ELb0EdPKdS1_PdEviT_T9_T10_S3_lS5_S3_lS4_T11_S3_li.has_recursion, 0
	.set _ZL29rocblas_internal_gemmt_kernelIlLi16ELi32ELi8ELc67ELc78ELc76ELb0ELb0EdPKdS1_PdEviT_T9_T10_S3_lS5_S3_lS4_T11_S3_li.has_indirect_call, 0
	.section	.AMDGPU.csdata,"",@progbits
; Kernel info:
; codeLenInByte = 1344
; TotalNumSgprs: 42
; NumVgprs: 54
; NumAgprs: 0
; TotalNumVgprs: 54
; ScratchSize: 0
; MemoryBound: 0
; FloatMode: 240
; IeeeMode: 1
; LDSByteSize: 4096 bytes/workgroup (compile time only)
; SGPRBlocks: 5
; VGPRBlocks: 6
; NumSGPRsForWavesPerEU: 42
; NumVGPRsForWavesPerEU: 54
; AccumOffset: 56
; Occupancy: 8
; WaveLimiterHint : 0
; COMPUTE_PGM_RSRC2:SCRATCH_EN: 0
; COMPUTE_PGM_RSRC2:USER_SGPR: 2
; COMPUTE_PGM_RSRC2:TRAP_HANDLER: 0
; COMPUTE_PGM_RSRC2:TGID_X_EN: 1
; COMPUTE_PGM_RSRC2:TGID_Y_EN: 1
; COMPUTE_PGM_RSRC2:TGID_Z_EN: 1
; COMPUTE_PGM_RSRC2:TIDIG_COMP_CNT: 1
; COMPUTE_PGM_RSRC3_GFX90A:ACCUM_OFFSET: 13
; COMPUTE_PGM_RSRC3_GFX90A:TG_SPLIT: 0
	.section	.text._ZL29rocblas_internal_gemmt_kernelIlLi16ELi32ELi8ELc67ELc84ELc76ELb0ELb0EdPKdS1_PdEviT_T9_T10_S3_lS5_S3_lS4_T11_S3_li,"axG",@progbits,_ZL29rocblas_internal_gemmt_kernelIlLi16ELi32ELi8ELc67ELc84ELc76ELb0ELb0EdPKdS1_PdEviT_T9_T10_S3_lS5_S3_lS4_T11_S3_li,comdat
	.globl	_ZL29rocblas_internal_gemmt_kernelIlLi16ELi32ELi8ELc67ELc84ELc76ELb0ELb0EdPKdS1_PdEviT_T9_T10_S3_lS5_S3_lS4_T11_S3_li ; -- Begin function _ZL29rocblas_internal_gemmt_kernelIlLi16ELi32ELi8ELc67ELc84ELc76ELb0ELb0EdPKdS1_PdEviT_T9_T10_S3_lS5_S3_lS4_T11_S3_li
	.p2align	8
	.type	_ZL29rocblas_internal_gemmt_kernelIlLi16ELi32ELi8ELc67ELc84ELc76ELb0ELb0EdPKdS1_PdEviT_T9_T10_S3_lS5_S3_lS4_T11_S3_li,@function
_ZL29rocblas_internal_gemmt_kernelIlLi16ELi32ELi8ELc67ELc84ELc76ELb0ELb0EdPKdS1_PdEviT_T9_T10_S3_lS5_S3_lS4_T11_S3_li: ; @_ZL29rocblas_internal_gemmt_kernelIlLi16ELi32ELi8ELc67ELc84ELc76ELb0ELb0EdPKdS1_PdEviT_T9_T10_S3_lS5_S3_lS4_T11_S3_li
; %bb.0:
	s_load_dwordx8 s[24:31], s[0:1], 0x48
	s_load_dwordx16 s[8:23], s[0:1], 0x8
	s_waitcnt lgkmcnt(0)
	s_load_dwordx2 s[6:7], s[24:25], 0x0
	s_load_dwordx2 s[34:35], s[10:11], 0x0
	s_waitcnt lgkmcnt(0)
	v_cmp_neq_f64_e64 s[10:11], s[6:7], 1.0
	s_and_b64 vcc, exec, s[10:11]
	s_cbranch_vccnz .LBB196_2
; %bb.1:
	s_cmp_lg_u64 s[8:9], 0
	s_cselect_b64 s[10:11], -1, 0
	v_cmp_neq_f64_e64 s[24:25], s[34:35], 0
	s_and_b64 s[10:11], s[10:11], s[24:25]
.LBB196_2:
	s_andn2_b64 vcc, exec, s[10:11]
	s_cbranch_vccnz .LBB196_28
; %bb.3:
	s_load_dword s24, s[0:1], 0x0
	s_lshl_b32 s5, s2, 5
	s_lshl_b32 s25, s3, 5
	v_cmp_eq_f64_e64 s[0:1], s[34:35], 0
	v_cmp_lt_i64_e64 s[2:3], s[8:9], 1
	s_or_b64 s[0:1], s[0:1], s[2:3]
	v_and_b32_e32 v7, 0x3ff, v0
	v_bfe_u32 v11, v0, 10, 10
	v_mov_b64_e32 v[8:9], 0
	s_and_b64 vcc, exec, s[0:1]
	v_mov_b64_e32 v[4:5], 0
	v_mov_b64_e32 v[2:3], 0
	;; [unrolled: 1-line block ×3, first 2 shown]
	s_cbranch_vccnz .LBB196_12
; %bb.4:
	s_mul_i32 s0, s23, s4
	s_mul_hi_u32 s1, s22, s4
	s_add_i32 s1, s1, s0
	s_mul_i32 s0, s22, s4
	s_lshl_b64 s[0:1], s[0:1], 3
	s_add_u32 s10, s18, s0
	s_addc_u32 s11, s19, s1
	s_mul_i32 s0, s17, s4
	s_mul_hi_u32 s1, s16, s4
	v_lshl_add_u32 v1, v11, 4, v7
	s_add_i32 s1, s1, s0
	s_mul_i32 s0, s16, s4
	v_lshrrev_b32_e32 v10, 5, v1
	v_lshrrev_b32_e32 v4, 3, v1
	v_and_b32_e32 v1, 31, v1
	s_lshl_b64 s[0:1], s[0:1], 3
	v_or_b32_e32 v2, s5, v1
	s_add_u32 s2, s12, s0
	v_lshlrev_b32_e32 v1, 3, v1
	s_addc_u32 s3, s13, s1
	s_waitcnt lgkmcnt(0)
	v_cmp_gt_i32_e64 s[0:1], s24, v2
	v_lshl_or_b32 v18, v10, 8, v1
	s_ashr_i32 s16, s5, 31
	v_mul_lo_u32 v1, s15, v2
	v_mad_u64_u32 v[2:3], s[12:13], s14, v2, 0
	v_and_b32_e32 v6, 7, v7
	s_mul_i32 s12, s14, s16
	v_add3_u32 v3, v3, s12, v1
	v_lshlrev_b32_e32 v1, 3, v6
	v_add_u32_e32 v0, s25, v4
	v_lshl_or_b32 v1, v4, 6, v1
	v_add_u32_e32 v19, 0x800, v1
	v_ashrrev_i32_e32 v1, 31, v0
	v_lshl_add_u64 v[12:13], v[2:3], 3, s[2:3]
	v_cmp_gt_i32_e64 s[2:3], s24, v0
	v_lshl_add_u64 v[14:15], v[0:1], 3, s[10:11]
	v_mov_b32_e32 v0, 0x800
	v_lshlrev_b32_e32 v20, 3, v7
	v_lshl_add_u32 v21, v11, 6, v0
	v_mov_b32_e32 v17, 0
	v_mov_b64_e32 v[0:1], 0
	s_mov_b64 s[10:11], 0
	v_mov_b64_e32 v[2:3], 0
	v_mov_b64_e32 v[4:5], 0
	;; [unrolled: 1-line block ×3, first 2 shown]
	s_branch .LBB196_6
.LBB196_5:                              ;   in Loop: Header=BB196_6 Depth=1
	s_or_b64 exec, exec, s[12:13]
	s_waitcnt vmcnt(0)
	ds_write_b64 v19, v[22:23]
	s_waitcnt lgkmcnt(0)
	s_barrier
	ds_read2_b64 v[22:25], v20 offset1:16
	ds_read_b128 v[26:29], v21
	ds_read_b128 v[30:33], v21 offset:16
	ds_read_b128 v[34:37], v21 offset:32
	;; [unrolled: 1-line block ×4, first 2 shown]
	ds_read2_b64 v[46:49], v20 offset0:32 offset1:48
	s_waitcnt lgkmcnt(5)
	v_fmac_f64_e32 v[8:9], v[22:23], v[26:27]
	v_fmac_f64_e32 v[4:5], v[24:25], v[26:27]
	ds_read_b128 v[50:53], v21 offset:1040
	s_waitcnt lgkmcnt(2)
	v_fmac_f64_e32 v[2:3], v[22:23], v[42:43]
	v_fmac_f64_e32 v[0:1], v[24:25], v[42:43]
	ds_read2_b64 v[22:25], v20 offset0:64 offset1:80
	s_waitcnt lgkmcnt(2)
	v_fmac_f64_e32 v[8:9], v[46:47], v[28:29]
	v_fmac_f64_e32 v[4:5], v[48:49], v[28:29]
	ds_read2_b64 v[26:29], v20 offset0:96 offset1:112
	v_fmac_f64_e32 v[2:3], v[46:47], v[44:45]
	v_fmac_f64_e32 v[0:1], v[48:49], v[44:45]
	s_waitcnt lgkmcnt(1)
	v_fmac_f64_e32 v[8:9], v[22:23], v[30:31]
	v_fmac_f64_e32 v[4:5], v[24:25], v[30:31]
	ds_read_b128 v[42:45], v21 offset:1072
	v_fmac_f64_e32 v[2:3], v[22:23], v[50:51]
	v_fmac_f64_e32 v[0:1], v[24:25], v[50:51]
	s_waitcnt lgkmcnt(1)
	v_fmac_f64_e32 v[8:9], v[26:27], v[32:33]
	ds_read2_b64 v[22:25], v20 offset0:128 offset1:144
	v_fmac_f64_e32 v[4:5], v[28:29], v[32:33]
	v_fmac_f64_e32 v[2:3], v[26:27], v[52:53]
	;; [unrolled: 1-line block ×3, first 2 shown]
	ds_read_b128 v[26:29], v21 offset:1056
	ds_read2_b64 v[30:33], v20 offset0:160 offset1:176
	s_waitcnt lgkmcnt(2)
	v_fmac_f64_e32 v[8:9], v[22:23], v[34:35]
	v_fmac_f64_e32 v[4:5], v[24:25], v[34:35]
	s_add_u32 s10, s10, 8
	s_waitcnt lgkmcnt(1)
	v_fmac_f64_e32 v[2:3], v[22:23], v[26:27]
	v_fmac_f64_e32 v[0:1], v[24:25], v[26:27]
	ds_read2_b64 v[22:25], v20 offset0:192 offset1:208
	s_waitcnt lgkmcnt(1)
	v_fmac_f64_e32 v[2:3], v[30:31], v[28:29]
	v_fmac_f64_e32 v[0:1], v[32:33], v[28:29]
	ds_read2_b64 v[26:29], v20 offset0:224 offset1:240
	v_fmac_f64_e32 v[8:9], v[30:31], v[36:37]
	s_addc_u32 s11, s11, 0
	v_fmac_f64_e32 v[4:5], v[32:33], v[36:37]
	s_waitcnt lgkmcnt(1)
	v_fmac_f64_e32 v[8:9], v[22:23], v[38:39]
	v_fmac_f64_e32 v[2:3], v[22:23], v[42:43]
	v_mov_b64_e32 v[22:23], s[10:11]
	v_fmac_f64_e32 v[4:5], v[24:25], v[38:39]
	v_fmac_f64_e32 v[0:1], v[24:25], v[42:43]
	v_cmp_gt_i64_e32 vcc, s[8:9], v[22:23]
	s_waitcnt lgkmcnt(0)
	v_fmac_f64_e32 v[8:9], v[26:27], v[40:41]
	v_fmac_f64_e32 v[4:5], v[28:29], v[40:41]
	;; [unrolled: 1-line block ×4, first 2 shown]
	s_barrier
	s_cbranch_vccz .LBB196_12
.LBB196_6:                              ; =>This Inner Loop Header: Depth=1
	v_mov_b64_e32 v[22:23], 0
	s_and_saveexec_b64 s[12:13], s[0:1]
	s_cbranch_execz .LBB196_10
; %bb.7:                                ;   in Loop: Header=BB196_6 Depth=1
	v_add_u32_e32 v16, s10, v10
	v_cmp_gt_u64_e32 vcc, s[8:9], v[16:17]
	v_mov_b64_e32 v[22:23], 0
	s_and_saveexec_b64 s[14:15], vcc
	s_cbranch_execz .LBB196_9
; %bb.8:                                ;   in Loop: Header=BB196_6 Depth=1
	v_lshl_add_u64 v[22:23], v[16:17], 3, v[12:13]
	global_load_dwordx2 v[22:23], v[22:23], off
.LBB196_9:                              ;   in Loop: Header=BB196_6 Depth=1
	s_or_b64 exec, exec, s[14:15]
.LBB196_10:                             ;   in Loop: Header=BB196_6 Depth=1
	s_or_b64 exec, exec, s[12:13]
	v_add_u32_e32 v16, s10, v6
	v_cmp_gt_u64_e32 vcc, s[8:9], v[16:17]
	s_waitcnt vmcnt(0)
	ds_write_b64 v18, v[22:23]
	s_and_b64 s[14:15], vcc, s[2:3]
	v_mov_b64_e32 v[22:23], 0
	s_and_saveexec_b64 s[12:13], s[14:15]
	s_cbranch_execz .LBB196_5
; %bb.11:                               ;   in Loop: Header=BB196_6 Depth=1
	v_mad_u64_u32 v[22:23], s[14:15], s20, v16, 0
	v_mov_b32_e32 v24, v23
	v_mad_u64_u32 v[24:25], s[14:15], s21, v16, v[24:25]
	v_mov_b32_e32 v23, v24
	v_lshl_add_u64 v[22:23], v[22:23], 3, v[14:15]
	global_load_dwordx2 v[22:23], v[22:23], off
	s_branch .LBB196_5
.LBB196_12:
	s_mul_i32 s0, s31, s4
	s_mul_hi_u32 s1, s30, s4
	s_add_i32 s1, s1, s0
	s_mul_i32 s0, s30, s4
	s_lshl_b64 s[0:1], s[0:1], 3
	s_add_u32 s8, s26, s0
	v_add_u32_e32 v14, s25, v11
	s_addc_u32 s9, s27, s1
	v_add_u32_e32 v6, s5, v7
	v_ashrrev_i32_e32 v7, 31, v14
	v_mad_u64_u32 v[10:11], s[0:1], s28, v14, 0
	v_mul_lo_u32 v7, s28, v7
	v_mul_lo_u32 v12, s29, v14
	v_cmp_neq_f64_e64 s[0:1], s[6:7], 0
	v_add3_u32 v11, v11, v7, v12
	v_cmp_le_i32_e32 vcc, v14, v6
	s_waitcnt lgkmcnt(0)
	v_cmp_gt_i32_e64 s[2:3], s24, v6
	v_cndmask_b32_e64 v12, 0, 1, s[0:1]
	v_lshl_add_u64 v[10:11], v[10:11], 3, s[8:9]
	s_and_b64 s[10:11], vcc, s[2:3]
	v_ashrrev_i32_e32 v7, 31, v6
	v_cmp_ne_u32_e64 s[0:1], 1, v12
	s_and_saveexec_b64 s[4:5], s[10:11]
	s_cbranch_execz .LBB196_16
; %bb.13:
	v_mul_f64 v[8:9], s[34:35], v[8:9]
	s_and_b64 vcc, exec, s[0:1]
	v_lshl_add_u64 v[12:13], v[6:7], 3, v[10:11]
	s_cbranch_vccnz .LBB196_15
; %bb.14:
	global_load_dwordx2 v[16:17], v[12:13], off
	s_waitcnt vmcnt(0)
	v_fmac_f64_e32 v[8:9], s[6:7], v[16:17]
.LBB196_15:
	global_store_dwordx2 v[12:13], v[8:9], off
.LBB196_16:
	s_or_b64 exec, exec, s[4:5]
	v_add_u32_e32 v8, 16, v6
	v_cmp_le_i32_e32 vcc, v14, v8
	v_cmp_gt_i32_e64 s[4:5], s24, v8
	s_and_b64 s[12:13], vcc, s[4:5]
	v_ashrrev_i32_e32 v9, 31, v8
	s_and_saveexec_b64 s[10:11], s[12:13]
	s_cbranch_execz .LBB196_20
; %bb.17:
	v_mul_f64 v[4:5], s[34:35], v[4:5]
	s_and_b64 vcc, exec, s[0:1]
	v_lshl_add_u64 v[10:11], v[8:9], 3, v[10:11]
	s_cbranch_vccnz .LBB196_19
; %bb.18:
	global_load_dwordx2 v[12:13], v[10:11], off
	s_waitcnt vmcnt(0)
	v_fmac_f64_e32 v[4:5], s[6:7], v[12:13]
.LBB196_19:
	global_store_dwordx2 v[10:11], v[4:5], off
.LBB196_20:
	s_or_b64 exec, exec, s[10:11]
	v_add_u32_e32 v10, 16, v14
	v_ashrrev_i32_e32 v4, 31, v10
	v_mul_lo_u32 v11, s28, v4
	v_mul_lo_u32 v12, s29, v10
	v_mad_u64_u32 v[4:5], s[10:11], s28, v10, 0
	v_add3_u32 v5, v5, v11, v12
	v_cmp_le_i32_e32 vcc, v10, v6
	v_lshl_add_u64 v[4:5], v[4:5], 3, s[8:9]
	s_and_b64 s[8:9], vcc, s[2:3]
	s_and_saveexec_b64 s[2:3], s[8:9]
	s_cbranch_execz .LBB196_24
; %bb.21:
	v_mul_f64 v[2:3], s[34:35], v[2:3]
	s_and_b64 vcc, exec, s[0:1]
	v_lshl_add_u64 v[6:7], v[6:7], 3, v[4:5]
	s_cbranch_vccnz .LBB196_23
; %bb.22:
	global_load_dwordx2 v[12:13], v[6:7], off
	s_waitcnt vmcnt(0)
	v_fmac_f64_e32 v[2:3], s[6:7], v[12:13]
.LBB196_23:
	global_store_dwordx2 v[6:7], v[2:3], off
.LBB196_24:
	s_or_b64 exec, exec, s[2:3]
	v_cmp_le_i32_e32 vcc, v10, v8
	s_and_b64 s[2:3], vcc, s[4:5]
	s_and_saveexec_b64 s[4:5], s[2:3]
	s_cbranch_execz .LBB196_28
; %bb.25:
	v_mul_f64 v[0:1], s[34:35], v[0:1]
	s_and_b64 vcc, exec, s[0:1]
	v_lshl_add_u64 v[2:3], v[8:9], 3, v[4:5]
	s_cbranch_vccnz .LBB196_27
; %bb.26:
	global_load_dwordx2 v[4:5], v[2:3], off
	s_waitcnt vmcnt(0)
	v_fmac_f64_e32 v[0:1], s[6:7], v[4:5]
.LBB196_27:
	global_store_dwordx2 v[2:3], v[0:1], off
.LBB196_28:
	s_endpgm
	.section	.rodata,"a",@progbits
	.p2align	6, 0x0
	.amdhsa_kernel _ZL29rocblas_internal_gemmt_kernelIlLi16ELi32ELi8ELc67ELc84ELc76ELb0ELb0EdPKdS1_PdEviT_T9_T10_S3_lS5_S3_lS4_T11_S3_li
		.amdhsa_group_segment_fixed_size 4096
		.amdhsa_private_segment_fixed_size 0
		.amdhsa_kernarg_size 108
		.amdhsa_user_sgpr_count 2
		.amdhsa_user_sgpr_dispatch_ptr 0
		.amdhsa_user_sgpr_queue_ptr 0
		.amdhsa_user_sgpr_kernarg_segment_ptr 1
		.amdhsa_user_sgpr_dispatch_id 0
		.amdhsa_user_sgpr_kernarg_preload_length 0
		.amdhsa_user_sgpr_kernarg_preload_offset 0
		.amdhsa_user_sgpr_private_segment_size 0
		.amdhsa_uses_dynamic_stack 0
		.amdhsa_enable_private_segment 0
		.amdhsa_system_sgpr_workgroup_id_x 1
		.amdhsa_system_sgpr_workgroup_id_y 1
		.amdhsa_system_sgpr_workgroup_id_z 1
		.amdhsa_system_sgpr_workgroup_info 0
		.amdhsa_system_vgpr_workitem_id 1
		.amdhsa_next_free_vgpr 54
		.amdhsa_next_free_sgpr 36
		.amdhsa_accum_offset 56
		.amdhsa_reserve_vcc 1
		.amdhsa_float_round_mode_32 0
		.amdhsa_float_round_mode_16_64 0
		.amdhsa_float_denorm_mode_32 3
		.amdhsa_float_denorm_mode_16_64 3
		.amdhsa_dx10_clamp 1
		.amdhsa_ieee_mode 1
		.amdhsa_fp16_overflow 0
		.amdhsa_tg_split 0
		.amdhsa_exception_fp_ieee_invalid_op 0
		.amdhsa_exception_fp_denorm_src 0
		.amdhsa_exception_fp_ieee_div_zero 0
		.amdhsa_exception_fp_ieee_overflow 0
		.amdhsa_exception_fp_ieee_underflow 0
		.amdhsa_exception_fp_ieee_inexact 0
		.amdhsa_exception_int_div_zero 0
	.end_amdhsa_kernel
	.section	.text._ZL29rocblas_internal_gemmt_kernelIlLi16ELi32ELi8ELc67ELc84ELc76ELb0ELb0EdPKdS1_PdEviT_T9_T10_S3_lS5_S3_lS4_T11_S3_li,"axG",@progbits,_ZL29rocblas_internal_gemmt_kernelIlLi16ELi32ELi8ELc67ELc84ELc76ELb0ELb0EdPKdS1_PdEviT_T9_T10_S3_lS5_S3_lS4_T11_S3_li,comdat
.Lfunc_end196:
	.size	_ZL29rocblas_internal_gemmt_kernelIlLi16ELi32ELi8ELc67ELc84ELc76ELb0ELb0EdPKdS1_PdEviT_T9_T10_S3_lS5_S3_lS4_T11_S3_li, .Lfunc_end196-_ZL29rocblas_internal_gemmt_kernelIlLi16ELi32ELi8ELc67ELc84ELc76ELb0ELb0EdPKdS1_PdEviT_T9_T10_S3_lS5_S3_lS4_T11_S3_li
                                        ; -- End function
	.set _ZL29rocblas_internal_gemmt_kernelIlLi16ELi32ELi8ELc67ELc84ELc76ELb0ELb0EdPKdS1_PdEviT_T9_T10_S3_lS5_S3_lS4_T11_S3_li.num_vgpr, 54
	.set _ZL29rocblas_internal_gemmt_kernelIlLi16ELi32ELi8ELc67ELc84ELc76ELb0ELb0EdPKdS1_PdEviT_T9_T10_S3_lS5_S3_lS4_T11_S3_li.num_agpr, 0
	.set _ZL29rocblas_internal_gemmt_kernelIlLi16ELi32ELi8ELc67ELc84ELc76ELb0ELb0EdPKdS1_PdEviT_T9_T10_S3_lS5_S3_lS4_T11_S3_li.numbered_sgpr, 36
	.set _ZL29rocblas_internal_gemmt_kernelIlLi16ELi32ELi8ELc67ELc84ELc76ELb0ELb0EdPKdS1_PdEviT_T9_T10_S3_lS5_S3_lS4_T11_S3_li.num_named_barrier, 0
	.set _ZL29rocblas_internal_gemmt_kernelIlLi16ELi32ELi8ELc67ELc84ELc76ELb0ELb0EdPKdS1_PdEviT_T9_T10_S3_lS5_S3_lS4_T11_S3_li.private_seg_size, 0
	.set _ZL29rocblas_internal_gemmt_kernelIlLi16ELi32ELi8ELc67ELc84ELc76ELb0ELb0EdPKdS1_PdEviT_T9_T10_S3_lS5_S3_lS4_T11_S3_li.uses_vcc, 1
	.set _ZL29rocblas_internal_gemmt_kernelIlLi16ELi32ELi8ELc67ELc84ELc76ELb0ELb0EdPKdS1_PdEviT_T9_T10_S3_lS5_S3_lS4_T11_S3_li.uses_flat_scratch, 0
	.set _ZL29rocblas_internal_gemmt_kernelIlLi16ELi32ELi8ELc67ELc84ELc76ELb0ELb0EdPKdS1_PdEviT_T9_T10_S3_lS5_S3_lS4_T11_S3_li.has_dyn_sized_stack, 0
	.set _ZL29rocblas_internal_gemmt_kernelIlLi16ELi32ELi8ELc67ELc84ELc76ELb0ELb0EdPKdS1_PdEviT_T9_T10_S3_lS5_S3_lS4_T11_S3_li.has_recursion, 0
	.set _ZL29rocblas_internal_gemmt_kernelIlLi16ELi32ELi8ELc67ELc84ELc76ELb0ELb0EdPKdS1_PdEviT_T9_T10_S3_lS5_S3_lS4_T11_S3_li.has_indirect_call, 0
	.section	.AMDGPU.csdata,"",@progbits
; Kernel info:
; codeLenInByte = 1336
; TotalNumSgprs: 42
; NumVgprs: 54
; NumAgprs: 0
; TotalNumVgprs: 54
; ScratchSize: 0
; MemoryBound: 0
; FloatMode: 240
; IeeeMode: 1
; LDSByteSize: 4096 bytes/workgroup (compile time only)
; SGPRBlocks: 5
; VGPRBlocks: 6
; NumSGPRsForWavesPerEU: 42
; NumVGPRsForWavesPerEU: 54
; AccumOffset: 56
; Occupancy: 8
; WaveLimiterHint : 0
; COMPUTE_PGM_RSRC2:SCRATCH_EN: 0
; COMPUTE_PGM_RSRC2:USER_SGPR: 2
; COMPUTE_PGM_RSRC2:TRAP_HANDLER: 0
; COMPUTE_PGM_RSRC2:TGID_X_EN: 1
; COMPUTE_PGM_RSRC2:TGID_Y_EN: 1
; COMPUTE_PGM_RSRC2:TGID_Z_EN: 1
; COMPUTE_PGM_RSRC2:TIDIG_COMP_CNT: 1
; COMPUTE_PGM_RSRC3_GFX90A:ACCUM_OFFSET: 13
; COMPUTE_PGM_RSRC3_GFX90A:TG_SPLIT: 0
	.section	.text._ZL29rocblas_internal_gemmt_kernelIlLi16ELi32ELi8ELc67ELc67ELc76ELb0ELb0EdPKdS1_PdEviT_T9_T10_S3_lS5_S3_lS4_T11_S3_li,"axG",@progbits,_ZL29rocblas_internal_gemmt_kernelIlLi16ELi32ELi8ELc67ELc67ELc76ELb0ELb0EdPKdS1_PdEviT_T9_T10_S3_lS5_S3_lS4_T11_S3_li,comdat
	.globl	_ZL29rocblas_internal_gemmt_kernelIlLi16ELi32ELi8ELc67ELc67ELc76ELb0ELb0EdPKdS1_PdEviT_T9_T10_S3_lS5_S3_lS4_T11_S3_li ; -- Begin function _ZL29rocblas_internal_gemmt_kernelIlLi16ELi32ELi8ELc67ELc67ELc76ELb0ELb0EdPKdS1_PdEviT_T9_T10_S3_lS5_S3_lS4_T11_S3_li
	.p2align	8
	.type	_ZL29rocblas_internal_gemmt_kernelIlLi16ELi32ELi8ELc67ELc67ELc76ELb0ELb0EdPKdS1_PdEviT_T9_T10_S3_lS5_S3_lS4_T11_S3_li,@function
_ZL29rocblas_internal_gemmt_kernelIlLi16ELi32ELi8ELc67ELc67ELc76ELb0ELb0EdPKdS1_PdEviT_T9_T10_S3_lS5_S3_lS4_T11_S3_li: ; @_ZL29rocblas_internal_gemmt_kernelIlLi16ELi32ELi8ELc67ELc67ELc76ELb0ELb0EdPKdS1_PdEviT_T9_T10_S3_lS5_S3_lS4_T11_S3_li
; %bb.0:
	s_load_dwordx8 s[24:31], s[0:1], 0x48
	s_load_dwordx16 s[8:23], s[0:1], 0x8
	s_waitcnt lgkmcnt(0)
	s_load_dwordx2 s[6:7], s[24:25], 0x0
	s_load_dwordx2 s[34:35], s[10:11], 0x0
	s_waitcnt lgkmcnt(0)
	v_cmp_neq_f64_e64 s[10:11], s[6:7], 1.0
	s_and_b64 vcc, exec, s[10:11]
	s_cbranch_vccnz .LBB197_2
; %bb.1:
	s_cmp_lg_u64 s[8:9], 0
	s_cselect_b64 s[10:11], -1, 0
	v_cmp_neq_f64_e64 s[24:25], s[34:35], 0
	s_and_b64 s[10:11], s[10:11], s[24:25]
.LBB197_2:
	s_andn2_b64 vcc, exec, s[10:11]
	s_cbranch_vccnz .LBB197_28
; %bb.3:
	s_load_dword s24, s[0:1], 0x0
	s_lshl_b32 s5, s2, 5
	s_lshl_b32 s25, s3, 5
	v_cmp_eq_f64_e64 s[0:1], s[34:35], 0
	v_cmp_lt_i64_e64 s[2:3], s[8:9], 1
	s_or_b64 s[0:1], s[0:1], s[2:3]
	v_and_b32_e32 v7, 0x3ff, v0
	v_bfe_u32 v11, v0, 10, 10
	v_mov_b64_e32 v[8:9], 0
	s_and_b64 vcc, exec, s[0:1]
	v_mov_b64_e32 v[4:5], 0
	v_mov_b64_e32 v[2:3], 0
	;; [unrolled: 1-line block ×3, first 2 shown]
	s_cbranch_vccnz .LBB197_12
; %bb.4:
	s_mul_i32 s0, s23, s4
	s_mul_hi_u32 s1, s22, s4
	s_add_i32 s1, s1, s0
	s_mul_i32 s0, s22, s4
	s_lshl_b64 s[0:1], s[0:1], 3
	s_add_u32 s10, s18, s0
	s_addc_u32 s11, s19, s1
	s_mul_i32 s0, s17, s4
	s_mul_hi_u32 s1, s16, s4
	v_lshl_add_u32 v1, v11, 4, v7
	s_add_i32 s1, s1, s0
	s_mul_i32 s0, s16, s4
	v_lshrrev_b32_e32 v10, 5, v1
	v_lshrrev_b32_e32 v4, 3, v1
	v_and_b32_e32 v1, 31, v1
	s_lshl_b64 s[0:1], s[0:1], 3
	v_or_b32_e32 v2, s5, v1
	s_add_u32 s2, s12, s0
	v_lshlrev_b32_e32 v1, 3, v1
	s_addc_u32 s3, s13, s1
	s_waitcnt lgkmcnt(0)
	v_cmp_gt_i32_e64 s[0:1], s24, v2
	v_lshl_or_b32 v18, v10, 8, v1
	s_ashr_i32 s16, s5, 31
	v_mul_lo_u32 v1, s15, v2
	v_mad_u64_u32 v[2:3], s[12:13], s14, v2, 0
	v_and_b32_e32 v6, 7, v7
	s_mul_i32 s12, s14, s16
	v_add3_u32 v3, v3, s12, v1
	v_lshlrev_b32_e32 v1, 3, v6
	v_add_u32_e32 v0, s25, v4
	v_lshl_or_b32 v1, v4, 6, v1
	v_add_u32_e32 v19, 0x800, v1
	v_ashrrev_i32_e32 v1, 31, v0
	v_lshl_add_u64 v[12:13], v[2:3], 3, s[2:3]
	v_cmp_gt_i32_e64 s[2:3], s24, v0
	v_lshl_add_u64 v[14:15], v[0:1], 3, s[10:11]
	v_mov_b32_e32 v0, 0x800
	v_lshlrev_b32_e32 v20, 3, v7
	v_lshl_add_u32 v21, v11, 6, v0
	v_mov_b32_e32 v17, 0
	v_mov_b64_e32 v[0:1], 0
	s_mov_b64 s[10:11], 0
	v_mov_b64_e32 v[2:3], 0
	v_mov_b64_e32 v[4:5], 0
	;; [unrolled: 1-line block ×3, first 2 shown]
	s_branch .LBB197_6
.LBB197_5:                              ;   in Loop: Header=BB197_6 Depth=1
	s_or_b64 exec, exec, s[12:13]
	s_waitcnt vmcnt(0)
	ds_write_b64 v19, v[22:23]
	s_waitcnt lgkmcnt(0)
	s_barrier
	ds_read2_b64 v[22:25], v20 offset1:16
	ds_read_b128 v[26:29], v21
	ds_read_b128 v[30:33], v21 offset:16
	ds_read_b128 v[34:37], v21 offset:32
	;; [unrolled: 1-line block ×4, first 2 shown]
	ds_read2_b64 v[46:49], v20 offset0:32 offset1:48
	s_waitcnt lgkmcnt(5)
	v_fmac_f64_e32 v[8:9], v[22:23], v[26:27]
	v_fmac_f64_e32 v[4:5], v[24:25], v[26:27]
	ds_read_b128 v[50:53], v21 offset:1040
	s_waitcnt lgkmcnt(2)
	v_fmac_f64_e32 v[2:3], v[22:23], v[42:43]
	v_fmac_f64_e32 v[0:1], v[24:25], v[42:43]
	ds_read2_b64 v[22:25], v20 offset0:64 offset1:80
	s_waitcnt lgkmcnt(2)
	v_fmac_f64_e32 v[8:9], v[46:47], v[28:29]
	v_fmac_f64_e32 v[4:5], v[48:49], v[28:29]
	ds_read2_b64 v[26:29], v20 offset0:96 offset1:112
	v_fmac_f64_e32 v[2:3], v[46:47], v[44:45]
	v_fmac_f64_e32 v[0:1], v[48:49], v[44:45]
	s_waitcnt lgkmcnt(1)
	v_fmac_f64_e32 v[8:9], v[22:23], v[30:31]
	v_fmac_f64_e32 v[4:5], v[24:25], v[30:31]
	ds_read_b128 v[42:45], v21 offset:1072
	v_fmac_f64_e32 v[2:3], v[22:23], v[50:51]
	v_fmac_f64_e32 v[0:1], v[24:25], v[50:51]
	s_waitcnt lgkmcnt(1)
	v_fmac_f64_e32 v[8:9], v[26:27], v[32:33]
	ds_read2_b64 v[22:25], v20 offset0:128 offset1:144
	v_fmac_f64_e32 v[4:5], v[28:29], v[32:33]
	v_fmac_f64_e32 v[2:3], v[26:27], v[52:53]
	;; [unrolled: 1-line block ×3, first 2 shown]
	ds_read_b128 v[26:29], v21 offset:1056
	ds_read2_b64 v[30:33], v20 offset0:160 offset1:176
	s_waitcnt lgkmcnt(2)
	v_fmac_f64_e32 v[8:9], v[22:23], v[34:35]
	v_fmac_f64_e32 v[4:5], v[24:25], v[34:35]
	s_add_u32 s10, s10, 8
	s_waitcnt lgkmcnt(1)
	v_fmac_f64_e32 v[2:3], v[22:23], v[26:27]
	v_fmac_f64_e32 v[0:1], v[24:25], v[26:27]
	ds_read2_b64 v[22:25], v20 offset0:192 offset1:208
	s_waitcnt lgkmcnt(1)
	v_fmac_f64_e32 v[2:3], v[30:31], v[28:29]
	v_fmac_f64_e32 v[0:1], v[32:33], v[28:29]
	ds_read2_b64 v[26:29], v20 offset0:224 offset1:240
	v_fmac_f64_e32 v[8:9], v[30:31], v[36:37]
	s_addc_u32 s11, s11, 0
	v_fmac_f64_e32 v[4:5], v[32:33], v[36:37]
	s_waitcnt lgkmcnt(1)
	v_fmac_f64_e32 v[8:9], v[22:23], v[38:39]
	v_fmac_f64_e32 v[2:3], v[22:23], v[42:43]
	v_mov_b64_e32 v[22:23], s[10:11]
	v_fmac_f64_e32 v[4:5], v[24:25], v[38:39]
	v_fmac_f64_e32 v[0:1], v[24:25], v[42:43]
	v_cmp_gt_i64_e32 vcc, s[8:9], v[22:23]
	s_waitcnt lgkmcnt(0)
	v_fmac_f64_e32 v[8:9], v[26:27], v[40:41]
	v_fmac_f64_e32 v[4:5], v[28:29], v[40:41]
	;; [unrolled: 1-line block ×4, first 2 shown]
	s_barrier
	s_cbranch_vccz .LBB197_12
.LBB197_6:                              ; =>This Inner Loop Header: Depth=1
	v_mov_b64_e32 v[22:23], 0
	s_and_saveexec_b64 s[12:13], s[0:1]
	s_cbranch_execz .LBB197_10
; %bb.7:                                ;   in Loop: Header=BB197_6 Depth=1
	v_add_u32_e32 v16, s10, v10
	v_cmp_gt_u64_e32 vcc, s[8:9], v[16:17]
	v_mov_b64_e32 v[22:23], 0
	s_and_saveexec_b64 s[14:15], vcc
	s_cbranch_execz .LBB197_9
; %bb.8:                                ;   in Loop: Header=BB197_6 Depth=1
	v_lshl_add_u64 v[22:23], v[16:17], 3, v[12:13]
	global_load_dwordx2 v[22:23], v[22:23], off
.LBB197_9:                              ;   in Loop: Header=BB197_6 Depth=1
	s_or_b64 exec, exec, s[14:15]
.LBB197_10:                             ;   in Loop: Header=BB197_6 Depth=1
	s_or_b64 exec, exec, s[12:13]
	v_add_u32_e32 v16, s10, v6
	v_cmp_gt_u64_e32 vcc, s[8:9], v[16:17]
	s_waitcnt vmcnt(0)
	ds_write_b64 v18, v[22:23]
	s_and_b64 s[14:15], vcc, s[2:3]
	v_mov_b64_e32 v[22:23], 0
	s_and_saveexec_b64 s[12:13], s[14:15]
	s_cbranch_execz .LBB197_5
; %bb.11:                               ;   in Loop: Header=BB197_6 Depth=1
	v_mad_u64_u32 v[22:23], s[14:15], s20, v16, 0
	v_mov_b32_e32 v24, v23
	v_mad_u64_u32 v[24:25], s[14:15], s21, v16, v[24:25]
	v_mov_b32_e32 v23, v24
	v_lshl_add_u64 v[22:23], v[22:23], 3, v[14:15]
	global_load_dwordx2 v[22:23], v[22:23], off
	s_branch .LBB197_5
.LBB197_12:
	s_mul_i32 s0, s31, s4
	s_mul_hi_u32 s1, s30, s4
	s_add_i32 s1, s1, s0
	s_mul_i32 s0, s30, s4
	s_lshl_b64 s[0:1], s[0:1], 3
	s_add_u32 s8, s26, s0
	v_add_u32_e32 v14, s25, v11
	s_addc_u32 s9, s27, s1
	v_add_u32_e32 v6, s5, v7
	v_ashrrev_i32_e32 v7, 31, v14
	v_mad_u64_u32 v[10:11], s[0:1], s28, v14, 0
	v_mul_lo_u32 v7, s28, v7
	v_mul_lo_u32 v12, s29, v14
	v_cmp_neq_f64_e64 s[0:1], s[6:7], 0
	v_add3_u32 v11, v11, v7, v12
	v_cmp_le_i32_e32 vcc, v14, v6
	s_waitcnt lgkmcnt(0)
	v_cmp_gt_i32_e64 s[2:3], s24, v6
	v_cndmask_b32_e64 v12, 0, 1, s[0:1]
	v_lshl_add_u64 v[10:11], v[10:11], 3, s[8:9]
	s_and_b64 s[10:11], vcc, s[2:3]
	v_ashrrev_i32_e32 v7, 31, v6
	v_cmp_ne_u32_e64 s[0:1], 1, v12
	s_and_saveexec_b64 s[4:5], s[10:11]
	s_cbranch_execz .LBB197_16
; %bb.13:
	v_mul_f64 v[8:9], s[34:35], v[8:9]
	s_and_b64 vcc, exec, s[0:1]
	v_lshl_add_u64 v[12:13], v[6:7], 3, v[10:11]
	s_cbranch_vccnz .LBB197_15
; %bb.14:
	global_load_dwordx2 v[16:17], v[12:13], off
	s_waitcnt vmcnt(0)
	v_fmac_f64_e32 v[8:9], s[6:7], v[16:17]
.LBB197_15:
	global_store_dwordx2 v[12:13], v[8:9], off
.LBB197_16:
	s_or_b64 exec, exec, s[4:5]
	v_add_u32_e32 v8, 16, v6
	v_cmp_le_i32_e32 vcc, v14, v8
	v_cmp_gt_i32_e64 s[4:5], s24, v8
	s_and_b64 s[12:13], vcc, s[4:5]
	v_ashrrev_i32_e32 v9, 31, v8
	s_and_saveexec_b64 s[10:11], s[12:13]
	s_cbranch_execz .LBB197_20
; %bb.17:
	v_mul_f64 v[4:5], s[34:35], v[4:5]
	s_and_b64 vcc, exec, s[0:1]
	v_lshl_add_u64 v[10:11], v[8:9], 3, v[10:11]
	s_cbranch_vccnz .LBB197_19
; %bb.18:
	global_load_dwordx2 v[12:13], v[10:11], off
	s_waitcnt vmcnt(0)
	v_fmac_f64_e32 v[4:5], s[6:7], v[12:13]
.LBB197_19:
	global_store_dwordx2 v[10:11], v[4:5], off
.LBB197_20:
	s_or_b64 exec, exec, s[10:11]
	v_add_u32_e32 v10, 16, v14
	v_ashrrev_i32_e32 v4, 31, v10
	v_mul_lo_u32 v11, s28, v4
	v_mul_lo_u32 v12, s29, v10
	v_mad_u64_u32 v[4:5], s[10:11], s28, v10, 0
	v_add3_u32 v5, v5, v11, v12
	v_cmp_le_i32_e32 vcc, v10, v6
	v_lshl_add_u64 v[4:5], v[4:5], 3, s[8:9]
	s_and_b64 s[8:9], vcc, s[2:3]
	s_and_saveexec_b64 s[2:3], s[8:9]
	s_cbranch_execz .LBB197_24
; %bb.21:
	v_mul_f64 v[2:3], s[34:35], v[2:3]
	s_and_b64 vcc, exec, s[0:1]
	v_lshl_add_u64 v[6:7], v[6:7], 3, v[4:5]
	s_cbranch_vccnz .LBB197_23
; %bb.22:
	global_load_dwordx2 v[12:13], v[6:7], off
	s_waitcnt vmcnt(0)
	v_fmac_f64_e32 v[2:3], s[6:7], v[12:13]
.LBB197_23:
	global_store_dwordx2 v[6:7], v[2:3], off
.LBB197_24:
	s_or_b64 exec, exec, s[2:3]
	v_cmp_le_i32_e32 vcc, v10, v8
	s_and_b64 s[2:3], vcc, s[4:5]
	s_and_saveexec_b64 s[4:5], s[2:3]
	s_cbranch_execz .LBB197_28
; %bb.25:
	v_mul_f64 v[0:1], s[34:35], v[0:1]
	s_and_b64 vcc, exec, s[0:1]
	v_lshl_add_u64 v[2:3], v[8:9], 3, v[4:5]
	s_cbranch_vccnz .LBB197_27
; %bb.26:
	global_load_dwordx2 v[4:5], v[2:3], off
	s_waitcnt vmcnt(0)
	v_fmac_f64_e32 v[0:1], s[6:7], v[4:5]
.LBB197_27:
	global_store_dwordx2 v[2:3], v[0:1], off
.LBB197_28:
	s_endpgm
	.section	.rodata,"a",@progbits
	.p2align	6, 0x0
	.amdhsa_kernel _ZL29rocblas_internal_gemmt_kernelIlLi16ELi32ELi8ELc67ELc67ELc76ELb0ELb0EdPKdS1_PdEviT_T9_T10_S3_lS5_S3_lS4_T11_S3_li
		.amdhsa_group_segment_fixed_size 4096
		.amdhsa_private_segment_fixed_size 0
		.amdhsa_kernarg_size 108
		.amdhsa_user_sgpr_count 2
		.amdhsa_user_sgpr_dispatch_ptr 0
		.amdhsa_user_sgpr_queue_ptr 0
		.amdhsa_user_sgpr_kernarg_segment_ptr 1
		.amdhsa_user_sgpr_dispatch_id 0
		.amdhsa_user_sgpr_kernarg_preload_length 0
		.amdhsa_user_sgpr_kernarg_preload_offset 0
		.amdhsa_user_sgpr_private_segment_size 0
		.amdhsa_uses_dynamic_stack 0
		.amdhsa_enable_private_segment 0
		.amdhsa_system_sgpr_workgroup_id_x 1
		.amdhsa_system_sgpr_workgroup_id_y 1
		.amdhsa_system_sgpr_workgroup_id_z 1
		.amdhsa_system_sgpr_workgroup_info 0
		.amdhsa_system_vgpr_workitem_id 1
		.amdhsa_next_free_vgpr 54
		.amdhsa_next_free_sgpr 36
		.amdhsa_accum_offset 56
		.amdhsa_reserve_vcc 1
		.amdhsa_float_round_mode_32 0
		.amdhsa_float_round_mode_16_64 0
		.amdhsa_float_denorm_mode_32 3
		.amdhsa_float_denorm_mode_16_64 3
		.amdhsa_dx10_clamp 1
		.amdhsa_ieee_mode 1
		.amdhsa_fp16_overflow 0
		.amdhsa_tg_split 0
		.amdhsa_exception_fp_ieee_invalid_op 0
		.amdhsa_exception_fp_denorm_src 0
		.amdhsa_exception_fp_ieee_div_zero 0
		.amdhsa_exception_fp_ieee_overflow 0
		.amdhsa_exception_fp_ieee_underflow 0
		.amdhsa_exception_fp_ieee_inexact 0
		.amdhsa_exception_int_div_zero 0
	.end_amdhsa_kernel
	.section	.text._ZL29rocblas_internal_gemmt_kernelIlLi16ELi32ELi8ELc67ELc67ELc76ELb0ELb0EdPKdS1_PdEviT_T9_T10_S3_lS5_S3_lS4_T11_S3_li,"axG",@progbits,_ZL29rocblas_internal_gemmt_kernelIlLi16ELi32ELi8ELc67ELc67ELc76ELb0ELb0EdPKdS1_PdEviT_T9_T10_S3_lS5_S3_lS4_T11_S3_li,comdat
.Lfunc_end197:
	.size	_ZL29rocblas_internal_gemmt_kernelIlLi16ELi32ELi8ELc67ELc67ELc76ELb0ELb0EdPKdS1_PdEviT_T9_T10_S3_lS5_S3_lS4_T11_S3_li, .Lfunc_end197-_ZL29rocblas_internal_gemmt_kernelIlLi16ELi32ELi8ELc67ELc67ELc76ELb0ELb0EdPKdS1_PdEviT_T9_T10_S3_lS5_S3_lS4_T11_S3_li
                                        ; -- End function
	.set _ZL29rocblas_internal_gemmt_kernelIlLi16ELi32ELi8ELc67ELc67ELc76ELb0ELb0EdPKdS1_PdEviT_T9_T10_S3_lS5_S3_lS4_T11_S3_li.num_vgpr, 54
	.set _ZL29rocblas_internal_gemmt_kernelIlLi16ELi32ELi8ELc67ELc67ELc76ELb0ELb0EdPKdS1_PdEviT_T9_T10_S3_lS5_S3_lS4_T11_S3_li.num_agpr, 0
	.set _ZL29rocblas_internal_gemmt_kernelIlLi16ELi32ELi8ELc67ELc67ELc76ELb0ELb0EdPKdS1_PdEviT_T9_T10_S3_lS5_S3_lS4_T11_S3_li.numbered_sgpr, 36
	.set _ZL29rocblas_internal_gemmt_kernelIlLi16ELi32ELi8ELc67ELc67ELc76ELb0ELb0EdPKdS1_PdEviT_T9_T10_S3_lS5_S3_lS4_T11_S3_li.num_named_barrier, 0
	.set _ZL29rocblas_internal_gemmt_kernelIlLi16ELi32ELi8ELc67ELc67ELc76ELb0ELb0EdPKdS1_PdEviT_T9_T10_S3_lS5_S3_lS4_T11_S3_li.private_seg_size, 0
	.set _ZL29rocblas_internal_gemmt_kernelIlLi16ELi32ELi8ELc67ELc67ELc76ELb0ELb0EdPKdS1_PdEviT_T9_T10_S3_lS5_S3_lS4_T11_S3_li.uses_vcc, 1
	.set _ZL29rocblas_internal_gemmt_kernelIlLi16ELi32ELi8ELc67ELc67ELc76ELb0ELb0EdPKdS1_PdEviT_T9_T10_S3_lS5_S3_lS4_T11_S3_li.uses_flat_scratch, 0
	.set _ZL29rocblas_internal_gemmt_kernelIlLi16ELi32ELi8ELc67ELc67ELc76ELb0ELb0EdPKdS1_PdEviT_T9_T10_S3_lS5_S3_lS4_T11_S3_li.has_dyn_sized_stack, 0
	.set _ZL29rocblas_internal_gemmt_kernelIlLi16ELi32ELi8ELc67ELc67ELc76ELb0ELb0EdPKdS1_PdEviT_T9_T10_S3_lS5_S3_lS4_T11_S3_li.has_recursion, 0
	.set _ZL29rocblas_internal_gemmt_kernelIlLi16ELi32ELi8ELc67ELc67ELc76ELb0ELb0EdPKdS1_PdEviT_T9_T10_S3_lS5_S3_lS4_T11_S3_li.has_indirect_call, 0
	.section	.AMDGPU.csdata,"",@progbits
; Kernel info:
; codeLenInByte = 1336
; TotalNumSgprs: 42
; NumVgprs: 54
; NumAgprs: 0
; TotalNumVgprs: 54
; ScratchSize: 0
; MemoryBound: 0
; FloatMode: 240
; IeeeMode: 1
; LDSByteSize: 4096 bytes/workgroup (compile time only)
; SGPRBlocks: 5
; VGPRBlocks: 6
; NumSGPRsForWavesPerEU: 42
; NumVGPRsForWavesPerEU: 54
; AccumOffset: 56
; Occupancy: 8
; WaveLimiterHint : 0
; COMPUTE_PGM_RSRC2:SCRATCH_EN: 0
; COMPUTE_PGM_RSRC2:USER_SGPR: 2
; COMPUTE_PGM_RSRC2:TRAP_HANDLER: 0
; COMPUTE_PGM_RSRC2:TGID_X_EN: 1
; COMPUTE_PGM_RSRC2:TGID_Y_EN: 1
; COMPUTE_PGM_RSRC2:TGID_Z_EN: 1
; COMPUTE_PGM_RSRC2:TIDIG_COMP_CNT: 1
; COMPUTE_PGM_RSRC3_GFX90A:ACCUM_OFFSET: 13
; COMPUTE_PGM_RSRC3_GFX90A:TG_SPLIT: 0
	.section	.text._ZL29rocblas_internal_gemmt_kernelIlLi16ELi32ELi8ELc78ELc78ELc85ELb0ELb0EddPKdPdEviT_T9_T10_S3_lS5_S3_lS4_T11_S3_li,"axG",@progbits,_ZL29rocblas_internal_gemmt_kernelIlLi16ELi32ELi8ELc78ELc78ELc85ELb0ELb0EddPKdPdEviT_T9_T10_S3_lS5_S3_lS4_T11_S3_li,comdat
	.globl	_ZL29rocblas_internal_gemmt_kernelIlLi16ELi32ELi8ELc78ELc78ELc85ELb0ELb0EddPKdPdEviT_T9_T10_S3_lS5_S3_lS4_T11_S3_li ; -- Begin function _ZL29rocblas_internal_gemmt_kernelIlLi16ELi32ELi8ELc78ELc78ELc85ELb0ELb0EddPKdPdEviT_T9_T10_S3_lS5_S3_lS4_T11_S3_li
	.p2align	8
	.type	_ZL29rocblas_internal_gemmt_kernelIlLi16ELi32ELi8ELc78ELc78ELc85ELb0ELb0EddPKdPdEviT_T9_T10_S3_lS5_S3_lS4_T11_S3_li,@function
_ZL29rocblas_internal_gemmt_kernelIlLi16ELi32ELi8ELc78ELc78ELc85ELb0ELb0EddPKdPdEviT_T9_T10_S3_lS5_S3_lS4_T11_S3_li: ; @_ZL29rocblas_internal_gemmt_kernelIlLi16ELi32ELi8ELc78ELc78ELc85ELb0ELb0EddPKdPdEviT_T9_T10_S3_lS5_S3_lS4_T11_S3_li
; %bb.0:
	s_load_dwordx8 s[24:31], s[0:1], 0x48
	s_load_dwordx16 s[8:23], s[0:1], 0x8
	s_waitcnt lgkmcnt(0)
	v_cmp_neq_f64_e64 s[6:7], s[24:25], 1.0
	s_and_b64 vcc, exec, s[6:7]
	s_cbranch_vccnz .LBB198_2
; %bb.1:
	s_cmp_lg_u64 s[8:9], 0
	s_cselect_b64 s[6:7], -1, 0
	v_cmp_neq_f64_e64 s[34:35], s[10:11], 0
	s_and_b64 s[6:7], s[6:7], s[34:35]
.LBB198_2:
	s_andn2_b64 vcc, exec, s[6:7]
	s_cbranch_vccnz .LBB198_28
; %bb.3:
	s_load_dword s33, s[0:1], 0x0
	s_lshl_b32 s34, s2, 5
	s_lshl_b32 s35, s3, 5
	v_cmp_eq_f64_e64 s[0:1], s[10:11], 0
	v_cmp_lt_i64_e64 s[2:3], s[8:9], 1
	s_or_b64 s[0:1], s[0:1], s[2:3]
	v_and_b32_e32 v7, 0x3ff, v0
	v_bfe_u32 v11, v0, 10, 10
	v_mov_b64_e32 v[8:9], 0
	s_and_b64 vcc, exec, s[0:1]
	v_mov_b64_e32 v[4:5], 0
	v_mov_b64_e32 v[2:3], 0
	;; [unrolled: 1-line block ×3, first 2 shown]
	s_cbranch_vccnz .LBB198_12
; %bb.4:
	s_mul_i32 s0, s23, s4
	s_mul_hi_u32 s1, s22, s4
	s_add_i32 s1, s1, s0
	s_mul_i32 s0, s22, s4
	s_lshl_b64 s[0:1], s[0:1], 3
	s_add_u32 s6, s18, s0
	s_addc_u32 s7, s19, s1
	s_mul_i32 s0, s17, s4
	s_mul_hi_u32 s1, s16, s4
	v_lshl_add_u32 v0, v11, 4, v7
	s_add_i32 s1, s1, s0
	s_mul_i32 s0, s16, s4
	v_and_b32_e32 v1, 31, v0
	s_lshl_b64 s[0:1], s[0:1], 3
	v_lshrrev_b32_e32 v10, 5, v0
	v_lshrrev_b32_e32 v2, 3, v0
	v_or_b32_e32 v0, s34, v1
	s_add_u32 s2, s12, s0
	v_lshlrev_b32_e32 v1, 3, v1
	v_and_b32_e32 v6, 7, v7
	s_addc_u32 s3, s13, s1
	v_lshl_or_b32 v18, v10, 8, v1
	v_ashrrev_i32_e32 v1, 31, v0
	s_waitcnt lgkmcnt(0)
	v_cmp_gt_i32_e64 s[0:1], s33, v0
	v_lshl_add_u64 v[12:13], v[0:1], 3, s[2:3]
	v_lshlrev_b32_e32 v0, 3, v6
	v_add_u32_e32 v3, s35, v2
	v_lshl_or_b32 v0, v2, 6, v0
	v_add_u32_e32 v19, 0x800, v0
	v_ashrrev_i32_e32 v0, 31, v3
	v_mul_lo_u32 v2, s20, v0
	v_mul_lo_u32 v4, s21, v3
	v_mad_u64_u32 v[0:1], s[12:13], s20, v3, 0
	v_add3_u32 v1, v1, v2, v4
	v_lshl_add_u64 v[14:15], v[0:1], 3, s[6:7]
	v_mov_b32_e32 v0, 0x800
	v_cmp_gt_i32_e64 s[2:3], s33, v3
	v_lshlrev_b32_e32 v20, 3, v7
	v_lshl_add_u32 v21, v11, 6, v0
	v_mov_b32_e32 v17, 0
	v_mov_b64_e32 v[0:1], 0
	s_mov_b64 s[6:7], 0
	v_mov_b64_e32 v[2:3], 0
	v_mov_b64_e32 v[4:5], 0
	;; [unrolled: 1-line block ×3, first 2 shown]
	s_branch .LBB198_6
.LBB198_5:                              ;   in Loop: Header=BB198_6 Depth=1
	s_or_b64 exec, exec, s[12:13]
	s_waitcnt vmcnt(0)
	ds_write_b64 v19, v[22:23]
	s_waitcnt lgkmcnt(0)
	s_barrier
	ds_read2_b64 v[22:25], v20 offset1:16
	ds_read_b128 v[26:29], v21
	ds_read_b128 v[30:33], v21 offset:16
	ds_read_b128 v[34:37], v21 offset:32
	;; [unrolled: 1-line block ×4, first 2 shown]
	ds_read2_b64 v[46:49], v20 offset0:32 offset1:48
	s_waitcnt lgkmcnt(5)
	v_fmac_f64_e32 v[8:9], v[22:23], v[26:27]
	v_fmac_f64_e32 v[4:5], v[24:25], v[26:27]
	ds_read_b128 v[50:53], v21 offset:1040
	s_waitcnt lgkmcnt(2)
	v_fmac_f64_e32 v[2:3], v[22:23], v[42:43]
	v_fmac_f64_e32 v[0:1], v[24:25], v[42:43]
	ds_read2_b64 v[22:25], v20 offset0:64 offset1:80
	s_waitcnt lgkmcnt(2)
	v_fmac_f64_e32 v[8:9], v[46:47], v[28:29]
	v_fmac_f64_e32 v[4:5], v[48:49], v[28:29]
	ds_read2_b64 v[26:29], v20 offset0:96 offset1:112
	v_fmac_f64_e32 v[2:3], v[46:47], v[44:45]
	v_fmac_f64_e32 v[0:1], v[48:49], v[44:45]
	s_waitcnt lgkmcnt(1)
	v_fmac_f64_e32 v[8:9], v[22:23], v[30:31]
	v_fmac_f64_e32 v[4:5], v[24:25], v[30:31]
	ds_read_b128 v[42:45], v21 offset:1072
	v_fmac_f64_e32 v[2:3], v[22:23], v[50:51]
	v_fmac_f64_e32 v[0:1], v[24:25], v[50:51]
	s_waitcnt lgkmcnt(1)
	v_fmac_f64_e32 v[8:9], v[26:27], v[32:33]
	ds_read2_b64 v[22:25], v20 offset0:128 offset1:144
	v_fmac_f64_e32 v[4:5], v[28:29], v[32:33]
	v_fmac_f64_e32 v[2:3], v[26:27], v[52:53]
	;; [unrolled: 1-line block ×3, first 2 shown]
	ds_read_b128 v[26:29], v21 offset:1056
	ds_read2_b64 v[30:33], v20 offset0:160 offset1:176
	s_waitcnt lgkmcnt(2)
	v_fmac_f64_e32 v[8:9], v[22:23], v[34:35]
	v_fmac_f64_e32 v[4:5], v[24:25], v[34:35]
	s_add_u32 s6, s6, 8
	s_waitcnt lgkmcnt(1)
	v_fmac_f64_e32 v[2:3], v[22:23], v[26:27]
	v_fmac_f64_e32 v[0:1], v[24:25], v[26:27]
	ds_read2_b64 v[22:25], v20 offset0:192 offset1:208
	s_waitcnt lgkmcnt(1)
	v_fmac_f64_e32 v[2:3], v[30:31], v[28:29]
	v_fmac_f64_e32 v[0:1], v[32:33], v[28:29]
	ds_read2_b64 v[26:29], v20 offset0:224 offset1:240
	v_fmac_f64_e32 v[8:9], v[30:31], v[36:37]
	s_addc_u32 s7, s7, 0
	v_fmac_f64_e32 v[4:5], v[32:33], v[36:37]
	s_waitcnt lgkmcnt(1)
	v_fmac_f64_e32 v[8:9], v[22:23], v[38:39]
	v_fmac_f64_e32 v[2:3], v[22:23], v[42:43]
	v_mov_b64_e32 v[22:23], s[6:7]
	v_fmac_f64_e32 v[4:5], v[24:25], v[38:39]
	v_fmac_f64_e32 v[0:1], v[24:25], v[42:43]
	v_cmp_gt_i64_e32 vcc, s[8:9], v[22:23]
	s_waitcnt lgkmcnt(0)
	v_fmac_f64_e32 v[8:9], v[26:27], v[40:41]
	v_fmac_f64_e32 v[4:5], v[28:29], v[40:41]
	;; [unrolled: 1-line block ×4, first 2 shown]
	s_barrier
	s_cbranch_vccz .LBB198_12
.LBB198_6:                              ; =>This Inner Loop Header: Depth=1
	v_mov_b64_e32 v[22:23], 0
	s_and_saveexec_b64 s[12:13], s[0:1]
	s_cbranch_execz .LBB198_10
; %bb.7:                                ;   in Loop: Header=BB198_6 Depth=1
	v_add_u32_e32 v16, s6, v10
	v_cmp_gt_u64_e32 vcc, s[8:9], v[16:17]
	v_mov_b64_e32 v[22:23], 0
	s_and_saveexec_b64 s[16:17], vcc
	s_cbranch_execz .LBB198_9
; %bb.8:                                ;   in Loop: Header=BB198_6 Depth=1
	v_mad_u64_u32 v[22:23], s[18:19], s14, v16, 0
	v_mov_b32_e32 v24, v23
	v_mad_u64_u32 v[24:25], s[18:19], s15, v16, v[24:25]
	v_mov_b32_e32 v23, v24
	v_lshl_add_u64 v[22:23], v[22:23], 3, v[12:13]
	global_load_dwordx2 v[22:23], v[22:23], off
.LBB198_9:                              ;   in Loop: Header=BB198_6 Depth=1
	s_or_b64 exec, exec, s[16:17]
.LBB198_10:                             ;   in Loop: Header=BB198_6 Depth=1
	s_or_b64 exec, exec, s[12:13]
	v_add_u32_e32 v16, s6, v6
	v_cmp_gt_u64_e32 vcc, s[8:9], v[16:17]
	s_waitcnt vmcnt(0)
	ds_write_b64 v18, v[22:23]
	s_and_b64 s[16:17], vcc, s[2:3]
	v_mov_b64_e32 v[22:23], 0
	s_and_saveexec_b64 s[12:13], s[16:17]
	s_cbranch_execz .LBB198_5
; %bb.11:                               ;   in Loop: Header=BB198_6 Depth=1
	v_lshl_add_u64 v[22:23], v[16:17], 3, v[14:15]
	global_load_dwordx2 v[22:23], v[22:23], off
	s_branch .LBB198_5
.LBB198_12:
	s_mul_i32 s0, s31, s4
	s_mul_hi_u32 s1, s30, s4
	s_add_i32 s1, s1, s0
	s_mul_i32 s0, s30, s4
	s_lshl_b64 s[0:1], s[0:1], 3
	s_add_u32 s4, s26, s0
	v_add_u32_e32 v14, s35, v11
	s_addc_u32 s5, s27, s1
	v_add_u32_e32 v6, s34, v7
	v_ashrrev_i32_e32 v7, 31, v14
	v_mad_u64_u32 v[10:11], s[0:1], s28, v14, 0
	v_mul_lo_u32 v7, s28, v7
	v_mul_lo_u32 v12, s29, v14
	v_cmp_neq_f64_e64 s[0:1], s[24:25], 0
	s_waitcnt lgkmcnt(0)
	v_cmp_gt_i32_e64 s[2:3], s33, v14
	v_add3_u32 v11, v11, v7, v12
	v_cmp_le_i32_e32 vcc, v6, v14
	v_cndmask_b32_e64 v12, 0, 1, s[0:1]
	v_lshl_add_u64 v[10:11], v[10:11], 3, s[4:5]
	s_and_b64 s[8:9], s[2:3], vcc
	v_ashrrev_i32_e32 v7, 31, v6
	v_cmp_ne_u32_e64 s[0:1], 1, v12
	s_and_saveexec_b64 s[6:7], s[8:9]
	s_cbranch_execz .LBB198_16
; %bb.13:
	v_mul_f64 v[8:9], s[10:11], v[8:9]
	s_and_b64 vcc, exec, s[0:1]
	v_lshl_add_u64 v[12:13], v[6:7], 3, v[10:11]
	s_cbranch_vccnz .LBB198_15
; %bb.14:
	global_load_dwordx2 v[16:17], v[12:13], off
	s_waitcnt vmcnt(0)
	v_fmac_f64_e32 v[8:9], s[24:25], v[16:17]
.LBB198_15:
	global_store_dwordx2 v[12:13], v[8:9], off
.LBB198_16:
	s_or_b64 exec, exec, s[6:7]
	v_add_u32_e32 v8, 16, v6
	v_cmp_le_i32_e32 vcc, v8, v14
	s_and_b64 s[6:7], s[2:3], vcc
	v_ashrrev_i32_e32 v9, 31, v8
	s_and_saveexec_b64 s[2:3], s[6:7]
	s_cbranch_execz .LBB198_20
; %bb.17:
	v_mul_f64 v[4:5], s[10:11], v[4:5]
	s_and_b64 vcc, exec, s[0:1]
	v_lshl_add_u64 v[10:11], v[8:9], 3, v[10:11]
	s_cbranch_vccnz .LBB198_19
; %bb.18:
	global_load_dwordx2 v[12:13], v[10:11], off
	s_waitcnt vmcnt(0)
	v_fmac_f64_e32 v[4:5], s[24:25], v[12:13]
.LBB198_19:
	global_store_dwordx2 v[10:11], v[4:5], off
.LBB198_20:
	s_or_b64 exec, exec, s[2:3]
	v_add_u32_e32 v10, 16, v14
	v_ashrrev_i32_e32 v4, 31, v10
	v_mul_lo_u32 v11, s28, v4
	v_mul_lo_u32 v12, s29, v10
	v_mad_u64_u32 v[4:5], s[6:7], s28, v10, 0
	v_cmp_gt_i32_e64 s[2:3], s33, v10
	v_add3_u32 v5, v5, v11, v12
	v_cmp_le_i32_e32 vcc, v6, v10
	v_lshl_add_u64 v[4:5], v[4:5], 3, s[4:5]
	s_and_b64 s[6:7], s[2:3], vcc
	s_and_saveexec_b64 s[4:5], s[6:7]
	s_cbranch_execz .LBB198_24
; %bb.21:
	v_mul_f64 v[2:3], s[10:11], v[2:3]
	s_and_b64 vcc, exec, s[0:1]
	v_lshl_add_u64 v[6:7], v[6:7], 3, v[4:5]
	s_cbranch_vccnz .LBB198_23
; %bb.22:
	global_load_dwordx2 v[12:13], v[6:7], off
	s_waitcnt vmcnt(0)
	v_fmac_f64_e32 v[2:3], s[24:25], v[12:13]
.LBB198_23:
	global_store_dwordx2 v[6:7], v[2:3], off
.LBB198_24:
	s_or_b64 exec, exec, s[4:5]
	v_cmp_le_i32_e32 vcc, v8, v10
	s_and_b64 s[2:3], s[2:3], vcc
	s_and_saveexec_b64 s[4:5], s[2:3]
	s_cbranch_execz .LBB198_28
; %bb.25:
	v_mul_f64 v[0:1], s[10:11], v[0:1]
	s_and_b64 vcc, exec, s[0:1]
	v_lshl_add_u64 v[2:3], v[8:9], 3, v[4:5]
	s_cbranch_vccnz .LBB198_27
; %bb.26:
	global_load_dwordx2 v[4:5], v[2:3], off
	s_waitcnt vmcnt(0)
	v_fmac_f64_e32 v[0:1], s[24:25], v[4:5]
.LBB198_27:
	global_store_dwordx2 v[2:3], v[0:1], off
.LBB198_28:
	s_endpgm
	.section	.rodata,"a",@progbits
	.p2align	6, 0x0
	.amdhsa_kernel _ZL29rocblas_internal_gemmt_kernelIlLi16ELi32ELi8ELc78ELc78ELc85ELb0ELb0EddPKdPdEviT_T9_T10_S3_lS5_S3_lS4_T11_S3_li
		.amdhsa_group_segment_fixed_size 4096
		.amdhsa_private_segment_fixed_size 0
		.amdhsa_kernarg_size 108
		.amdhsa_user_sgpr_count 2
		.amdhsa_user_sgpr_dispatch_ptr 0
		.amdhsa_user_sgpr_queue_ptr 0
		.amdhsa_user_sgpr_kernarg_segment_ptr 1
		.amdhsa_user_sgpr_dispatch_id 0
		.amdhsa_user_sgpr_kernarg_preload_length 0
		.amdhsa_user_sgpr_kernarg_preload_offset 0
		.amdhsa_user_sgpr_private_segment_size 0
		.amdhsa_uses_dynamic_stack 0
		.amdhsa_enable_private_segment 0
		.amdhsa_system_sgpr_workgroup_id_x 1
		.amdhsa_system_sgpr_workgroup_id_y 1
		.amdhsa_system_sgpr_workgroup_id_z 1
		.amdhsa_system_sgpr_workgroup_info 0
		.amdhsa_system_vgpr_workitem_id 1
		.amdhsa_next_free_vgpr 54
		.amdhsa_next_free_sgpr 36
		.amdhsa_accum_offset 56
		.amdhsa_reserve_vcc 1
		.amdhsa_float_round_mode_32 0
		.amdhsa_float_round_mode_16_64 0
		.amdhsa_float_denorm_mode_32 3
		.amdhsa_float_denorm_mode_16_64 3
		.amdhsa_dx10_clamp 1
		.amdhsa_ieee_mode 1
		.amdhsa_fp16_overflow 0
		.amdhsa_tg_split 0
		.amdhsa_exception_fp_ieee_invalid_op 0
		.amdhsa_exception_fp_denorm_src 0
		.amdhsa_exception_fp_ieee_div_zero 0
		.amdhsa_exception_fp_ieee_overflow 0
		.amdhsa_exception_fp_ieee_underflow 0
		.amdhsa_exception_fp_ieee_inexact 0
		.amdhsa_exception_int_div_zero 0
	.end_amdhsa_kernel
	.section	.text._ZL29rocblas_internal_gemmt_kernelIlLi16ELi32ELi8ELc78ELc78ELc85ELb0ELb0EddPKdPdEviT_T9_T10_S3_lS5_S3_lS4_T11_S3_li,"axG",@progbits,_ZL29rocblas_internal_gemmt_kernelIlLi16ELi32ELi8ELc78ELc78ELc85ELb0ELb0EddPKdPdEviT_T9_T10_S3_lS5_S3_lS4_T11_S3_li,comdat
.Lfunc_end198:
	.size	_ZL29rocblas_internal_gemmt_kernelIlLi16ELi32ELi8ELc78ELc78ELc85ELb0ELb0EddPKdPdEviT_T9_T10_S3_lS5_S3_lS4_T11_S3_li, .Lfunc_end198-_ZL29rocblas_internal_gemmt_kernelIlLi16ELi32ELi8ELc78ELc78ELc85ELb0ELb0EddPKdPdEviT_T9_T10_S3_lS5_S3_lS4_T11_S3_li
                                        ; -- End function
	.set _ZL29rocblas_internal_gemmt_kernelIlLi16ELi32ELi8ELc78ELc78ELc85ELb0ELb0EddPKdPdEviT_T9_T10_S3_lS5_S3_lS4_T11_S3_li.num_vgpr, 54
	.set _ZL29rocblas_internal_gemmt_kernelIlLi16ELi32ELi8ELc78ELc78ELc85ELb0ELb0EddPKdPdEviT_T9_T10_S3_lS5_S3_lS4_T11_S3_li.num_agpr, 0
	.set _ZL29rocblas_internal_gemmt_kernelIlLi16ELi32ELi8ELc78ELc78ELc85ELb0ELb0EddPKdPdEviT_T9_T10_S3_lS5_S3_lS4_T11_S3_li.numbered_sgpr, 36
	.set _ZL29rocblas_internal_gemmt_kernelIlLi16ELi32ELi8ELc78ELc78ELc85ELb0ELb0EddPKdPdEviT_T9_T10_S3_lS5_S3_lS4_T11_S3_li.num_named_barrier, 0
	.set _ZL29rocblas_internal_gemmt_kernelIlLi16ELi32ELi8ELc78ELc78ELc85ELb0ELb0EddPKdPdEviT_T9_T10_S3_lS5_S3_lS4_T11_S3_li.private_seg_size, 0
	.set _ZL29rocblas_internal_gemmt_kernelIlLi16ELi32ELi8ELc78ELc78ELc85ELb0ELb0EddPKdPdEviT_T9_T10_S3_lS5_S3_lS4_T11_S3_li.uses_vcc, 1
	.set _ZL29rocblas_internal_gemmt_kernelIlLi16ELi32ELi8ELc78ELc78ELc85ELb0ELb0EddPKdPdEviT_T9_T10_S3_lS5_S3_lS4_T11_S3_li.uses_flat_scratch, 0
	.set _ZL29rocblas_internal_gemmt_kernelIlLi16ELi32ELi8ELc78ELc78ELc85ELb0ELb0EddPKdPdEviT_T9_T10_S3_lS5_S3_lS4_T11_S3_li.has_dyn_sized_stack, 0
	.set _ZL29rocblas_internal_gemmt_kernelIlLi16ELi32ELi8ELc78ELc78ELc85ELb0ELb0EddPKdPdEviT_T9_T10_S3_lS5_S3_lS4_T11_S3_li.has_recursion, 0
	.set _ZL29rocblas_internal_gemmt_kernelIlLi16ELi32ELi8ELc78ELc78ELc85ELb0ELb0EddPKdPdEviT_T9_T10_S3_lS5_S3_lS4_T11_S3_li.has_indirect_call, 0
	.section	.AMDGPU.csdata,"",@progbits
; Kernel info:
; codeLenInByte = 1320
; TotalNumSgprs: 42
; NumVgprs: 54
; NumAgprs: 0
; TotalNumVgprs: 54
; ScratchSize: 0
; MemoryBound: 0
; FloatMode: 240
; IeeeMode: 1
; LDSByteSize: 4096 bytes/workgroup (compile time only)
; SGPRBlocks: 5
; VGPRBlocks: 6
; NumSGPRsForWavesPerEU: 42
; NumVGPRsForWavesPerEU: 54
; AccumOffset: 56
; Occupancy: 8
; WaveLimiterHint : 0
; COMPUTE_PGM_RSRC2:SCRATCH_EN: 0
; COMPUTE_PGM_RSRC2:USER_SGPR: 2
; COMPUTE_PGM_RSRC2:TRAP_HANDLER: 0
; COMPUTE_PGM_RSRC2:TGID_X_EN: 1
; COMPUTE_PGM_RSRC2:TGID_Y_EN: 1
; COMPUTE_PGM_RSRC2:TGID_Z_EN: 1
; COMPUTE_PGM_RSRC2:TIDIG_COMP_CNT: 1
; COMPUTE_PGM_RSRC3_GFX90A:ACCUM_OFFSET: 13
; COMPUTE_PGM_RSRC3_GFX90A:TG_SPLIT: 0
	.section	.text._ZL29rocblas_internal_gemmt_kernelIlLi16ELi32ELi8ELc78ELc84ELc85ELb0ELb0EddPKdPdEviT_T9_T10_S3_lS5_S3_lS4_T11_S3_li,"axG",@progbits,_ZL29rocblas_internal_gemmt_kernelIlLi16ELi32ELi8ELc78ELc84ELc85ELb0ELb0EddPKdPdEviT_T9_T10_S3_lS5_S3_lS4_T11_S3_li,comdat
	.globl	_ZL29rocblas_internal_gemmt_kernelIlLi16ELi32ELi8ELc78ELc84ELc85ELb0ELb0EddPKdPdEviT_T9_T10_S3_lS5_S3_lS4_T11_S3_li ; -- Begin function _ZL29rocblas_internal_gemmt_kernelIlLi16ELi32ELi8ELc78ELc84ELc85ELb0ELb0EddPKdPdEviT_T9_T10_S3_lS5_S3_lS4_T11_S3_li
	.p2align	8
	.type	_ZL29rocblas_internal_gemmt_kernelIlLi16ELi32ELi8ELc78ELc84ELc85ELb0ELb0EddPKdPdEviT_T9_T10_S3_lS5_S3_lS4_T11_S3_li,@function
_ZL29rocblas_internal_gemmt_kernelIlLi16ELi32ELi8ELc78ELc84ELc85ELb0ELb0EddPKdPdEviT_T9_T10_S3_lS5_S3_lS4_T11_S3_li: ; @_ZL29rocblas_internal_gemmt_kernelIlLi16ELi32ELi8ELc78ELc84ELc85ELb0ELb0EddPKdPdEviT_T9_T10_S3_lS5_S3_lS4_T11_S3_li
; %bb.0:
	s_load_dwordx8 s[24:31], s[0:1], 0x48
	s_load_dwordx16 s[8:23], s[0:1], 0x8
	s_waitcnt lgkmcnt(0)
	v_cmp_neq_f64_e64 s[6:7], s[24:25], 1.0
	s_and_b64 vcc, exec, s[6:7]
	s_cbranch_vccnz .LBB199_2
; %bb.1:
	s_cmp_lg_u64 s[8:9], 0
	s_cselect_b64 s[6:7], -1, 0
	v_cmp_neq_f64_e64 s[34:35], s[10:11], 0
	s_and_b64 s[6:7], s[6:7], s[34:35]
.LBB199_2:
	s_andn2_b64 vcc, exec, s[6:7]
	s_cbranch_vccnz .LBB199_28
; %bb.3:
	s_load_dword s33, s[0:1], 0x0
	s_lshl_b32 s34, s2, 5
	s_lshl_b32 s35, s3, 5
	v_cmp_eq_f64_e64 s[0:1], s[10:11], 0
	v_cmp_lt_i64_e64 s[2:3], s[8:9], 1
	s_or_b64 s[0:1], s[0:1], s[2:3]
	v_and_b32_e32 v9, 0x3ff, v0
	v_bfe_u32 v11, v0, 10, 10
	v_mov_b64_e32 v[6:7], 0
	s_and_b64 vcc, exec, s[0:1]
	v_mov_b64_e32 v[4:5], 0
	v_mov_b64_e32 v[2:3], 0
	;; [unrolled: 1-line block ×3, first 2 shown]
	s_cbranch_vccnz .LBB199_12
; %bb.4:
	s_mul_i32 s0, s23, s4
	s_mul_hi_u32 s1, s22, s4
	s_add_i32 s1, s1, s0
	s_mul_i32 s0, s22, s4
	s_lshl_b64 s[0:1], s[0:1], 3
	v_lshl_add_u32 v1, v11, 4, v9
	s_add_u32 s6, s18, s0
	v_lshrrev_b32_e32 v10, 5, v1
	v_lshrrev_b32_e32 v4, 3, v1
	v_and_b32_e32 v1, 31, v1
	s_addc_u32 s7, s19, s1
	s_mul_i32 s0, s17, s4
	s_mul_hi_u32 s1, s16, s4
	v_and_b32_e32 v8, 7, v9
	v_or_b32_e32 v2, s34, v1
	s_add_i32 s1, s1, s0
	s_mul_i32 s0, s16, s4
	v_lshlrev_b32_e32 v1, 3, v1
	s_lshl_b64 s[0:1], s[0:1], 3
	v_lshl_or_b32 v18, v10, 8, v1
	v_lshlrev_b32_e32 v1, 3, v8
	v_add_u32_e32 v0, s35, v4
	s_add_u32 s2, s12, s0
	v_lshl_or_b32 v1, v4, 6, v1
	s_addc_u32 s3, s13, s1
	v_ashrrev_i32_e32 v3, 31, v2
	v_add_u32_e32 v19, 0x800, v1
	v_ashrrev_i32_e32 v1, 31, v0
	v_lshl_add_u64 v[12:13], v[2:3], 3, s[2:3]
	s_waitcnt lgkmcnt(0)
	v_cmp_gt_i32_e64 s[2:3], s33, v0
	v_lshl_add_u64 v[14:15], v[0:1], 3, s[6:7]
	v_mov_b32_e32 v0, 0x800
	v_cmp_gt_i32_e64 s[0:1], s33, v2
	v_lshlrev_b32_e32 v20, 3, v9
	v_lshl_add_u32 v21, v11, 6, v0
	v_mov_b32_e32 v17, 0
	v_mov_b64_e32 v[0:1], 0
	s_mov_b64 s[6:7], 0
	v_mov_b64_e32 v[2:3], 0
	v_mov_b64_e32 v[4:5], 0
	;; [unrolled: 1-line block ×3, first 2 shown]
	s_branch .LBB199_6
.LBB199_5:                              ;   in Loop: Header=BB199_6 Depth=1
	s_or_b64 exec, exec, s[12:13]
	s_waitcnt vmcnt(0)
	ds_write_b64 v19, v[22:23]
	s_waitcnt lgkmcnt(0)
	s_barrier
	ds_read2_b64 v[22:25], v20 offset1:16
	ds_read_b128 v[26:29], v21
	ds_read_b128 v[30:33], v21 offset:16
	ds_read_b128 v[34:37], v21 offset:32
	;; [unrolled: 1-line block ×4, first 2 shown]
	ds_read2_b64 v[46:49], v20 offset0:32 offset1:48
	s_waitcnt lgkmcnt(5)
	v_fmac_f64_e32 v[6:7], v[22:23], v[26:27]
	v_fmac_f64_e32 v[4:5], v[24:25], v[26:27]
	ds_read_b128 v[50:53], v21 offset:1040
	s_waitcnt lgkmcnt(2)
	v_fmac_f64_e32 v[2:3], v[22:23], v[42:43]
	v_fmac_f64_e32 v[0:1], v[24:25], v[42:43]
	ds_read2_b64 v[22:25], v20 offset0:64 offset1:80
	s_waitcnt lgkmcnt(2)
	v_fmac_f64_e32 v[6:7], v[46:47], v[28:29]
	v_fmac_f64_e32 v[4:5], v[48:49], v[28:29]
	ds_read2_b64 v[26:29], v20 offset0:96 offset1:112
	v_fmac_f64_e32 v[2:3], v[46:47], v[44:45]
	v_fmac_f64_e32 v[0:1], v[48:49], v[44:45]
	s_waitcnt lgkmcnt(1)
	v_fmac_f64_e32 v[6:7], v[22:23], v[30:31]
	v_fmac_f64_e32 v[4:5], v[24:25], v[30:31]
	ds_read_b128 v[42:45], v21 offset:1072
	v_fmac_f64_e32 v[2:3], v[22:23], v[50:51]
	v_fmac_f64_e32 v[0:1], v[24:25], v[50:51]
	s_waitcnt lgkmcnt(1)
	v_fmac_f64_e32 v[6:7], v[26:27], v[32:33]
	ds_read2_b64 v[22:25], v20 offset0:128 offset1:144
	v_fmac_f64_e32 v[4:5], v[28:29], v[32:33]
	v_fmac_f64_e32 v[2:3], v[26:27], v[52:53]
	;; [unrolled: 1-line block ×3, first 2 shown]
	ds_read_b128 v[26:29], v21 offset:1056
	ds_read2_b64 v[30:33], v20 offset0:160 offset1:176
	s_waitcnt lgkmcnt(2)
	v_fmac_f64_e32 v[6:7], v[22:23], v[34:35]
	v_fmac_f64_e32 v[4:5], v[24:25], v[34:35]
	s_add_u32 s6, s6, 8
	s_waitcnt lgkmcnt(1)
	v_fmac_f64_e32 v[2:3], v[22:23], v[26:27]
	v_fmac_f64_e32 v[0:1], v[24:25], v[26:27]
	ds_read2_b64 v[22:25], v20 offset0:192 offset1:208
	s_waitcnt lgkmcnt(1)
	v_fmac_f64_e32 v[2:3], v[30:31], v[28:29]
	v_fmac_f64_e32 v[0:1], v[32:33], v[28:29]
	ds_read2_b64 v[26:29], v20 offset0:224 offset1:240
	v_fmac_f64_e32 v[6:7], v[30:31], v[36:37]
	s_addc_u32 s7, s7, 0
	v_fmac_f64_e32 v[4:5], v[32:33], v[36:37]
	s_waitcnt lgkmcnt(1)
	v_fmac_f64_e32 v[6:7], v[22:23], v[38:39]
	v_fmac_f64_e32 v[2:3], v[22:23], v[42:43]
	v_mov_b64_e32 v[22:23], s[6:7]
	v_fmac_f64_e32 v[4:5], v[24:25], v[38:39]
	v_fmac_f64_e32 v[0:1], v[24:25], v[42:43]
	v_cmp_gt_i64_e32 vcc, s[8:9], v[22:23]
	s_waitcnt lgkmcnt(0)
	v_fmac_f64_e32 v[6:7], v[26:27], v[40:41]
	v_fmac_f64_e32 v[4:5], v[28:29], v[40:41]
	;; [unrolled: 1-line block ×4, first 2 shown]
	s_barrier
	s_cbranch_vccz .LBB199_12
.LBB199_6:                              ; =>This Inner Loop Header: Depth=1
	v_mov_b64_e32 v[22:23], 0
	s_and_saveexec_b64 s[12:13], s[0:1]
	s_cbranch_execz .LBB199_10
; %bb.7:                                ;   in Loop: Header=BB199_6 Depth=1
	v_add_u32_e32 v16, s6, v10
	v_cmp_gt_u64_e32 vcc, s[8:9], v[16:17]
	v_mov_b64_e32 v[22:23], 0
	s_and_saveexec_b64 s[16:17], vcc
	s_cbranch_execz .LBB199_9
; %bb.8:                                ;   in Loop: Header=BB199_6 Depth=1
	v_mad_u64_u32 v[22:23], s[18:19], s14, v16, 0
	v_mov_b32_e32 v24, v23
	v_mad_u64_u32 v[24:25], s[18:19], s15, v16, v[24:25]
	v_mov_b32_e32 v23, v24
	v_lshl_add_u64 v[22:23], v[22:23], 3, v[12:13]
	global_load_dwordx2 v[22:23], v[22:23], off
.LBB199_9:                              ;   in Loop: Header=BB199_6 Depth=1
	s_or_b64 exec, exec, s[16:17]
.LBB199_10:                             ;   in Loop: Header=BB199_6 Depth=1
	s_or_b64 exec, exec, s[12:13]
	v_add_u32_e32 v16, s6, v8
	v_cmp_gt_u64_e32 vcc, s[8:9], v[16:17]
	s_waitcnt vmcnt(0)
	ds_write_b64 v18, v[22:23]
	s_and_b64 s[16:17], vcc, s[2:3]
	v_mov_b64_e32 v[22:23], 0
	s_and_saveexec_b64 s[12:13], s[16:17]
	s_cbranch_execz .LBB199_5
; %bb.11:                               ;   in Loop: Header=BB199_6 Depth=1
	v_mad_u64_u32 v[22:23], s[16:17], s20, v16, 0
	v_mov_b32_e32 v24, v23
	v_mad_u64_u32 v[24:25], s[16:17], s21, v16, v[24:25]
	v_mov_b32_e32 v23, v24
	v_lshl_add_u64 v[22:23], v[22:23], 3, v[14:15]
	global_load_dwordx2 v[22:23], v[22:23], off
	s_branch .LBB199_5
.LBB199_12:
	s_mul_i32 s0, s31, s4
	s_mul_hi_u32 s1, s30, s4
	s_add_i32 s1, s1, s0
	s_mul_i32 s0, s30, s4
	s_lshl_b64 s[0:1], s[0:1], 3
	s_add_u32 s4, s26, s0
	v_add_u32_e32 v14, s35, v11
	s_addc_u32 s5, s27, s1
	v_add_u32_e32 v8, s34, v9
	v_ashrrev_i32_e32 v9, 31, v14
	v_mad_u64_u32 v[10:11], s[0:1], s28, v14, 0
	v_mul_lo_u32 v9, s28, v9
	v_mul_lo_u32 v12, s29, v14
	v_cmp_neq_f64_e64 s[0:1], s[24:25], 0
	s_waitcnt lgkmcnt(0)
	v_cmp_gt_i32_e64 s[2:3], s33, v14
	v_add3_u32 v11, v11, v9, v12
	v_cmp_le_i32_e32 vcc, v8, v14
	v_cndmask_b32_e64 v12, 0, 1, s[0:1]
	v_lshl_add_u64 v[10:11], v[10:11], 3, s[4:5]
	s_and_b64 s[8:9], s[2:3], vcc
	v_ashrrev_i32_e32 v9, 31, v8
	v_cmp_ne_u32_e64 s[0:1], 1, v12
	s_and_saveexec_b64 s[6:7], s[8:9]
	s_cbranch_execz .LBB199_16
; %bb.13:
	v_mul_f64 v[6:7], s[10:11], v[6:7]
	s_and_b64 vcc, exec, s[0:1]
	v_lshl_add_u64 v[12:13], v[8:9], 3, v[10:11]
	s_cbranch_vccnz .LBB199_15
; %bb.14:
	global_load_dwordx2 v[16:17], v[12:13], off
	s_waitcnt vmcnt(0)
	v_fmac_f64_e32 v[6:7], s[24:25], v[16:17]
.LBB199_15:
	global_store_dwordx2 v[12:13], v[6:7], off
.LBB199_16:
	s_or_b64 exec, exec, s[6:7]
	v_add_u32_e32 v6, 16, v8
	v_cmp_le_i32_e32 vcc, v6, v14
	s_and_b64 s[6:7], s[2:3], vcc
	v_ashrrev_i32_e32 v7, 31, v6
	s_and_saveexec_b64 s[2:3], s[6:7]
	s_cbranch_execz .LBB199_20
; %bb.17:
	v_mul_f64 v[4:5], s[10:11], v[4:5]
	s_and_b64 vcc, exec, s[0:1]
	v_lshl_add_u64 v[10:11], v[6:7], 3, v[10:11]
	s_cbranch_vccnz .LBB199_19
; %bb.18:
	global_load_dwordx2 v[12:13], v[10:11], off
	s_waitcnt vmcnt(0)
	v_fmac_f64_e32 v[4:5], s[24:25], v[12:13]
.LBB199_19:
	global_store_dwordx2 v[10:11], v[4:5], off
.LBB199_20:
	s_or_b64 exec, exec, s[2:3]
	v_add_u32_e32 v10, 16, v14
	v_ashrrev_i32_e32 v4, 31, v10
	v_mul_lo_u32 v11, s28, v4
	v_mul_lo_u32 v12, s29, v10
	v_mad_u64_u32 v[4:5], s[6:7], s28, v10, 0
	v_cmp_gt_i32_e64 s[2:3], s33, v10
	v_add3_u32 v5, v5, v11, v12
	v_cmp_le_i32_e32 vcc, v8, v10
	v_lshl_add_u64 v[4:5], v[4:5], 3, s[4:5]
	s_and_b64 s[6:7], s[2:3], vcc
	s_and_saveexec_b64 s[4:5], s[6:7]
	s_cbranch_execz .LBB199_24
; %bb.21:
	v_mul_f64 v[2:3], s[10:11], v[2:3]
	s_and_b64 vcc, exec, s[0:1]
	v_lshl_add_u64 v[8:9], v[8:9], 3, v[4:5]
	s_cbranch_vccnz .LBB199_23
; %bb.22:
	global_load_dwordx2 v[12:13], v[8:9], off
	s_waitcnt vmcnt(0)
	v_fmac_f64_e32 v[2:3], s[24:25], v[12:13]
.LBB199_23:
	global_store_dwordx2 v[8:9], v[2:3], off
.LBB199_24:
	s_or_b64 exec, exec, s[4:5]
	v_cmp_le_i32_e32 vcc, v6, v10
	s_and_b64 s[2:3], s[2:3], vcc
	s_and_saveexec_b64 s[4:5], s[2:3]
	s_cbranch_execz .LBB199_28
; %bb.25:
	v_mul_f64 v[0:1], s[10:11], v[0:1]
	s_and_b64 vcc, exec, s[0:1]
	v_lshl_add_u64 v[2:3], v[6:7], 3, v[4:5]
	s_cbranch_vccnz .LBB199_27
; %bb.26:
	global_load_dwordx2 v[4:5], v[2:3], off
	s_waitcnt vmcnt(0)
	v_fmac_f64_e32 v[0:1], s[24:25], v[4:5]
.LBB199_27:
	global_store_dwordx2 v[2:3], v[0:1], off
.LBB199_28:
	s_endpgm
	.section	.rodata,"a",@progbits
	.p2align	6, 0x0
	.amdhsa_kernel _ZL29rocblas_internal_gemmt_kernelIlLi16ELi32ELi8ELc78ELc84ELc85ELb0ELb0EddPKdPdEviT_T9_T10_S3_lS5_S3_lS4_T11_S3_li
		.amdhsa_group_segment_fixed_size 4096
		.amdhsa_private_segment_fixed_size 0
		.amdhsa_kernarg_size 108
		.amdhsa_user_sgpr_count 2
		.amdhsa_user_sgpr_dispatch_ptr 0
		.amdhsa_user_sgpr_queue_ptr 0
		.amdhsa_user_sgpr_kernarg_segment_ptr 1
		.amdhsa_user_sgpr_dispatch_id 0
		.amdhsa_user_sgpr_kernarg_preload_length 0
		.amdhsa_user_sgpr_kernarg_preload_offset 0
		.amdhsa_user_sgpr_private_segment_size 0
		.amdhsa_uses_dynamic_stack 0
		.amdhsa_enable_private_segment 0
		.amdhsa_system_sgpr_workgroup_id_x 1
		.amdhsa_system_sgpr_workgroup_id_y 1
		.amdhsa_system_sgpr_workgroup_id_z 1
		.amdhsa_system_sgpr_workgroup_info 0
		.amdhsa_system_vgpr_workitem_id 1
		.amdhsa_next_free_vgpr 54
		.amdhsa_next_free_sgpr 36
		.amdhsa_accum_offset 56
		.amdhsa_reserve_vcc 1
		.amdhsa_float_round_mode_32 0
		.amdhsa_float_round_mode_16_64 0
		.amdhsa_float_denorm_mode_32 3
		.amdhsa_float_denorm_mode_16_64 3
		.amdhsa_dx10_clamp 1
		.amdhsa_ieee_mode 1
		.amdhsa_fp16_overflow 0
		.amdhsa_tg_split 0
		.amdhsa_exception_fp_ieee_invalid_op 0
		.amdhsa_exception_fp_denorm_src 0
		.amdhsa_exception_fp_ieee_div_zero 0
		.amdhsa_exception_fp_ieee_overflow 0
		.amdhsa_exception_fp_ieee_underflow 0
		.amdhsa_exception_fp_ieee_inexact 0
		.amdhsa_exception_int_div_zero 0
	.end_amdhsa_kernel
	.section	.text._ZL29rocblas_internal_gemmt_kernelIlLi16ELi32ELi8ELc78ELc84ELc85ELb0ELb0EddPKdPdEviT_T9_T10_S3_lS5_S3_lS4_T11_S3_li,"axG",@progbits,_ZL29rocblas_internal_gemmt_kernelIlLi16ELi32ELi8ELc78ELc84ELc85ELb0ELb0EddPKdPdEviT_T9_T10_S3_lS5_S3_lS4_T11_S3_li,comdat
.Lfunc_end199:
	.size	_ZL29rocblas_internal_gemmt_kernelIlLi16ELi32ELi8ELc78ELc84ELc85ELb0ELb0EddPKdPdEviT_T9_T10_S3_lS5_S3_lS4_T11_S3_li, .Lfunc_end199-_ZL29rocblas_internal_gemmt_kernelIlLi16ELi32ELi8ELc78ELc84ELc85ELb0ELb0EddPKdPdEviT_T9_T10_S3_lS5_S3_lS4_T11_S3_li
                                        ; -- End function
	.set _ZL29rocblas_internal_gemmt_kernelIlLi16ELi32ELi8ELc78ELc84ELc85ELb0ELb0EddPKdPdEviT_T9_T10_S3_lS5_S3_lS4_T11_S3_li.num_vgpr, 54
	.set _ZL29rocblas_internal_gemmt_kernelIlLi16ELi32ELi8ELc78ELc84ELc85ELb0ELb0EddPKdPdEviT_T9_T10_S3_lS5_S3_lS4_T11_S3_li.num_agpr, 0
	.set _ZL29rocblas_internal_gemmt_kernelIlLi16ELi32ELi8ELc78ELc84ELc85ELb0ELb0EddPKdPdEviT_T9_T10_S3_lS5_S3_lS4_T11_S3_li.numbered_sgpr, 36
	.set _ZL29rocblas_internal_gemmt_kernelIlLi16ELi32ELi8ELc78ELc84ELc85ELb0ELb0EddPKdPdEviT_T9_T10_S3_lS5_S3_lS4_T11_S3_li.num_named_barrier, 0
	.set _ZL29rocblas_internal_gemmt_kernelIlLi16ELi32ELi8ELc78ELc84ELc85ELb0ELb0EddPKdPdEviT_T9_T10_S3_lS5_S3_lS4_T11_S3_li.private_seg_size, 0
	.set _ZL29rocblas_internal_gemmt_kernelIlLi16ELi32ELi8ELc78ELc84ELc85ELb0ELb0EddPKdPdEviT_T9_T10_S3_lS5_S3_lS4_T11_S3_li.uses_vcc, 1
	.set _ZL29rocblas_internal_gemmt_kernelIlLi16ELi32ELi8ELc78ELc84ELc85ELb0ELb0EddPKdPdEviT_T9_T10_S3_lS5_S3_lS4_T11_S3_li.uses_flat_scratch, 0
	.set _ZL29rocblas_internal_gemmt_kernelIlLi16ELi32ELi8ELc78ELc84ELc85ELb0ELb0EddPKdPdEviT_T9_T10_S3_lS5_S3_lS4_T11_S3_li.has_dyn_sized_stack, 0
	.set _ZL29rocblas_internal_gemmt_kernelIlLi16ELi32ELi8ELc78ELc84ELc85ELb0ELb0EddPKdPdEviT_T9_T10_S3_lS5_S3_lS4_T11_S3_li.has_recursion, 0
	.set _ZL29rocblas_internal_gemmt_kernelIlLi16ELi32ELi8ELc78ELc84ELc85ELb0ELb0EddPKdPdEviT_T9_T10_S3_lS5_S3_lS4_T11_S3_li.has_indirect_call, 0
	.section	.AMDGPU.csdata,"",@progbits
; Kernel info:
; codeLenInByte = 1312
; TotalNumSgprs: 42
; NumVgprs: 54
; NumAgprs: 0
; TotalNumVgprs: 54
; ScratchSize: 0
; MemoryBound: 0
; FloatMode: 240
; IeeeMode: 1
; LDSByteSize: 4096 bytes/workgroup (compile time only)
; SGPRBlocks: 5
; VGPRBlocks: 6
; NumSGPRsForWavesPerEU: 42
; NumVGPRsForWavesPerEU: 54
; AccumOffset: 56
; Occupancy: 8
; WaveLimiterHint : 0
; COMPUTE_PGM_RSRC2:SCRATCH_EN: 0
; COMPUTE_PGM_RSRC2:USER_SGPR: 2
; COMPUTE_PGM_RSRC2:TRAP_HANDLER: 0
; COMPUTE_PGM_RSRC2:TGID_X_EN: 1
; COMPUTE_PGM_RSRC2:TGID_Y_EN: 1
; COMPUTE_PGM_RSRC2:TGID_Z_EN: 1
; COMPUTE_PGM_RSRC2:TIDIG_COMP_CNT: 1
; COMPUTE_PGM_RSRC3_GFX90A:ACCUM_OFFSET: 13
; COMPUTE_PGM_RSRC3_GFX90A:TG_SPLIT: 0
	.section	.text._ZL29rocblas_internal_gemmt_kernelIlLi16ELi32ELi8ELc78ELc67ELc85ELb0ELb0EddPKdPdEviT_T9_T10_S3_lS5_S3_lS4_T11_S3_li,"axG",@progbits,_ZL29rocblas_internal_gemmt_kernelIlLi16ELi32ELi8ELc78ELc67ELc85ELb0ELb0EddPKdPdEviT_T9_T10_S3_lS5_S3_lS4_T11_S3_li,comdat
	.globl	_ZL29rocblas_internal_gemmt_kernelIlLi16ELi32ELi8ELc78ELc67ELc85ELb0ELb0EddPKdPdEviT_T9_T10_S3_lS5_S3_lS4_T11_S3_li ; -- Begin function _ZL29rocblas_internal_gemmt_kernelIlLi16ELi32ELi8ELc78ELc67ELc85ELb0ELb0EddPKdPdEviT_T9_T10_S3_lS5_S3_lS4_T11_S3_li
	.p2align	8
	.type	_ZL29rocblas_internal_gemmt_kernelIlLi16ELi32ELi8ELc78ELc67ELc85ELb0ELb0EddPKdPdEviT_T9_T10_S3_lS5_S3_lS4_T11_S3_li,@function
_ZL29rocblas_internal_gemmt_kernelIlLi16ELi32ELi8ELc78ELc67ELc85ELb0ELb0EddPKdPdEviT_T9_T10_S3_lS5_S3_lS4_T11_S3_li: ; @_ZL29rocblas_internal_gemmt_kernelIlLi16ELi32ELi8ELc78ELc67ELc85ELb0ELb0EddPKdPdEviT_T9_T10_S3_lS5_S3_lS4_T11_S3_li
; %bb.0:
	s_load_dwordx8 s[24:31], s[0:1], 0x48
	s_load_dwordx16 s[8:23], s[0:1], 0x8
	s_waitcnt lgkmcnt(0)
	v_cmp_neq_f64_e64 s[6:7], s[24:25], 1.0
	s_and_b64 vcc, exec, s[6:7]
	s_cbranch_vccnz .LBB200_2
; %bb.1:
	s_cmp_lg_u64 s[8:9], 0
	s_cselect_b64 s[6:7], -1, 0
	v_cmp_neq_f64_e64 s[34:35], s[10:11], 0
	s_and_b64 s[6:7], s[6:7], s[34:35]
.LBB200_2:
	s_andn2_b64 vcc, exec, s[6:7]
	s_cbranch_vccnz .LBB200_28
; %bb.3:
	s_load_dword s33, s[0:1], 0x0
	s_lshl_b32 s34, s2, 5
	s_lshl_b32 s35, s3, 5
	v_cmp_eq_f64_e64 s[0:1], s[10:11], 0
	v_cmp_lt_i64_e64 s[2:3], s[8:9], 1
	s_or_b64 s[0:1], s[0:1], s[2:3]
	v_and_b32_e32 v9, 0x3ff, v0
	v_bfe_u32 v11, v0, 10, 10
	v_mov_b64_e32 v[6:7], 0
	s_and_b64 vcc, exec, s[0:1]
	v_mov_b64_e32 v[4:5], 0
	v_mov_b64_e32 v[2:3], 0
	;; [unrolled: 1-line block ×3, first 2 shown]
	s_cbranch_vccnz .LBB200_12
; %bb.4:
	s_mul_i32 s0, s23, s4
	s_mul_hi_u32 s1, s22, s4
	s_add_i32 s1, s1, s0
	s_mul_i32 s0, s22, s4
	s_lshl_b64 s[0:1], s[0:1], 3
	v_lshl_add_u32 v1, v11, 4, v9
	s_add_u32 s6, s18, s0
	v_lshrrev_b32_e32 v10, 5, v1
	v_lshrrev_b32_e32 v4, 3, v1
	v_and_b32_e32 v1, 31, v1
	s_addc_u32 s7, s19, s1
	s_mul_i32 s0, s17, s4
	s_mul_hi_u32 s1, s16, s4
	v_and_b32_e32 v8, 7, v9
	v_or_b32_e32 v2, s34, v1
	s_add_i32 s1, s1, s0
	s_mul_i32 s0, s16, s4
	v_lshlrev_b32_e32 v1, 3, v1
	s_lshl_b64 s[0:1], s[0:1], 3
	v_lshl_or_b32 v18, v10, 8, v1
	v_lshlrev_b32_e32 v1, 3, v8
	v_add_u32_e32 v0, s35, v4
	s_add_u32 s2, s12, s0
	v_lshl_or_b32 v1, v4, 6, v1
	s_addc_u32 s3, s13, s1
	v_ashrrev_i32_e32 v3, 31, v2
	v_add_u32_e32 v19, 0x800, v1
	v_ashrrev_i32_e32 v1, 31, v0
	v_lshl_add_u64 v[12:13], v[2:3], 3, s[2:3]
	s_waitcnt lgkmcnt(0)
	v_cmp_gt_i32_e64 s[2:3], s33, v0
	v_lshl_add_u64 v[14:15], v[0:1], 3, s[6:7]
	v_mov_b32_e32 v0, 0x800
	v_cmp_gt_i32_e64 s[0:1], s33, v2
	v_lshlrev_b32_e32 v20, 3, v9
	v_lshl_add_u32 v21, v11, 6, v0
	v_mov_b32_e32 v17, 0
	v_mov_b64_e32 v[0:1], 0
	s_mov_b64 s[6:7], 0
	v_mov_b64_e32 v[2:3], 0
	v_mov_b64_e32 v[4:5], 0
	;; [unrolled: 1-line block ×3, first 2 shown]
	s_branch .LBB200_6
.LBB200_5:                              ;   in Loop: Header=BB200_6 Depth=1
	s_or_b64 exec, exec, s[12:13]
	s_waitcnt vmcnt(0)
	ds_write_b64 v19, v[22:23]
	s_waitcnt lgkmcnt(0)
	s_barrier
	ds_read2_b64 v[22:25], v20 offset1:16
	ds_read_b128 v[26:29], v21
	ds_read_b128 v[30:33], v21 offset:16
	ds_read_b128 v[34:37], v21 offset:32
	;; [unrolled: 1-line block ×4, first 2 shown]
	ds_read2_b64 v[46:49], v20 offset0:32 offset1:48
	s_waitcnt lgkmcnt(5)
	v_fmac_f64_e32 v[6:7], v[22:23], v[26:27]
	v_fmac_f64_e32 v[4:5], v[24:25], v[26:27]
	ds_read_b128 v[50:53], v21 offset:1040
	s_waitcnt lgkmcnt(2)
	v_fmac_f64_e32 v[2:3], v[22:23], v[42:43]
	v_fmac_f64_e32 v[0:1], v[24:25], v[42:43]
	ds_read2_b64 v[22:25], v20 offset0:64 offset1:80
	s_waitcnt lgkmcnt(2)
	v_fmac_f64_e32 v[6:7], v[46:47], v[28:29]
	v_fmac_f64_e32 v[4:5], v[48:49], v[28:29]
	ds_read2_b64 v[26:29], v20 offset0:96 offset1:112
	v_fmac_f64_e32 v[2:3], v[46:47], v[44:45]
	v_fmac_f64_e32 v[0:1], v[48:49], v[44:45]
	s_waitcnt lgkmcnt(1)
	v_fmac_f64_e32 v[6:7], v[22:23], v[30:31]
	v_fmac_f64_e32 v[4:5], v[24:25], v[30:31]
	ds_read_b128 v[42:45], v21 offset:1072
	v_fmac_f64_e32 v[2:3], v[22:23], v[50:51]
	v_fmac_f64_e32 v[0:1], v[24:25], v[50:51]
	s_waitcnt lgkmcnt(1)
	v_fmac_f64_e32 v[6:7], v[26:27], v[32:33]
	ds_read2_b64 v[22:25], v20 offset0:128 offset1:144
	v_fmac_f64_e32 v[4:5], v[28:29], v[32:33]
	v_fmac_f64_e32 v[2:3], v[26:27], v[52:53]
	;; [unrolled: 1-line block ×3, first 2 shown]
	ds_read_b128 v[26:29], v21 offset:1056
	ds_read2_b64 v[30:33], v20 offset0:160 offset1:176
	s_waitcnt lgkmcnt(2)
	v_fmac_f64_e32 v[6:7], v[22:23], v[34:35]
	v_fmac_f64_e32 v[4:5], v[24:25], v[34:35]
	s_add_u32 s6, s6, 8
	s_waitcnt lgkmcnt(1)
	v_fmac_f64_e32 v[2:3], v[22:23], v[26:27]
	v_fmac_f64_e32 v[0:1], v[24:25], v[26:27]
	ds_read2_b64 v[22:25], v20 offset0:192 offset1:208
	s_waitcnt lgkmcnt(1)
	v_fmac_f64_e32 v[2:3], v[30:31], v[28:29]
	v_fmac_f64_e32 v[0:1], v[32:33], v[28:29]
	ds_read2_b64 v[26:29], v20 offset0:224 offset1:240
	v_fmac_f64_e32 v[6:7], v[30:31], v[36:37]
	s_addc_u32 s7, s7, 0
	v_fmac_f64_e32 v[4:5], v[32:33], v[36:37]
	s_waitcnt lgkmcnt(1)
	v_fmac_f64_e32 v[6:7], v[22:23], v[38:39]
	v_fmac_f64_e32 v[2:3], v[22:23], v[42:43]
	v_mov_b64_e32 v[22:23], s[6:7]
	v_fmac_f64_e32 v[4:5], v[24:25], v[38:39]
	v_fmac_f64_e32 v[0:1], v[24:25], v[42:43]
	v_cmp_gt_i64_e32 vcc, s[8:9], v[22:23]
	s_waitcnt lgkmcnt(0)
	v_fmac_f64_e32 v[6:7], v[26:27], v[40:41]
	v_fmac_f64_e32 v[4:5], v[28:29], v[40:41]
	v_fmac_f64_e32 v[2:3], v[26:27], v[44:45]
	v_fmac_f64_e32 v[0:1], v[28:29], v[44:45]
	s_barrier
	s_cbranch_vccz .LBB200_12
.LBB200_6:                              ; =>This Inner Loop Header: Depth=1
	v_mov_b64_e32 v[22:23], 0
	s_and_saveexec_b64 s[12:13], s[0:1]
	s_cbranch_execz .LBB200_10
; %bb.7:                                ;   in Loop: Header=BB200_6 Depth=1
	v_add_u32_e32 v16, s6, v10
	v_cmp_gt_u64_e32 vcc, s[8:9], v[16:17]
	v_mov_b64_e32 v[22:23], 0
	s_and_saveexec_b64 s[16:17], vcc
	s_cbranch_execz .LBB200_9
; %bb.8:                                ;   in Loop: Header=BB200_6 Depth=1
	v_mad_u64_u32 v[22:23], s[18:19], s14, v16, 0
	v_mov_b32_e32 v24, v23
	v_mad_u64_u32 v[24:25], s[18:19], s15, v16, v[24:25]
	v_mov_b32_e32 v23, v24
	v_lshl_add_u64 v[22:23], v[22:23], 3, v[12:13]
	global_load_dwordx2 v[22:23], v[22:23], off
.LBB200_9:                              ;   in Loop: Header=BB200_6 Depth=1
	s_or_b64 exec, exec, s[16:17]
.LBB200_10:                             ;   in Loop: Header=BB200_6 Depth=1
	s_or_b64 exec, exec, s[12:13]
	v_add_u32_e32 v16, s6, v8
	v_cmp_gt_u64_e32 vcc, s[8:9], v[16:17]
	s_waitcnt vmcnt(0)
	ds_write_b64 v18, v[22:23]
	s_and_b64 s[16:17], vcc, s[2:3]
	v_mov_b64_e32 v[22:23], 0
	s_and_saveexec_b64 s[12:13], s[16:17]
	s_cbranch_execz .LBB200_5
; %bb.11:                               ;   in Loop: Header=BB200_6 Depth=1
	v_mad_u64_u32 v[22:23], s[16:17], s20, v16, 0
	v_mov_b32_e32 v24, v23
	v_mad_u64_u32 v[24:25], s[16:17], s21, v16, v[24:25]
	v_mov_b32_e32 v23, v24
	v_lshl_add_u64 v[22:23], v[22:23], 3, v[14:15]
	global_load_dwordx2 v[22:23], v[22:23], off
	s_branch .LBB200_5
.LBB200_12:
	s_mul_i32 s0, s31, s4
	s_mul_hi_u32 s1, s30, s4
	s_add_i32 s1, s1, s0
	s_mul_i32 s0, s30, s4
	s_lshl_b64 s[0:1], s[0:1], 3
	s_add_u32 s4, s26, s0
	v_add_u32_e32 v14, s35, v11
	s_addc_u32 s5, s27, s1
	v_add_u32_e32 v8, s34, v9
	v_ashrrev_i32_e32 v9, 31, v14
	v_mad_u64_u32 v[10:11], s[0:1], s28, v14, 0
	v_mul_lo_u32 v9, s28, v9
	v_mul_lo_u32 v12, s29, v14
	v_cmp_neq_f64_e64 s[0:1], s[24:25], 0
	s_waitcnt lgkmcnt(0)
	v_cmp_gt_i32_e64 s[2:3], s33, v14
	v_add3_u32 v11, v11, v9, v12
	v_cmp_le_i32_e32 vcc, v8, v14
	v_cndmask_b32_e64 v12, 0, 1, s[0:1]
	v_lshl_add_u64 v[10:11], v[10:11], 3, s[4:5]
	s_and_b64 s[8:9], s[2:3], vcc
	v_ashrrev_i32_e32 v9, 31, v8
	v_cmp_ne_u32_e64 s[0:1], 1, v12
	s_and_saveexec_b64 s[6:7], s[8:9]
	s_cbranch_execz .LBB200_16
; %bb.13:
	v_mul_f64 v[6:7], s[10:11], v[6:7]
	s_and_b64 vcc, exec, s[0:1]
	v_lshl_add_u64 v[12:13], v[8:9], 3, v[10:11]
	s_cbranch_vccnz .LBB200_15
; %bb.14:
	global_load_dwordx2 v[16:17], v[12:13], off
	s_waitcnt vmcnt(0)
	v_fmac_f64_e32 v[6:7], s[24:25], v[16:17]
.LBB200_15:
	global_store_dwordx2 v[12:13], v[6:7], off
.LBB200_16:
	s_or_b64 exec, exec, s[6:7]
	v_add_u32_e32 v6, 16, v8
	v_cmp_le_i32_e32 vcc, v6, v14
	s_and_b64 s[6:7], s[2:3], vcc
	v_ashrrev_i32_e32 v7, 31, v6
	s_and_saveexec_b64 s[2:3], s[6:7]
	s_cbranch_execz .LBB200_20
; %bb.17:
	v_mul_f64 v[4:5], s[10:11], v[4:5]
	s_and_b64 vcc, exec, s[0:1]
	v_lshl_add_u64 v[10:11], v[6:7], 3, v[10:11]
	s_cbranch_vccnz .LBB200_19
; %bb.18:
	global_load_dwordx2 v[12:13], v[10:11], off
	s_waitcnt vmcnt(0)
	v_fmac_f64_e32 v[4:5], s[24:25], v[12:13]
.LBB200_19:
	global_store_dwordx2 v[10:11], v[4:5], off
.LBB200_20:
	s_or_b64 exec, exec, s[2:3]
	v_add_u32_e32 v10, 16, v14
	v_ashrrev_i32_e32 v4, 31, v10
	v_mul_lo_u32 v11, s28, v4
	v_mul_lo_u32 v12, s29, v10
	v_mad_u64_u32 v[4:5], s[6:7], s28, v10, 0
	v_cmp_gt_i32_e64 s[2:3], s33, v10
	v_add3_u32 v5, v5, v11, v12
	v_cmp_le_i32_e32 vcc, v8, v10
	v_lshl_add_u64 v[4:5], v[4:5], 3, s[4:5]
	s_and_b64 s[6:7], s[2:3], vcc
	s_and_saveexec_b64 s[4:5], s[6:7]
	s_cbranch_execz .LBB200_24
; %bb.21:
	v_mul_f64 v[2:3], s[10:11], v[2:3]
	s_and_b64 vcc, exec, s[0:1]
	v_lshl_add_u64 v[8:9], v[8:9], 3, v[4:5]
	s_cbranch_vccnz .LBB200_23
; %bb.22:
	global_load_dwordx2 v[12:13], v[8:9], off
	s_waitcnt vmcnt(0)
	v_fmac_f64_e32 v[2:3], s[24:25], v[12:13]
.LBB200_23:
	global_store_dwordx2 v[8:9], v[2:3], off
.LBB200_24:
	s_or_b64 exec, exec, s[4:5]
	v_cmp_le_i32_e32 vcc, v6, v10
	s_and_b64 s[2:3], s[2:3], vcc
	s_and_saveexec_b64 s[4:5], s[2:3]
	s_cbranch_execz .LBB200_28
; %bb.25:
	v_mul_f64 v[0:1], s[10:11], v[0:1]
	s_and_b64 vcc, exec, s[0:1]
	v_lshl_add_u64 v[2:3], v[6:7], 3, v[4:5]
	s_cbranch_vccnz .LBB200_27
; %bb.26:
	global_load_dwordx2 v[4:5], v[2:3], off
	s_waitcnt vmcnt(0)
	v_fmac_f64_e32 v[0:1], s[24:25], v[4:5]
.LBB200_27:
	global_store_dwordx2 v[2:3], v[0:1], off
.LBB200_28:
	s_endpgm
	.section	.rodata,"a",@progbits
	.p2align	6, 0x0
	.amdhsa_kernel _ZL29rocblas_internal_gemmt_kernelIlLi16ELi32ELi8ELc78ELc67ELc85ELb0ELb0EddPKdPdEviT_T9_T10_S3_lS5_S3_lS4_T11_S3_li
		.amdhsa_group_segment_fixed_size 4096
		.amdhsa_private_segment_fixed_size 0
		.amdhsa_kernarg_size 108
		.amdhsa_user_sgpr_count 2
		.amdhsa_user_sgpr_dispatch_ptr 0
		.amdhsa_user_sgpr_queue_ptr 0
		.amdhsa_user_sgpr_kernarg_segment_ptr 1
		.amdhsa_user_sgpr_dispatch_id 0
		.amdhsa_user_sgpr_kernarg_preload_length 0
		.amdhsa_user_sgpr_kernarg_preload_offset 0
		.amdhsa_user_sgpr_private_segment_size 0
		.amdhsa_uses_dynamic_stack 0
		.amdhsa_enable_private_segment 0
		.amdhsa_system_sgpr_workgroup_id_x 1
		.amdhsa_system_sgpr_workgroup_id_y 1
		.amdhsa_system_sgpr_workgroup_id_z 1
		.amdhsa_system_sgpr_workgroup_info 0
		.amdhsa_system_vgpr_workitem_id 1
		.amdhsa_next_free_vgpr 54
		.amdhsa_next_free_sgpr 36
		.amdhsa_accum_offset 56
		.amdhsa_reserve_vcc 1
		.amdhsa_float_round_mode_32 0
		.amdhsa_float_round_mode_16_64 0
		.amdhsa_float_denorm_mode_32 3
		.amdhsa_float_denorm_mode_16_64 3
		.amdhsa_dx10_clamp 1
		.amdhsa_ieee_mode 1
		.amdhsa_fp16_overflow 0
		.amdhsa_tg_split 0
		.amdhsa_exception_fp_ieee_invalid_op 0
		.amdhsa_exception_fp_denorm_src 0
		.amdhsa_exception_fp_ieee_div_zero 0
		.amdhsa_exception_fp_ieee_overflow 0
		.amdhsa_exception_fp_ieee_underflow 0
		.amdhsa_exception_fp_ieee_inexact 0
		.amdhsa_exception_int_div_zero 0
	.end_amdhsa_kernel
	.section	.text._ZL29rocblas_internal_gemmt_kernelIlLi16ELi32ELi8ELc78ELc67ELc85ELb0ELb0EddPKdPdEviT_T9_T10_S3_lS5_S3_lS4_T11_S3_li,"axG",@progbits,_ZL29rocblas_internal_gemmt_kernelIlLi16ELi32ELi8ELc78ELc67ELc85ELb0ELb0EddPKdPdEviT_T9_T10_S3_lS5_S3_lS4_T11_S3_li,comdat
.Lfunc_end200:
	.size	_ZL29rocblas_internal_gemmt_kernelIlLi16ELi32ELi8ELc78ELc67ELc85ELb0ELb0EddPKdPdEviT_T9_T10_S3_lS5_S3_lS4_T11_S3_li, .Lfunc_end200-_ZL29rocblas_internal_gemmt_kernelIlLi16ELi32ELi8ELc78ELc67ELc85ELb0ELb0EddPKdPdEviT_T9_T10_S3_lS5_S3_lS4_T11_S3_li
                                        ; -- End function
	.set _ZL29rocblas_internal_gemmt_kernelIlLi16ELi32ELi8ELc78ELc67ELc85ELb0ELb0EddPKdPdEviT_T9_T10_S3_lS5_S3_lS4_T11_S3_li.num_vgpr, 54
	.set _ZL29rocblas_internal_gemmt_kernelIlLi16ELi32ELi8ELc78ELc67ELc85ELb0ELb0EddPKdPdEviT_T9_T10_S3_lS5_S3_lS4_T11_S3_li.num_agpr, 0
	.set _ZL29rocblas_internal_gemmt_kernelIlLi16ELi32ELi8ELc78ELc67ELc85ELb0ELb0EddPKdPdEviT_T9_T10_S3_lS5_S3_lS4_T11_S3_li.numbered_sgpr, 36
	.set _ZL29rocblas_internal_gemmt_kernelIlLi16ELi32ELi8ELc78ELc67ELc85ELb0ELb0EddPKdPdEviT_T9_T10_S3_lS5_S3_lS4_T11_S3_li.num_named_barrier, 0
	.set _ZL29rocblas_internal_gemmt_kernelIlLi16ELi32ELi8ELc78ELc67ELc85ELb0ELb0EddPKdPdEviT_T9_T10_S3_lS5_S3_lS4_T11_S3_li.private_seg_size, 0
	.set _ZL29rocblas_internal_gemmt_kernelIlLi16ELi32ELi8ELc78ELc67ELc85ELb0ELb0EddPKdPdEviT_T9_T10_S3_lS5_S3_lS4_T11_S3_li.uses_vcc, 1
	.set _ZL29rocblas_internal_gemmt_kernelIlLi16ELi32ELi8ELc78ELc67ELc85ELb0ELb0EddPKdPdEviT_T9_T10_S3_lS5_S3_lS4_T11_S3_li.uses_flat_scratch, 0
	.set _ZL29rocblas_internal_gemmt_kernelIlLi16ELi32ELi8ELc78ELc67ELc85ELb0ELb0EddPKdPdEviT_T9_T10_S3_lS5_S3_lS4_T11_S3_li.has_dyn_sized_stack, 0
	.set _ZL29rocblas_internal_gemmt_kernelIlLi16ELi32ELi8ELc78ELc67ELc85ELb0ELb0EddPKdPdEviT_T9_T10_S3_lS5_S3_lS4_T11_S3_li.has_recursion, 0
	.set _ZL29rocblas_internal_gemmt_kernelIlLi16ELi32ELi8ELc78ELc67ELc85ELb0ELb0EddPKdPdEviT_T9_T10_S3_lS5_S3_lS4_T11_S3_li.has_indirect_call, 0
	.section	.AMDGPU.csdata,"",@progbits
; Kernel info:
; codeLenInByte = 1312
; TotalNumSgprs: 42
; NumVgprs: 54
; NumAgprs: 0
; TotalNumVgprs: 54
; ScratchSize: 0
; MemoryBound: 0
; FloatMode: 240
; IeeeMode: 1
; LDSByteSize: 4096 bytes/workgroup (compile time only)
; SGPRBlocks: 5
; VGPRBlocks: 6
; NumSGPRsForWavesPerEU: 42
; NumVGPRsForWavesPerEU: 54
; AccumOffset: 56
; Occupancy: 8
; WaveLimiterHint : 0
; COMPUTE_PGM_RSRC2:SCRATCH_EN: 0
; COMPUTE_PGM_RSRC2:USER_SGPR: 2
; COMPUTE_PGM_RSRC2:TRAP_HANDLER: 0
; COMPUTE_PGM_RSRC2:TGID_X_EN: 1
; COMPUTE_PGM_RSRC2:TGID_Y_EN: 1
; COMPUTE_PGM_RSRC2:TGID_Z_EN: 1
; COMPUTE_PGM_RSRC2:TIDIG_COMP_CNT: 1
; COMPUTE_PGM_RSRC3_GFX90A:ACCUM_OFFSET: 13
; COMPUTE_PGM_RSRC3_GFX90A:TG_SPLIT: 0
	.section	.text._ZL29rocblas_internal_gemmt_kernelIlLi16ELi32ELi8ELc84ELc78ELc85ELb0ELb0EddPKdPdEviT_T9_T10_S3_lS5_S3_lS4_T11_S3_li,"axG",@progbits,_ZL29rocblas_internal_gemmt_kernelIlLi16ELi32ELi8ELc84ELc78ELc85ELb0ELb0EddPKdPdEviT_T9_T10_S3_lS5_S3_lS4_T11_S3_li,comdat
	.globl	_ZL29rocblas_internal_gemmt_kernelIlLi16ELi32ELi8ELc84ELc78ELc85ELb0ELb0EddPKdPdEviT_T9_T10_S3_lS5_S3_lS4_T11_S3_li ; -- Begin function _ZL29rocblas_internal_gemmt_kernelIlLi16ELi32ELi8ELc84ELc78ELc85ELb0ELb0EddPKdPdEviT_T9_T10_S3_lS5_S3_lS4_T11_S3_li
	.p2align	8
	.type	_ZL29rocblas_internal_gemmt_kernelIlLi16ELi32ELi8ELc84ELc78ELc85ELb0ELb0EddPKdPdEviT_T9_T10_S3_lS5_S3_lS4_T11_S3_li,@function
_ZL29rocblas_internal_gemmt_kernelIlLi16ELi32ELi8ELc84ELc78ELc85ELb0ELb0EddPKdPdEviT_T9_T10_S3_lS5_S3_lS4_T11_S3_li: ; @_ZL29rocblas_internal_gemmt_kernelIlLi16ELi32ELi8ELc84ELc78ELc85ELb0ELb0EddPKdPdEviT_T9_T10_S3_lS5_S3_lS4_T11_S3_li
; %bb.0:
	s_load_dwordx8 s[24:31], s[0:1], 0x48
	s_load_dwordx16 s[8:23], s[0:1], 0x8
	s_waitcnt lgkmcnt(0)
	v_cmp_neq_f64_e64 s[6:7], s[24:25], 1.0
	s_and_b64 vcc, exec, s[6:7]
	s_cbranch_vccnz .LBB201_2
; %bb.1:
	s_cmp_lg_u64 s[8:9], 0
	s_cselect_b64 s[6:7], -1, 0
	v_cmp_neq_f64_e64 s[34:35], s[10:11], 0
	s_and_b64 s[6:7], s[6:7], s[34:35]
.LBB201_2:
	s_andn2_b64 vcc, exec, s[6:7]
	s_cbranch_vccnz .LBB201_28
; %bb.3:
	s_load_dword s33, s[0:1], 0x0
	s_lshl_b32 s34, s2, 5
	s_lshl_b32 s35, s3, 5
	v_cmp_eq_f64_e64 s[0:1], s[10:11], 0
	v_cmp_lt_i64_e64 s[2:3], s[8:9], 1
	s_or_b64 s[0:1], s[0:1], s[2:3]
	v_and_b32_e32 v7, 0x3ff, v0
	v_bfe_u32 v9, v0, 10, 10
	v_mov_b64_e32 v[10:11], 0
	s_and_b64 vcc, exec, s[0:1]
	v_mov_b64_e32 v[4:5], 0
	v_mov_b64_e32 v[2:3], 0
	;; [unrolled: 1-line block ×3, first 2 shown]
	s_cbranch_vccnz .LBB201_12
; %bb.4:
	s_mul_i32 s0, s23, s4
	s_mul_hi_u32 s1, s22, s4
	s_add_i32 s1, s1, s0
	s_mul_i32 s0, s22, s4
	s_lshl_b64 s[0:1], s[0:1], 3
	s_add_u32 s6, s18, s0
	s_addc_u32 s7, s19, s1
	s_mul_i32 s0, s17, s4
	s_mul_hi_u32 s1, s16, s4
	s_add_i32 s1, s1, s0
	s_mul_i32 s0, s16, s4
	v_lshl_add_u32 v0, v9, 4, v7
	s_lshl_b64 s[0:1], s[0:1], 3
	v_lshrrev_b32_e32 v8, 5, v0
	v_lshrrev_b32_e32 v2, 3, v0
	v_and_b32_e32 v0, 31, v0
	s_add_u32 s2, s12, s0
	v_or_b32_e32 v1, s34, v0
	s_addc_u32 s3, s13, s1
	v_lshlrev_b32_e32 v0, 3, v0
	s_ashr_i32 s5, s34, 31
	s_waitcnt lgkmcnt(0)
	v_cmp_gt_i32_e64 s[0:1], s33, v1
	v_lshl_or_b32 v18, v8, 8, v0
	v_mul_lo_u32 v4, s15, v1
	v_mad_u64_u32 v[0:1], s[12:13], s14, v1, 0
	s_mul_i32 s5, s14, s5
	v_and_b32_e32 v6, 7, v7
	v_add3_u32 v1, v1, s5, v4
	v_lshl_add_u64 v[12:13], v[0:1], 3, s[2:3]
	v_lshlrev_b32_e32 v0, 3, v6
	v_add_u32_e32 v3, s35, v2
	v_lshl_or_b32 v0, v2, 6, v0
	v_add_u32_e32 v19, 0x800, v0
	v_ashrrev_i32_e32 v0, 31, v3
	v_mul_lo_u32 v2, s20, v0
	v_mul_lo_u32 v4, s21, v3
	v_mad_u64_u32 v[0:1], s[12:13], s20, v3, 0
	v_add3_u32 v1, v1, v2, v4
	v_lshl_add_u64 v[14:15], v[0:1], 3, s[6:7]
	v_mov_b32_e32 v0, 0x800
	v_cmp_gt_i32_e64 s[2:3], s33, v3
	v_lshlrev_b32_e32 v20, 3, v7
	v_lshl_add_u32 v21, v9, 6, v0
	v_mov_b32_e32 v17, 0
	v_mov_b64_e32 v[0:1], 0
	s_mov_b64 s[6:7], 0
	v_mov_b64_e32 v[2:3], 0
	v_mov_b64_e32 v[4:5], 0
	;; [unrolled: 1-line block ×3, first 2 shown]
	s_branch .LBB201_6
.LBB201_5:                              ;   in Loop: Header=BB201_6 Depth=1
	s_or_b64 exec, exec, s[12:13]
	s_waitcnt vmcnt(0)
	ds_write_b64 v19, v[22:23]
	s_waitcnt lgkmcnt(0)
	s_barrier
	ds_read2_b64 v[22:25], v20 offset1:16
	ds_read_b128 v[26:29], v21
	ds_read_b128 v[30:33], v21 offset:16
	ds_read_b128 v[34:37], v21 offset:32
	;; [unrolled: 1-line block ×4, first 2 shown]
	ds_read2_b64 v[46:49], v20 offset0:32 offset1:48
	s_waitcnt lgkmcnt(5)
	v_fmac_f64_e32 v[10:11], v[22:23], v[26:27]
	v_fmac_f64_e32 v[4:5], v[24:25], v[26:27]
	ds_read_b128 v[50:53], v21 offset:1040
	s_waitcnt lgkmcnt(2)
	v_fmac_f64_e32 v[2:3], v[22:23], v[42:43]
	v_fmac_f64_e32 v[0:1], v[24:25], v[42:43]
	ds_read2_b64 v[22:25], v20 offset0:64 offset1:80
	s_waitcnt lgkmcnt(2)
	v_fmac_f64_e32 v[10:11], v[46:47], v[28:29]
	v_fmac_f64_e32 v[4:5], v[48:49], v[28:29]
	ds_read2_b64 v[26:29], v20 offset0:96 offset1:112
	v_fmac_f64_e32 v[2:3], v[46:47], v[44:45]
	v_fmac_f64_e32 v[0:1], v[48:49], v[44:45]
	s_waitcnt lgkmcnt(1)
	v_fmac_f64_e32 v[10:11], v[22:23], v[30:31]
	v_fmac_f64_e32 v[4:5], v[24:25], v[30:31]
	ds_read_b128 v[42:45], v21 offset:1072
	v_fmac_f64_e32 v[2:3], v[22:23], v[50:51]
	v_fmac_f64_e32 v[0:1], v[24:25], v[50:51]
	s_waitcnt lgkmcnt(1)
	v_fmac_f64_e32 v[10:11], v[26:27], v[32:33]
	ds_read2_b64 v[22:25], v20 offset0:128 offset1:144
	v_fmac_f64_e32 v[4:5], v[28:29], v[32:33]
	v_fmac_f64_e32 v[2:3], v[26:27], v[52:53]
	;; [unrolled: 1-line block ×3, first 2 shown]
	ds_read_b128 v[26:29], v21 offset:1056
	ds_read2_b64 v[30:33], v20 offset0:160 offset1:176
	s_waitcnt lgkmcnt(2)
	v_fmac_f64_e32 v[10:11], v[22:23], v[34:35]
	v_fmac_f64_e32 v[4:5], v[24:25], v[34:35]
	s_add_u32 s6, s6, 8
	s_waitcnt lgkmcnt(1)
	v_fmac_f64_e32 v[2:3], v[22:23], v[26:27]
	v_fmac_f64_e32 v[0:1], v[24:25], v[26:27]
	ds_read2_b64 v[22:25], v20 offset0:192 offset1:208
	s_waitcnt lgkmcnt(1)
	v_fmac_f64_e32 v[2:3], v[30:31], v[28:29]
	v_fmac_f64_e32 v[0:1], v[32:33], v[28:29]
	ds_read2_b64 v[26:29], v20 offset0:224 offset1:240
	v_fmac_f64_e32 v[10:11], v[30:31], v[36:37]
	s_addc_u32 s7, s7, 0
	v_fmac_f64_e32 v[4:5], v[32:33], v[36:37]
	s_waitcnt lgkmcnt(1)
	v_fmac_f64_e32 v[10:11], v[22:23], v[38:39]
	v_fmac_f64_e32 v[2:3], v[22:23], v[42:43]
	v_mov_b64_e32 v[22:23], s[6:7]
	v_fmac_f64_e32 v[4:5], v[24:25], v[38:39]
	v_fmac_f64_e32 v[0:1], v[24:25], v[42:43]
	v_cmp_gt_i64_e32 vcc, s[8:9], v[22:23]
	s_waitcnt lgkmcnt(0)
	v_fmac_f64_e32 v[10:11], v[26:27], v[40:41]
	v_fmac_f64_e32 v[4:5], v[28:29], v[40:41]
	;; [unrolled: 1-line block ×4, first 2 shown]
	s_barrier
	s_cbranch_vccz .LBB201_12
.LBB201_6:                              ; =>This Inner Loop Header: Depth=1
	v_mov_b64_e32 v[22:23], 0
	s_and_saveexec_b64 s[12:13], s[0:1]
	s_cbranch_execz .LBB201_10
; %bb.7:                                ;   in Loop: Header=BB201_6 Depth=1
	v_add_u32_e32 v16, s6, v8
	v_cmp_gt_u64_e32 vcc, s[8:9], v[16:17]
	v_mov_b64_e32 v[22:23], 0
	s_and_saveexec_b64 s[14:15], vcc
	s_cbranch_execz .LBB201_9
; %bb.8:                                ;   in Loop: Header=BB201_6 Depth=1
	v_lshl_add_u64 v[22:23], v[16:17], 3, v[12:13]
	global_load_dwordx2 v[22:23], v[22:23], off
.LBB201_9:                              ;   in Loop: Header=BB201_6 Depth=1
	s_or_b64 exec, exec, s[14:15]
.LBB201_10:                             ;   in Loop: Header=BB201_6 Depth=1
	s_or_b64 exec, exec, s[12:13]
	v_add_u32_e32 v16, s6, v6
	v_cmp_gt_u64_e32 vcc, s[8:9], v[16:17]
	s_waitcnt vmcnt(0)
	ds_write_b64 v18, v[22:23]
	s_and_b64 s[14:15], vcc, s[2:3]
	v_mov_b64_e32 v[22:23], 0
	s_and_saveexec_b64 s[12:13], s[14:15]
	s_cbranch_execz .LBB201_5
; %bb.11:                               ;   in Loop: Header=BB201_6 Depth=1
	v_lshl_add_u64 v[22:23], v[16:17], 3, v[14:15]
	global_load_dwordx2 v[22:23], v[22:23], off
	s_branch .LBB201_5
.LBB201_12:
	s_mul_i32 s0, s31, s4
	s_mul_hi_u32 s1, s30, s4
	s_add_i32 s1, s1, s0
	s_mul_i32 s0, s30, s4
	s_lshl_b64 s[0:1], s[0:1], 3
	v_add_u32_e32 v14, s35, v9
	s_add_u32 s4, s26, s0
	v_add_u32_e32 v6, s34, v7
	v_ashrrev_i32_e32 v7, 31, v14
	s_addc_u32 s5, s27, s1
	v_mul_lo_u32 v7, s28, v7
	v_mul_lo_u32 v12, s29, v14
	v_mad_u64_u32 v[8:9], s[0:1], s28, v14, 0
	v_add3_u32 v9, v9, v7, v12
	v_cmp_neq_f64_e64 s[0:1], s[24:25], 0
	s_waitcnt lgkmcnt(0)
	v_cmp_gt_i32_e64 s[2:3], s33, v14
	v_lshl_add_u64 v[12:13], v[8:9], 3, s[4:5]
	v_cmp_le_i32_e32 vcc, v6, v14
	v_cndmask_b32_e64 v8, 0, 1, s[0:1]
	s_and_b64 s[8:9], s[2:3], vcc
	v_ashrrev_i32_e32 v7, 31, v6
	v_cmp_ne_u32_e64 s[0:1], 1, v8
	s_and_saveexec_b64 s[6:7], s[8:9]
	s_cbranch_execz .LBB201_16
; %bb.13:
	v_mul_f64 v[8:9], s[10:11], v[10:11]
	s_and_b64 vcc, exec, s[0:1]
	v_lshl_add_u64 v[10:11], v[6:7], 3, v[12:13]
	s_cbranch_vccnz .LBB201_15
; %bb.14:
	global_load_dwordx2 v[16:17], v[10:11], off
	s_waitcnt vmcnt(0)
	v_fmac_f64_e32 v[8:9], s[24:25], v[16:17]
.LBB201_15:
	global_store_dwordx2 v[10:11], v[8:9], off
.LBB201_16:
	s_or_b64 exec, exec, s[6:7]
	v_add_u32_e32 v8, 16, v6
	v_cmp_le_i32_e32 vcc, v8, v14
	s_and_b64 s[6:7], s[2:3], vcc
	v_ashrrev_i32_e32 v9, 31, v8
	s_and_saveexec_b64 s[2:3], s[6:7]
	s_cbranch_execz .LBB201_20
; %bb.17:
	v_mul_f64 v[4:5], s[10:11], v[4:5]
	s_and_b64 vcc, exec, s[0:1]
	v_lshl_add_u64 v[10:11], v[8:9], 3, v[12:13]
	s_cbranch_vccnz .LBB201_19
; %bb.18:
	global_load_dwordx2 v[12:13], v[10:11], off
	s_waitcnt vmcnt(0)
	v_fmac_f64_e32 v[4:5], s[24:25], v[12:13]
.LBB201_19:
	global_store_dwordx2 v[10:11], v[4:5], off
.LBB201_20:
	s_or_b64 exec, exec, s[2:3]
	v_add_u32_e32 v10, 16, v14
	v_ashrrev_i32_e32 v4, 31, v10
	v_mul_lo_u32 v11, s28, v4
	v_mul_lo_u32 v12, s29, v10
	v_mad_u64_u32 v[4:5], s[6:7], s28, v10, 0
	v_cmp_gt_i32_e64 s[2:3], s33, v10
	v_add3_u32 v5, v5, v11, v12
	v_cmp_le_i32_e32 vcc, v6, v10
	v_lshl_add_u64 v[4:5], v[4:5], 3, s[4:5]
	s_and_b64 s[6:7], s[2:3], vcc
	s_and_saveexec_b64 s[4:5], s[6:7]
	s_cbranch_execz .LBB201_24
; %bb.21:
	v_mul_f64 v[2:3], s[10:11], v[2:3]
	s_and_b64 vcc, exec, s[0:1]
	v_lshl_add_u64 v[6:7], v[6:7], 3, v[4:5]
	s_cbranch_vccnz .LBB201_23
; %bb.22:
	global_load_dwordx2 v[12:13], v[6:7], off
	s_waitcnt vmcnt(0)
	v_fmac_f64_e32 v[2:3], s[24:25], v[12:13]
.LBB201_23:
	global_store_dwordx2 v[6:7], v[2:3], off
.LBB201_24:
	s_or_b64 exec, exec, s[4:5]
	v_cmp_le_i32_e32 vcc, v8, v10
	s_and_b64 s[2:3], s[2:3], vcc
	s_and_saveexec_b64 s[4:5], s[2:3]
	s_cbranch_execz .LBB201_28
; %bb.25:
	v_mul_f64 v[0:1], s[10:11], v[0:1]
	s_and_b64 vcc, exec, s[0:1]
	v_lshl_add_u64 v[2:3], v[8:9], 3, v[4:5]
	s_cbranch_vccnz .LBB201_27
; %bb.26:
	global_load_dwordx2 v[4:5], v[2:3], off
	s_waitcnt vmcnt(0)
	v_fmac_f64_e32 v[0:1], s[24:25], v[4:5]
.LBB201_27:
	global_store_dwordx2 v[2:3], v[0:1], off
.LBB201_28:
	s_endpgm
	.section	.rodata,"a",@progbits
	.p2align	6, 0x0
	.amdhsa_kernel _ZL29rocblas_internal_gemmt_kernelIlLi16ELi32ELi8ELc84ELc78ELc85ELb0ELb0EddPKdPdEviT_T9_T10_S3_lS5_S3_lS4_T11_S3_li
		.amdhsa_group_segment_fixed_size 4096
		.amdhsa_private_segment_fixed_size 0
		.amdhsa_kernarg_size 108
		.amdhsa_user_sgpr_count 2
		.amdhsa_user_sgpr_dispatch_ptr 0
		.amdhsa_user_sgpr_queue_ptr 0
		.amdhsa_user_sgpr_kernarg_segment_ptr 1
		.amdhsa_user_sgpr_dispatch_id 0
		.amdhsa_user_sgpr_kernarg_preload_length 0
		.amdhsa_user_sgpr_kernarg_preload_offset 0
		.amdhsa_user_sgpr_private_segment_size 0
		.amdhsa_uses_dynamic_stack 0
		.amdhsa_enable_private_segment 0
		.amdhsa_system_sgpr_workgroup_id_x 1
		.amdhsa_system_sgpr_workgroup_id_y 1
		.amdhsa_system_sgpr_workgroup_id_z 1
		.amdhsa_system_sgpr_workgroup_info 0
		.amdhsa_system_vgpr_workitem_id 1
		.amdhsa_next_free_vgpr 54
		.amdhsa_next_free_sgpr 36
		.amdhsa_accum_offset 56
		.amdhsa_reserve_vcc 1
		.amdhsa_float_round_mode_32 0
		.amdhsa_float_round_mode_16_64 0
		.amdhsa_float_denorm_mode_32 3
		.amdhsa_float_denorm_mode_16_64 3
		.amdhsa_dx10_clamp 1
		.amdhsa_ieee_mode 1
		.amdhsa_fp16_overflow 0
		.amdhsa_tg_split 0
		.amdhsa_exception_fp_ieee_invalid_op 0
		.amdhsa_exception_fp_denorm_src 0
		.amdhsa_exception_fp_ieee_div_zero 0
		.amdhsa_exception_fp_ieee_overflow 0
		.amdhsa_exception_fp_ieee_underflow 0
		.amdhsa_exception_fp_ieee_inexact 0
		.amdhsa_exception_int_div_zero 0
	.end_amdhsa_kernel
	.section	.text._ZL29rocblas_internal_gemmt_kernelIlLi16ELi32ELi8ELc84ELc78ELc85ELb0ELb0EddPKdPdEviT_T9_T10_S3_lS5_S3_lS4_T11_S3_li,"axG",@progbits,_ZL29rocblas_internal_gemmt_kernelIlLi16ELi32ELi8ELc84ELc78ELc85ELb0ELb0EddPKdPdEviT_T9_T10_S3_lS5_S3_lS4_T11_S3_li,comdat
.Lfunc_end201:
	.size	_ZL29rocblas_internal_gemmt_kernelIlLi16ELi32ELi8ELc84ELc78ELc85ELb0ELb0EddPKdPdEviT_T9_T10_S3_lS5_S3_lS4_T11_S3_li, .Lfunc_end201-_ZL29rocblas_internal_gemmt_kernelIlLi16ELi32ELi8ELc84ELc78ELc85ELb0ELb0EddPKdPdEviT_T9_T10_S3_lS5_S3_lS4_T11_S3_li
                                        ; -- End function
	.set _ZL29rocblas_internal_gemmt_kernelIlLi16ELi32ELi8ELc84ELc78ELc85ELb0ELb0EddPKdPdEviT_T9_T10_S3_lS5_S3_lS4_T11_S3_li.num_vgpr, 54
	.set _ZL29rocblas_internal_gemmt_kernelIlLi16ELi32ELi8ELc84ELc78ELc85ELb0ELb0EddPKdPdEviT_T9_T10_S3_lS5_S3_lS4_T11_S3_li.num_agpr, 0
	.set _ZL29rocblas_internal_gemmt_kernelIlLi16ELi32ELi8ELc84ELc78ELc85ELb0ELb0EddPKdPdEviT_T9_T10_S3_lS5_S3_lS4_T11_S3_li.numbered_sgpr, 36
	.set _ZL29rocblas_internal_gemmt_kernelIlLi16ELi32ELi8ELc84ELc78ELc85ELb0ELb0EddPKdPdEviT_T9_T10_S3_lS5_S3_lS4_T11_S3_li.num_named_barrier, 0
	.set _ZL29rocblas_internal_gemmt_kernelIlLi16ELi32ELi8ELc84ELc78ELc85ELb0ELb0EddPKdPdEviT_T9_T10_S3_lS5_S3_lS4_T11_S3_li.private_seg_size, 0
	.set _ZL29rocblas_internal_gemmt_kernelIlLi16ELi32ELi8ELc84ELc78ELc85ELb0ELb0EddPKdPdEviT_T9_T10_S3_lS5_S3_lS4_T11_S3_li.uses_vcc, 1
	.set _ZL29rocblas_internal_gemmt_kernelIlLi16ELi32ELi8ELc84ELc78ELc85ELb0ELb0EddPKdPdEviT_T9_T10_S3_lS5_S3_lS4_T11_S3_li.uses_flat_scratch, 0
	.set _ZL29rocblas_internal_gemmt_kernelIlLi16ELi32ELi8ELc84ELc78ELc85ELb0ELb0EddPKdPdEviT_T9_T10_S3_lS5_S3_lS4_T11_S3_li.has_dyn_sized_stack, 0
	.set _ZL29rocblas_internal_gemmt_kernelIlLi16ELi32ELi8ELc84ELc78ELc85ELb0ELb0EddPKdPdEviT_T9_T10_S3_lS5_S3_lS4_T11_S3_li.has_recursion, 0
	.set _ZL29rocblas_internal_gemmt_kernelIlLi16ELi32ELi8ELc84ELc78ELc85ELb0ELb0EddPKdPdEviT_T9_T10_S3_lS5_S3_lS4_T11_S3_li.has_indirect_call, 0
	.section	.AMDGPU.csdata,"",@progbits
; Kernel info:
; codeLenInByte = 1324
; TotalNumSgprs: 42
; NumVgprs: 54
; NumAgprs: 0
; TotalNumVgprs: 54
; ScratchSize: 0
; MemoryBound: 0
; FloatMode: 240
; IeeeMode: 1
; LDSByteSize: 4096 bytes/workgroup (compile time only)
; SGPRBlocks: 5
; VGPRBlocks: 6
; NumSGPRsForWavesPerEU: 42
; NumVGPRsForWavesPerEU: 54
; AccumOffset: 56
; Occupancy: 8
; WaveLimiterHint : 0
; COMPUTE_PGM_RSRC2:SCRATCH_EN: 0
; COMPUTE_PGM_RSRC2:USER_SGPR: 2
; COMPUTE_PGM_RSRC2:TRAP_HANDLER: 0
; COMPUTE_PGM_RSRC2:TGID_X_EN: 1
; COMPUTE_PGM_RSRC2:TGID_Y_EN: 1
; COMPUTE_PGM_RSRC2:TGID_Z_EN: 1
; COMPUTE_PGM_RSRC2:TIDIG_COMP_CNT: 1
; COMPUTE_PGM_RSRC3_GFX90A:ACCUM_OFFSET: 13
; COMPUTE_PGM_RSRC3_GFX90A:TG_SPLIT: 0
	.section	.text._ZL29rocblas_internal_gemmt_kernelIlLi16ELi32ELi8ELc84ELc84ELc85ELb0ELb0EddPKdPdEviT_T9_T10_S3_lS5_S3_lS4_T11_S3_li,"axG",@progbits,_ZL29rocblas_internal_gemmt_kernelIlLi16ELi32ELi8ELc84ELc84ELc85ELb0ELb0EddPKdPdEviT_T9_T10_S3_lS5_S3_lS4_T11_S3_li,comdat
	.globl	_ZL29rocblas_internal_gemmt_kernelIlLi16ELi32ELi8ELc84ELc84ELc85ELb0ELb0EddPKdPdEviT_T9_T10_S3_lS5_S3_lS4_T11_S3_li ; -- Begin function _ZL29rocblas_internal_gemmt_kernelIlLi16ELi32ELi8ELc84ELc84ELc85ELb0ELb0EddPKdPdEviT_T9_T10_S3_lS5_S3_lS4_T11_S3_li
	.p2align	8
	.type	_ZL29rocblas_internal_gemmt_kernelIlLi16ELi32ELi8ELc84ELc84ELc85ELb0ELb0EddPKdPdEviT_T9_T10_S3_lS5_S3_lS4_T11_S3_li,@function
_ZL29rocblas_internal_gemmt_kernelIlLi16ELi32ELi8ELc84ELc84ELc85ELb0ELb0EddPKdPdEviT_T9_T10_S3_lS5_S3_lS4_T11_S3_li: ; @_ZL29rocblas_internal_gemmt_kernelIlLi16ELi32ELi8ELc84ELc84ELc85ELb0ELb0EddPKdPdEviT_T9_T10_S3_lS5_S3_lS4_T11_S3_li
; %bb.0:
	s_load_dwordx8 s[24:31], s[0:1], 0x48
	s_load_dwordx16 s[8:23], s[0:1], 0x8
	s_waitcnt lgkmcnt(0)
	v_cmp_neq_f64_e64 s[6:7], s[24:25], 1.0
	s_and_b64 vcc, exec, s[6:7]
	s_cbranch_vccnz .LBB202_2
; %bb.1:
	s_cmp_lg_u64 s[8:9], 0
	s_cselect_b64 s[6:7], -1, 0
	v_cmp_neq_f64_e64 s[34:35], s[10:11], 0
	s_and_b64 s[6:7], s[6:7], s[34:35]
.LBB202_2:
	s_andn2_b64 vcc, exec, s[6:7]
	s_cbranch_vccnz .LBB202_28
; %bb.3:
	s_load_dword s33, s[0:1], 0x0
	s_lshl_b32 s34, s2, 5
	s_lshl_b32 s35, s3, 5
	v_cmp_eq_f64_e64 s[0:1], s[10:11], 0
	v_cmp_lt_i64_e64 s[2:3], s[8:9], 1
	s_or_b64 s[0:1], s[0:1], s[2:3]
	v_and_b32_e32 v7, 0x3ff, v0
	v_bfe_u32 v11, v0, 10, 10
	v_mov_b64_e32 v[8:9], 0
	s_and_b64 vcc, exec, s[0:1]
	v_mov_b64_e32 v[4:5], 0
	v_mov_b64_e32 v[2:3], 0
	;; [unrolled: 1-line block ×3, first 2 shown]
	s_cbranch_vccnz .LBB202_12
; %bb.4:
	s_mul_i32 s0, s23, s4
	s_mul_hi_u32 s1, s22, s4
	s_add_i32 s1, s1, s0
	s_mul_i32 s0, s22, s4
	s_lshl_b64 s[0:1], s[0:1], 3
	s_add_u32 s6, s18, s0
	s_addc_u32 s7, s19, s1
	s_mul_i32 s0, s17, s4
	s_mul_hi_u32 s1, s16, s4
	s_add_i32 s1, s1, s0
	s_mul_i32 s0, s16, s4
	v_lshl_add_u32 v1, v11, 4, v7
	s_lshl_b64 s[0:1], s[0:1], 3
	v_lshrrev_b32_e32 v10, 5, v1
	v_lshrrev_b32_e32 v4, 3, v1
	v_and_b32_e32 v1, 31, v1
	s_add_u32 s2, s12, s0
	v_or_b32_e32 v2, s34, v1
	s_addc_u32 s3, s13, s1
	v_lshlrev_b32_e32 v1, 3, v1
	s_ashr_i32 s5, s34, 31
	v_and_b32_e32 v6, 7, v7
	s_waitcnt lgkmcnt(0)
	v_cmp_gt_i32_e64 s[0:1], s33, v2
	v_lshl_or_b32 v18, v10, 8, v1
	v_mul_lo_u32 v1, s15, v2
	v_mad_u64_u32 v[2:3], s[12:13], s14, v2, 0
	s_mul_i32 s5, s14, s5
	v_add3_u32 v3, v3, s5, v1
	v_lshlrev_b32_e32 v1, 3, v6
	v_add_u32_e32 v0, s35, v4
	v_lshl_or_b32 v1, v4, 6, v1
	v_add_u32_e32 v19, 0x800, v1
	v_ashrrev_i32_e32 v1, 31, v0
	v_lshl_add_u64 v[12:13], v[2:3], 3, s[2:3]
	v_cmp_gt_i32_e64 s[2:3], s33, v0
	v_lshl_add_u64 v[14:15], v[0:1], 3, s[6:7]
	v_mov_b32_e32 v0, 0x800
	v_lshlrev_b32_e32 v20, 3, v7
	v_lshl_add_u32 v21, v11, 6, v0
	v_mov_b32_e32 v17, 0
	v_mov_b64_e32 v[0:1], 0
	s_mov_b64 s[6:7], 0
	v_mov_b64_e32 v[2:3], 0
	v_mov_b64_e32 v[4:5], 0
	;; [unrolled: 1-line block ×3, first 2 shown]
	s_branch .LBB202_6
.LBB202_5:                              ;   in Loop: Header=BB202_6 Depth=1
	s_or_b64 exec, exec, s[12:13]
	s_waitcnt vmcnt(0)
	ds_write_b64 v19, v[22:23]
	s_waitcnt lgkmcnt(0)
	s_barrier
	ds_read2_b64 v[22:25], v20 offset1:16
	ds_read_b128 v[26:29], v21
	ds_read_b128 v[30:33], v21 offset:16
	ds_read_b128 v[34:37], v21 offset:32
	;; [unrolled: 1-line block ×4, first 2 shown]
	ds_read2_b64 v[46:49], v20 offset0:32 offset1:48
	s_waitcnt lgkmcnt(5)
	v_fmac_f64_e32 v[8:9], v[22:23], v[26:27]
	v_fmac_f64_e32 v[4:5], v[24:25], v[26:27]
	ds_read_b128 v[50:53], v21 offset:1040
	s_waitcnt lgkmcnt(2)
	v_fmac_f64_e32 v[2:3], v[22:23], v[42:43]
	v_fmac_f64_e32 v[0:1], v[24:25], v[42:43]
	ds_read2_b64 v[22:25], v20 offset0:64 offset1:80
	s_waitcnt lgkmcnt(2)
	v_fmac_f64_e32 v[8:9], v[46:47], v[28:29]
	v_fmac_f64_e32 v[4:5], v[48:49], v[28:29]
	ds_read2_b64 v[26:29], v20 offset0:96 offset1:112
	v_fmac_f64_e32 v[2:3], v[46:47], v[44:45]
	v_fmac_f64_e32 v[0:1], v[48:49], v[44:45]
	s_waitcnt lgkmcnt(1)
	v_fmac_f64_e32 v[8:9], v[22:23], v[30:31]
	v_fmac_f64_e32 v[4:5], v[24:25], v[30:31]
	ds_read_b128 v[42:45], v21 offset:1072
	v_fmac_f64_e32 v[2:3], v[22:23], v[50:51]
	v_fmac_f64_e32 v[0:1], v[24:25], v[50:51]
	s_waitcnt lgkmcnt(1)
	v_fmac_f64_e32 v[8:9], v[26:27], v[32:33]
	ds_read2_b64 v[22:25], v20 offset0:128 offset1:144
	v_fmac_f64_e32 v[4:5], v[28:29], v[32:33]
	v_fmac_f64_e32 v[2:3], v[26:27], v[52:53]
	;; [unrolled: 1-line block ×3, first 2 shown]
	ds_read_b128 v[26:29], v21 offset:1056
	ds_read2_b64 v[30:33], v20 offset0:160 offset1:176
	s_waitcnt lgkmcnt(2)
	v_fmac_f64_e32 v[8:9], v[22:23], v[34:35]
	v_fmac_f64_e32 v[4:5], v[24:25], v[34:35]
	s_add_u32 s6, s6, 8
	s_waitcnt lgkmcnt(1)
	v_fmac_f64_e32 v[2:3], v[22:23], v[26:27]
	v_fmac_f64_e32 v[0:1], v[24:25], v[26:27]
	ds_read2_b64 v[22:25], v20 offset0:192 offset1:208
	s_waitcnt lgkmcnt(1)
	v_fmac_f64_e32 v[2:3], v[30:31], v[28:29]
	v_fmac_f64_e32 v[0:1], v[32:33], v[28:29]
	ds_read2_b64 v[26:29], v20 offset0:224 offset1:240
	v_fmac_f64_e32 v[8:9], v[30:31], v[36:37]
	s_addc_u32 s7, s7, 0
	v_fmac_f64_e32 v[4:5], v[32:33], v[36:37]
	s_waitcnt lgkmcnt(1)
	v_fmac_f64_e32 v[8:9], v[22:23], v[38:39]
	v_fmac_f64_e32 v[2:3], v[22:23], v[42:43]
	v_mov_b64_e32 v[22:23], s[6:7]
	v_fmac_f64_e32 v[4:5], v[24:25], v[38:39]
	v_fmac_f64_e32 v[0:1], v[24:25], v[42:43]
	v_cmp_gt_i64_e32 vcc, s[8:9], v[22:23]
	s_waitcnt lgkmcnt(0)
	v_fmac_f64_e32 v[8:9], v[26:27], v[40:41]
	v_fmac_f64_e32 v[4:5], v[28:29], v[40:41]
	;; [unrolled: 1-line block ×4, first 2 shown]
	s_barrier
	s_cbranch_vccz .LBB202_12
.LBB202_6:                              ; =>This Inner Loop Header: Depth=1
	v_mov_b64_e32 v[22:23], 0
	s_and_saveexec_b64 s[12:13], s[0:1]
	s_cbranch_execz .LBB202_10
; %bb.7:                                ;   in Loop: Header=BB202_6 Depth=1
	v_add_u32_e32 v16, s6, v10
	v_cmp_gt_u64_e32 vcc, s[8:9], v[16:17]
	v_mov_b64_e32 v[22:23], 0
	s_and_saveexec_b64 s[14:15], vcc
	s_cbranch_execz .LBB202_9
; %bb.8:                                ;   in Loop: Header=BB202_6 Depth=1
	v_lshl_add_u64 v[22:23], v[16:17], 3, v[12:13]
	global_load_dwordx2 v[22:23], v[22:23], off
.LBB202_9:                              ;   in Loop: Header=BB202_6 Depth=1
	s_or_b64 exec, exec, s[14:15]
.LBB202_10:                             ;   in Loop: Header=BB202_6 Depth=1
	s_or_b64 exec, exec, s[12:13]
	v_add_u32_e32 v16, s6, v6
	v_cmp_gt_u64_e32 vcc, s[8:9], v[16:17]
	s_waitcnt vmcnt(0)
	ds_write_b64 v18, v[22:23]
	s_and_b64 s[14:15], vcc, s[2:3]
	v_mov_b64_e32 v[22:23], 0
	s_and_saveexec_b64 s[12:13], s[14:15]
	s_cbranch_execz .LBB202_5
; %bb.11:                               ;   in Loop: Header=BB202_6 Depth=1
	v_mad_u64_u32 v[22:23], s[14:15], s20, v16, 0
	v_mov_b32_e32 v24, v23
	v_mad_u64_u32 v[24:25], s[14:15], s21, v16, v[24:25]
	v_mov_b32_e32 v23, v24
	v_lshl_add_u64 v[22:23], v[22:23], 3, v[14:15]
	global_load_dwordx2 v[22:23], v[22:23], off
	s_branch .LBB202_5
.LBB202_12:
	s_mul_i32 s0, s31, s4
	s_mul_hi_u32 s1, s30, s4
	s_add_i32 s1, s1, s0
	s_mul_i32 s0, s30, s4
	s_lshl_b64 s[0:1], s[0:1], 3
	s_add_u32 s4, s26, s0
	v_add_u32_e32 v14, s35, v11
	s_addc_u32 s5, s27, s1
	v_add_u32_e32 v6, s34, v7
	v_ashrrev_i32_e32 v7, 31, v14
	v_mad_u64_u32 v[10:11], s[0:1], s28, v14, 0
	v_mul_lo_u32 v7, s28, v7
	v_mul_lo_u32 v12, s29, v14
	v_cmp_neq_f64_e64 s[0:1], s[24:25], 0
	s_waitcnt lgkmcnt(0)
	v_cmp_gt_i32_e64 s[2:3], s33, v14
	v_add3_u32 v11, v11, v7, v12
	v_cmp_le_i32_e32 vcc, v6, v14
	v_cndmask_b32_e64 v12, 0, 1, s[0:1]
	v_lshl_add_u64 v[10:11], v[10:11], 3, s[4:5]
	s_and_b64 s[8:9], s[2:3], vcc
	v_ashrrev_i32_e32 v7, 31, v6
	v_cmp_ne_u32_e64 s[0:1], 1, v12
	s_and_saveexec_b64 s[6:7], s[8:9]
	s_cbranch_execz .LBB202_16
; %bb.13:
	v_mul_f64 v[8:9], s[10:11], v[8:9]
	s_and_b64 vcc, exec, s[0:1]
	v_lshl_add_u64 v[12:13], v[6:7], 3, v[10:11]
	s_cbranch_vccnz .LBB202_15
; %bb.14:
	global_load_dwordx2 v[16:17], v[12:13], off
	s_waitcnt vmcnt(0)
	v_fmac_f64_e32 v[8:9], s[24:25], v[16:17]
.LBB202_15:
	global_store_dwordx2 v[12:13], v[8:9], off
.LBB202_16:
	s_or_b64 exec, exec, s[6:7]
	v_add_u32_e32 v8, 16, v6
	v_cmp_le_i32_e32 vcc, v8, v14
	s_and_b64 s[6:7], s[2:3], vcc
	v_ashrrev_i32_e32 v9, 31, v8
	s_and_saveexec_b64 s[2:3], s[6:7]
	s_cbranch_execz .LBB202_20
; %bb.17:
	v_mul_f64 v[4:5], s[10:11], v[4:5]
	s_and_b64 vcc, exec, s[0:1]
	v_lshl_add_u64 v[10:11], v[8:9], 3, v[10:11]
	s_cbranch_vccnz .LBB202_19
; %bb.18:
	global_load_dwordx2 v[12:13], v[10:11], off
	s_waitcnt vmcnt(0)
	v_fmac_f64_e32 v[4:5], s[24:25], v[12:13]
.LBB202_19:
	global_store_dwordx2 v[10:11], v[4:5], off
.LBB202_20:
	s_or_b64 exec, exec, s[2:3]
	v_add_u32_e32 v10, 16, v14
	v_ashrrev_i32_e32 v4, 31, v10
	v_mul_lo_u32 v11, s28, v4
	v_mul_lo_u32 v12, s29, v10
	v_mad_u64_u32 v[4:5], s[6:7], s28, v10, 0
	v_cmp_gt_i32_e64 s[2:3], s33, v10
	v_add3_u32 v5, v5, v11, v12
	v_cmp_le_i32_e32 vcc, v6, v10
	v_lshl_add_u64 v[4:5], v[4:5], 3, s[4:5]
	s_and_b64 s[6:7], s[2:3], vcc
	s_and_saveexec_b64 s[4:5], s[6:7]
	s_cbranch_execz .LBB202_24
; %bb.21:
	v_mul_f64 v[2:3], s[10:11], v[2:3]
	s_and_b64 vcc, exec, s[0:1]
	v_lshl_add_u64 v[6:7], v[6:7], 3, v[4:5]
	s_cbranch_vccnz .LBB202_23
; %bb.22:
	global_load_dwordx2 v[12:13], v[6:7], off
	s_waitcnt vmcnt(0)
	v_fmac_f64_e32 v[2:3], s[24:25], v[12:13]
.LBB202_23:
	global_store_dwordx2 v[6:7], v[2:3], off
.LBB202_24:
	s_or_b64 exec, exec, s[4:5]
	v_cmp_le_i32_e32 vcc, v8, v10
	s_and_b64 s[2:3], s[2:3], vcc
	s_and_saveexec_b64 s[4:5], s[2:3]
	s_cbranch_execz .LBB202_28
; %bb.25:
	v_mul_f64 v[0:1], s[10:11], v[0:1]
	s_and_b64 vcc, exec, s[0:1]
	v_lshl_add_u64 v[2:3], v[8:9], 3, v[4:5]
	s_cbranch_vccnz .LBB202_27
; %bb.26:
	global_load_dwordx2 v[4:5], v[2:3], off
	s_waitcnt vmcnt(0)
	v_fmac_f64_e32 v[0:1], s[24:25], v[4:5]
.LBB202_27:
	global_store_dwordx2 v[2:3], v[0:1], off
.LBB202_28:
	s_endpgm
	.section	.rodata,"a",@progbits
	.p2align	6, 0x0
	.amdhsa_kernel _ZL29rocblas_internal_gemmt_kernelIlLi16ELi32ELi8ELc84ELc84ELc85ELb0ELb0EddPKdPdEviT_T9_T10_S3_lS5_S3_lS4_T11_S3_li
		.amdhsa_group_segment_fixed_size 4096
		.amdhsa_private_segment_fixed_size 0
		.amdhsa_kernarg_size 108
		.amdhsa_user_sgpr_count 2
		.amdhsa_user_sgpr_dispatch_ptr 0
		.amdhsa_user_sgpr_queue_ptr 0
		.amdhsa_user_sgpr_kernarg_segment_ptr 1
		.amdhsa_user_sgpr_dispatch_id 0
		.amdhsa_user_sgpr_kernarg_preload_length 0
		.amdhsa_user_sgpr_kernarg_preload_offset 0
		.amdhsa_user_sgpr_private_segment_size 0
		.amdhsa_uses_dynamic_stack 0
		.amdhsa_enable_private_segment 0
		.amdhsa_system_sgpr_workgroup_id_x 1
		.amdhsa_system_sgpr_workgroup_id_y 1
		.amdhsa_system_sgpr_workgroup_id_z 1
		.amdhsa_system_sgpr_workgroup_info 0
		.amdhsa_system_vgpr_workitem_id 1
		.amdhsa_next_free_vgpr 54
		.amdhsa_next_free_sgpr 36
		.amdhsa_accum_offset 56
		.amdhsa_reserve_vcc 1
		.amdhsa_float_round_mode_32 0
		.amdhsa_float_round_mode_16_64 0
		.amdhsa_float_denorm_mode_32 3
		.amdhsa_float_denorm_mode_16_64 3
		.amdhsa_dx10_clamp 1
		.amdhsa_ieee_mode 1
		.amdhsa_fp16_overflow 0
		.amdhsa_tg_split 0
		.amdhsa_exception_fp_ieee_invalid_op 0
		.amdhsa_exception_fp_denorm_src 0
		.amdhsa_exception_fp_ieee_div_zero 0
		.amdhsa_exception_fp_ieee_overflow 0
		.amdhsa_exception_fp_ieee_underflow 0
		.amdhsa_exception_fp_ieee_inexact 0
		.amdhsa_exception_int_div_zero 0
	.end_amdhsa_kernel
	.section	.text._ZL29rocblas_internal_gemmt_kernelIlLi16ELi32ELi8ELc84ELc84ELc85ELb0ELb0EddPKdPdEviT_T9_T10_S3_lS5_S3_lS4_T11_S3_li,"axG",@progbits,_ZL29rocblas_internal_gemmt_kernelIlLi16ELi32ELi8ELc84ELc84ELc85ELb0ELb0EddPKdPdEviT_T9_T10_S3_lS5_S3_lS4_T11_S3_li,comdat
.Lfunc_end202:
	.size	_ZL29rocblas_internal_gemmt_kernelIlLi16ELi32ELi8ELc84ELc84ELc85ELb0ELb0EddPKdPdEviT_T9_T10_S3_lS5_S3_lS4_T11_S3_li, .Lfunc_end202-_ZL29rocblas_internal_gemmt_kernelIlLi16ELi32ELi8ELc84ELc84ELc85ELb0ELb0EddPKdPdEviT_T9_T10_S3_lS5_S3_lS4_T11_S3_li
                                        ; -- End function
	.set _ZL29rocblas_internal_gemmt_kernelIlLi16ELi32ELi8ELc84ELc84ELc85ELb0ELb0EddPKdPdEviT_T9_T10_S3_lS5_S3_lS4_T11_S3_li.num_vgpr, 54
	.set _ZL29rocblas_internal_gemmt_kernelIlLi16ELi32ELi8ELc84ELc84ELc85ELb0ELb0EddPKdPdEviT_T9_T10_S3_lS5_S3_lS4_T11_S3_li.num_agpr, 0
	.set _ZL29rocblas_internal_gemmt_kernelIlLi16ELi32ELi8ELc84ELc84ELc85ELb0ELb0EddPKdPdEviT_T9_T10_S3_lS5_S3_lS4_T11_S3_li.numbered_sgpr, 36
	.set _ZL29rocblas_internal_gemmt_kernelIlLi16ELi32ELi8ELc84ELc84ELc85ELb0ELb0EddPKdPdEviT_T9_T10_S3_lS5_S3_lS4_T11_S3_li.num_named_barrier, 0
	.set _ZL29rocblas_internal_gemmt_kernelIlLi16ELi32ELi8ELc84ELc84ELc85ELb0ELb0EddPKdPdEviT_T9_T10_S3_lS5_S3_lS4_T11_S3_li.private_seg_size, 0
	.set _ZL29rocblas_internal_gemmt_kernelIlLi16ELi32ELi8ELc84ELc84ELc85ELb0ELb0EddPKdPdEviT_T9_T10_S3_lS5_S3_lS4_T11_S3_li.uses_vcc, 1
	.set _ZL29rocblas_internal_gemmt_kernelIlLi16ELi32ELi8ELc84ELc84ELc85ELb0ELb0EddPKdPdEviT_T9_T10_S3_lS5_S3_lS4_T11_S3_li.uses_flat_scratch, 0
	.set _ZL29rocblas_internal_gemmt_kernelIlLi16ELi32ELi8ELc84ELc84ELc85ELb0ELb0EddPKdPdEviT_T9_T10_S3_lS5_S3_lS4_T11_S3_li.has_dyn_sized_stack, 0
	.set _ZL29rocblas_internal_gemmt_kernelIlLi16ELi32ELi8ELc84ELc84ELc85ELb0ELb0EddPKdPdEviT_T9_T10_S3_lS5_S3_lS4_T11_S3_li.has_recursion, 0
	.set _ZL29rocblas_internal_gemmt_kernelIlLi16ELi32ELi8ELc84ELc84ELc85ELb0ELb0EddPKdPdEviT_T9_T10_S3_lS5_S3_lS4_T11_S3_li.has_indirect_call, 0
	.section	.AMDGPU.csdata,"",@progbits
; Kernel info:
; codeLenInByte = 1316
; TotalNumSgprs: 42
; NumVgprs: 54
; NumAgprs: 0
; TotalNumVgprs: 54
; ScratchSize: 0
; MemoryBound: 0
; FloatMode: 240
; IeeeMode: 1
; LDSByteSize: 4096 bytes/workgroup (compile time only)
; SGPRBlocks: 5
; VGPRBlocks: 6
; NumSGPRsForWavesPerEU: 42
; NumVGPRsForWavesPerEU: 54
; AccumOffset: 56
; Occupancy: 8
; WaveLimiterHint : 0
; COMPUTE_PGM_RSRC2:SCRATCH_EN: 0
; COMPUTE_PGM_RSRC2:USER_SGPR: 2
; COMPUTE_PGM_RSRC2:TRAP_HANDLER: 0
; COMPUTE_PGM_RSRC2:TGID_X_EN: 1
; COMPUTE_PGM_RSRC2:TGID_Y_EN: 1
; COMPUTE_PGM_RSRC2:TGID_Z_EN: 1
; COMPUTE_PGM_RSRC2:TIDIG_COMP_CNT: 1
; COMPUTE_PGM_RSRC3_GFX90A:ACCUM_OFFSET: 13
; COMPUTE_PGM_RSRC3_GFX90A:TG_SPLIT: 0
	.section	.text._ZL29rocblas_internal_gemmt_kernelIlLi16ELi32ELi8ELc84ELc67ELc85ELb0ELb0EddPKdPdEviT_T9_T10_S3_lS5_S3_lS4_T11_S3_li,"axG",@progbits,_ZL29rocblas_internal_gemmt_kernelIlLi16ELi32ELi8ELc84ELc67ELc85ELb0ELb0EddPKdPdEviT_T9_T10_S3_lS5_S3_lS4_T11_S3_li,comdat
	.globl	_ZL29rocblas_internal_gemmt_kernelIlLi16ELi32ELi8ELc84ELc67ELc85ELb0ELb0EddPKdPdEviT_T9_T10_S3_lS5_S3_lS4_T11_S3_li ; -- Begin function _ZL29rocblas_internal_gemmt_kernelIlLi16ELi32ELi8ELc84ELc67ELc85ELb0ELb0EddPKdPdEviT_T9_T10_S3_lS5_S3_lS4_T11_S3_li
	.p2align	8
	.type	_ZL29rocblas_internal_gemmt_kernelIlLi16ELi32ELi8ELc84ELc67ELc85ELb0ELb0EddPKdPdEviT_T9_T10_S3_lS5_S3_lS4_T11_S3_li,@function
_ZL29rocblas_internal_gemmt_kernelIlLi16ELi32ELi8ELc84ELc67ELc85ELb0ELb0EddPKdPdEviT_T9_T10_S3_lS5_S3_lS4_T11_S3_li: ; @_ZL29rocblas_internal_gemmt_kernelIlLi16ELi32ELi8ELc84ELc67ELc85ELb0ELb0EddPKdPdEviT_T9_T10_S3_lS5_S3_lS4_T11_S3_li
; %bb.0:
	s_load_dwordx8 s[24:31], s[0:1], 0x48
	s_load_dwordx16 s[8:23], s[0:1], 0x8
	s_waitcnt lgkmcnt(0)
	v_cmp_neq_f64_e64 s[6:7], s[24:25], 1.0
	s_and_b64 vcc, exec, s[6:7]
	s_cbranch_vccnz .LBB203_2
; %bb.1:
	s_cmp_lg_u64 s[8:9], 0
	s_cselect_b64 s[6:7], -1, 0
	v_cmp_neq_f64_e64 s[34:35], s[10:11], 0
	s_and_b64 s[6:7], s[6:7], s[34:35]
.LBB203_2:
	s_andn2_b64 vcc, exec, s[6:7]
	s_cbranch_vccnz .LBB203_28
; %bb.3:
	s_load_dword s33, s[0:1], 0x0
	s_lshl_b32 s34, s2, 5
	s_lshl_b32 s35, s3, 5
	v_cmp_eq_f64_e64 s[0:1], s[10:11], 0
	v_cmp_lt_i64_e64 s[2:3], s[8:9], 1
	s_or_b64 s[0:1], s[0:1], s[2:3]
	v_and_b32_e32 v7, 0x3ff, v0
	v_bfe_u32 v11, v0, 10, 10
	v_mov_b64_e32 v[8:9], 0
	s_and_b64 vcc, exec, s[0:1]
	v_mov_b64_e32 v[4:5], 0
	v_mov_b64_e32 v[2:3], 0
	;; [unrolled: 1-line block ×3, first 2 shown]
	s_cbranch_vccnz .LBB203_12
; %bb.4:
	s_mul_i32 s0, s23, s4
	s_mul_hi_u32 s1, s22, s4
	s_add_i32 s1, s1, s0
	s_mul_i32 s0, s22, s4
	s_lshl_b64 s[0:1], s[0:1], 3
	s_add_u32 s6, s18, s0
	s_addc_u32 s7, s19, s1
	s_mul_i32 s0, s17, s4
	s_mul_hi_u32 s1, s16, s4
	s_add_i32 s1, s1, s0
	s_mul_i32 s0, s16, s4
	v_lshl_add_u32 v1, v11, 4, v7
	s_lshl_b64 s[0:1], s[0:1], 3
	v_lshrrev_b32_e32 v10, 5, v1
	v_lshrrev_b32_e32 v4, 3, v1
	v_and_b32_e32 v1, 31, v1
	s_add_u32 s2, s12, s0
	v_or_b32_e32 v2, s34, v1
	s_addc_u32 s3, s13, s1
	v_lshlrev_b32_e32 v1, 3, v1
	s_ashr_i32 s5, s34, 31
	v_and_b32_e32 v6, 7, v7
	s_waitcnt lgkmcnt(0)
	v_cmp_gt_i32_e64 s[0:1], s33, v2
	v_lshl_or_b32 v18, v10, 8, v1
	v_mul_lo_u32 v1, s15, v2
	v_mad_u64_u32 v[2:3], s[12:13], s14, v2, 0
	s_mul_i32 s5, s14, s5
	v_add3_u32 v3, v3, s5, v1
	v_lshlrev_b32_e32 v1, 3, v6
	v_add_u32_e32 v0, s35, v4
	v_lshl_or_b32 v1, v4, 6, v1
	v_add_u32_e32 v19, 0x800, v1
	v_ashrrev_i32_e32 v1, 31, v0
	v_lshl_add_u64 v[12:13], v[2:3], 3, s[2:3]
	v_cmp_gt_i32_e64 s[2:3], s33, v0
	v_lshl_add_u64 v[14:15], v[0:1], 3, s[6:7]
	v_mov_b32_e32 v0, 0x800
	v_lshlrev_b32_e32 v20, 3, v7
	v_lshl_add_u32 v21, v11, 6, v0
	v_mov_b32_e32 v17, 0
	v_mov_b64_e32 v[0:1], 0
	s_mov_b64 s[6:7], 0
	v_mov_b64_e32 v[2:3], 0
	v_mov_b64_e32 v[4:5], 0
	;; [unrolled: 1-line block ×3, first 2 shown]
	s_branch .LBB203_6
.LBB203_5:                              ;   in Loop: Header=BB203_6 Depth=1
	s_or_b64 exec, exec, s[12:13]
	s_waitcnt vmcnt(0)
	ds_write_b64 v19, v[22:23]
	s_waitcnt lgkmcnt(0)
	s_barrier
	ds_read2_b64 v[22:25], v20 offset1:16
	ds_read_b128 v[26:29], v21
	ds_read_b128 v[30:33], v21 offset:16
	ds_read_b128 v[34:37], v21 offset:32
	;; [unrolled: 1-line block ×4, first 2 shown]
	ds_read2_b64 v[46:49], v20 offset0:32 offset1:48
	s_waitcnt lgkmcnt(5)
	v_fmac_f64_e32 v[8:9], v[22:23], v[26:27]
	v_fmac_f64_e32 v[4:5], v[24:25], v[26:27]
	ds_read_b128 v[50:53], v21 offset:1040
	s_waitcnt lgkmcnt(2)
	v_fmac_f64_e32 v[2:3], v[22:23], v[42:43]
	v_fmac_f64_e32 v[0:1], v[24:25], v[42:43]
	ds_read2_b64 v[22:25], v20 offset0:64 offset1:80
	s_waitcnt lgkmcnt(2)
	v_fmac_f64_e32 v[8:9], v[46:47], v[28:29]
	v_fmac_f64_e32 v[4:5], v[48:49], v[28:29]
	ds_read2_b64 v[26:29], v20 offset0:96 offset1:112
	v_fmac_f64_e32 v[2:3], v[46:47], v[44:45]
	v_fmac_f64_e32 v[0:1], v[48:49], v[44:45]
	s_waitcnt lgkmcnt(1)
	v_fmac_f64_e32 v[8:9], v[22:23], v[30:31]
	v_fmac_f64_e32 v[4:5], v[24:25], v[30:31]
	ds_read_b128 v[42:45], v21 offset:1072
	v_fmac_f64_e32 v[2:3], v[22:23], v[50:51]
	v_fmac_f64_e32 v[0:1], v[24:25], v[50:51]
	s_waitcnt lgkmcnt(1)
	v_fmac_f64_e32 v[8:9], v[26:27], v[32:33]
	ds_read2_b64 v[22:25], v20 offset0:128 offset1:144
	v_fmac_f64_e32 v[4:5], v[28:29], v[32:33]
	v_fmac_f64_e32 v[2:3], v[26:27], v[52:53]
	;; [unrolled: 1-line block ×3, first 2 shown]
	ds_read_b128 v[26:29], v21 offset:1056
	ds_read2_b64 v[30:33], v20 offset0:160 offset1:176
	s_waitcnt lgkmcnt(2)
	v_fmac_f64_e32 v[8:9], v[22:23], v[34:35]
	v_fmac_f64_e32 v[4:5], v[24:25], v[34:35]
	s_add_u32 s6, s6, 8
	s_waitcnt lgkmcnt(1)
	v_fmac_f64_e32 v[2:3], v[22:23], v[26:27]
	v_fmac_f64_e32 v[0:1], v[24:25], v[26:27]
	ds_read2_b64 v[22:25], v20 offset0:192 offset1:208
	s_waitcnt lgkmcnt(1)
	v_fmac_f64_e32 v[2:3], v[30:31], v[28:29]
	v_fmac_f64_e32 v[0:1], v[32:33], v[28:29]
	ds_read2_b64 v[26:29], v20 offset0:224 offset1:240
	v_fmac_f64_e32 v[8:9], v[30:31], v[36:37]
	s_addc_u32 s7, s7, 0
	v_fmac_f64_e32 v[4:5], v[32:33], v[36:37]
	s_waitcnt lgkmcnt(1)
	v_fmac_f64_e32 v[8:9], v[22:23], v[38:39]
	v_fmac_f64_e32 v[2:3], v[22:23], v[42:43]
	v_mov_b64_e32 v[22:23], s[6:7]
	v_fmac_f64_e32 v[4:5], v[24:25], v[38:39]
	v_fmac_f64_e32 v[0:1], v[24:25], v[42:43]
	v_cmp_gt_i64_e32 vcc, s[8:9], v[22:23]
	s_waitcnt lgkmcnt(0)
	v_fmac_f64_e32 v[8:9], v[26:27], v[40:41]
	v_fmac_f64_e32 v[4:5], v[28:29], v[40:41]
	v_fmac_f64_e32 v[2:3], v[26:27], v[44:45]
	v_fmac_f64_e32 v[0:1], v[28:29], v[44:45]
	s_barrier
	s_cbranch_vccz .LBB203_12
.LBB203_6:                              ; =>This Inner Loop Header: Depth=1
	v_mov_b64_e32 v[22:23], 0
	s_and_saveexec_b64 s[12:13], s[0:1]
	s_cbranch_execz .LBB203_10
; %bb.7:                                ;   in Loop: Header=BB203_6 Depth=1
	v_add_u32_e32 v16, s6, v10
	v_cmp_gt_u64_e32 vcc, s[8:9], v[16:17]
	v_mov_b64_e32 v[22:23], 0
	s_and_saveexec_b64 s[14:15], vcc
	s_cbranch_execz .LBB203_9
; %bb.8:                                ;   in Loop: Header=BB203_6 Depth=1
	v_lshl_add_u64 v[22:23], v[16:17], 3, v[12:13]
	global_load_dwordx2 v[22:23], v[22:23], off
.LBB203_9:                              ;   in Loop: Header=BB203_6 Depth=1
	s_or_b64 exec, exec, s[14:15]
.LBB203_10:                             ;   in Loop: Header=BB203_6 Depth=1
	s_or_b64 exec, exec, s[12:13]
	v_add_u32_e32 v16, s6, v6
	v_cmp_gt_u64_e32 vcc, s[8:9], v[16:17]
	s_waitcnt vmcnt(0)
	ds_write_b64 v18, v[22:23]
	s_and_b64 s[14:15], vcc, s[2:3]
	v_mov_b64_e32 v[22:23], 0
	s_and_saveexec_b64 s[12:13], s[14:15]
	s_cbranch_execz .LBB203_5
; %bb.11:                               ;   in Loop: Header=BB203_6 Depth=1
	v_mad_u64_u32 v[22:23], s[14:15], s20, v16, 0
	v_mov_b32_e32 v24, v23
	v_mad_u64_u32 v[24:25], s[14:15], s21, v16, v[24:25]
	v_mov_b32_e32 v23, v24
	v_lshl_add_u64 v[22:23], v[22:23], 3, v[14:15]
	global_load_dwordx2 v[22:23], v[22:23], off
	s_branch .LBB203_5
.LBB203_12:
	s_mul_i32 s0, s31, s4
	s_mul_hi_u32 s1, s30, s4
	s_add_i32 s1, s1, s0
	s_mul_i32 s0, s30, s4
	s_lshl_b64 s[0:1], s[0:1], 3
	s_add_u32 s4, s26, s0
	v_add_u32_e32 v14, s35, v11
	s_addc_u32 s5, s27, s1
	v_add_u32_e32 v6, s34, v7
	v_ashrrev_i32_e32 v7, 31, v14
	v_mad_u64_u32 v[10:11], s[0:1], s28, v14, 0
	v_mul_lo_u32 v7, s28, v7
	v_mul_lo_u32 v12, s29, v14
	v_cmp_neq_f64_e64 s[0:1], s[24:25], 0
	s_waitcnt lgkmcnt(0)
	v_cmp_gt_i32_e64 s[2:3], s33, v14
	v_add3_u32 v11, v11, v7, v12
	v_cmp_le_i32_e32 vcc, v6, v14
	v_cndmask_b32_e64 v12, 0, 1, s[0:1]
	v_lshl_add_u64 v[10:11], v[10:11], 3, s[4:5]
	s_and_b64 s[8:9], s[2:3], vcc
	v_ashrrev_i32_e32 v7, 31, v6
	v_cmp_ne_u32_e64 s[0:1], 1, v12
	s_and_saveexec_b64 s[6:7], s[8:9]
	s_cbranch_execz .LBB203_16
; %bb.13:
	v_mul_f64 v[8:9], s[10:11], v[8:9]
	s_and_b64 vcc, exec, s[0:1]
	v_lshl_add_u64 v[12:13], v[6:7], 3, v[10:11]
	s_cbranch_vccnz .LBB203_15
; %bb.14:
	global_load_dwordx2 v[16:17], v[12:13], off
	s_waitcnt vmcnt(0)
	v_fmac_f64_e32 v[8:9], s[24:25], v[16:17]
.LBB203_15:
	global_store_dwordx2 v[12:13], v[8:9], off
.LBB203_16:
	s_or_b64 exec, exec, s[6:7]
	v_add_u32_e32 v8, 16, v6
	v_cmp_le_i32_e32 vcc, v8, v14
	s_and_b64 s[6:7], s[2:3], vcc
	v_ashrrev_i32_e32 v9, 31, v8
	s_and_saveexec_b64 s[2:3], s[6:7]
	s_cbranch_execz .LBB203_20
; %bb.17:
	v_mul_f64 v[4:5], s[10:11], v[4:5]
	s_and_b64 vcc, exec, s[0:1]
	v_lshl_add_u64 v[10:11], v[8:9], 3, v[10:11]
	s_cbranch_vccnz .LBB203_19
; %bb.18:
	global_load_dwordx2 v[12:13], v[10:11], off
	s_waitcnt vmcnt(0)
	v_fmac_f64_e32 v[4:5], s[24:25], v[12:13]
.LBB203_19:
	global_store_dwordx2 v[10:11], v[4:5], off
.LBB203_20:
	s_or_b64 exec, exec, s[2:3]
	v_add_u32_e32 v10, 16, v14
	v_ashrrev_i32_e32 v4, 31, v10
	v_mul_lo_u32 v11, s28, v4
	v_mul_lo_u32 v12, s29, v10
	v_mad_u64_u32 v[4:5], s[6:7], s28, v10, 0
	v_cmp_gt_i32_e64 s[2:3], s33, v10
	v_add3_u32 v5, v5, v11, v12
	v_cmp_le_i32_e32 vcc, v6, v10
	v_lshl_add_u64 v[4:5], v[4:5], 3, s[4:5]
	s_and_b64 s[6:7], s[2:3], vcc
	s_and_saveexec_b64 s[4:5], s[6:7]
	s_cbranch_execz .LBB203_24
; %bb.21:
	v_mul_f64 v[2:3], s[10:11], v[2:3]
	s_and_b64 vcc, exec, s[0:1]
	v_lshl_add_u64 v[6:7], v[6:7], 3, v[4:5]
	s_cbranch_vccnz .LBB203_23
; %bb.22:
	global_load_dwordx2 v[12:13], v[6:7], off
	s_waitcnt vmcnt(0)
	v_fmac_f64_e32 v[2:3], s[24:25], v[12:13]
.LBB203_23:
	global_store_dwordx2 v[6:7], v[2:3], off
.LBB203_24:
	s_or_b64 exec, exec, s[4:5]
	v_cmp_le_i32_e32 vcc, v8, v10
	s_and_b64 s[2:3], s[2:3], vcc
	s_and_saveexec_b64 s[4:5], s[2:3]
	s_cbranch_execz .LBB203_28
; %bb.25:
	v_mul_f64 v[0:1], s[10:11], v[0:1]
	s_and_b64 vcc, exec, s[0:1]
	v_lshl_add_u64 v[2:3], v[8:9], 3, v[4:5]
	s_cbranch_vccnz .LBB203_27
; %bb.26:
	global_load_dwordx2 v[4:5], v[2:3], off
	s_waitcnt vmcnt(0)
	v_fmac_f64_e32 v[0:1], s[24:25], v[4:5]
.LBB203_27:
	global_store_dwordx2 v[2:3], v[0:1], off
.LBB203_28:
	s_endpgm
	.section	.rodata,"a",@progbits
	.p2align	6, 0x0
	.amdhsa_kernel _ZL29rocblas_internal_gemmt_kernelIlLi16ELi32ELi8ELc84ELc67ELc85ELb0ELb0EddPKdPdEviT_T9_T10_S3_lS5_S3_lS4_T11_S3_li
		.amdhsa_group_segment_fixed_size 4096
		.amdhsa_private_segment_fixed_size 0
		.amdhsa_kernarg_size 108
		.amdhsa_user_sgpr_count 2
		.amdhsa_user_sgpr_dispatch_ptr 0
		.amdhsa_user_sgpr_queue_ptr 0
		.amdhsa_user_sgpr_kernarg_segment_ptr 1
		.amdhsa_user_sgpr_dispatch_id 0
		.amdhsa_user_sgpr_kernarg_preload_length 0
		.amdhsa_user_sgpr_kernarg_preload_offset 0
		.amdhsa_user_sgpr_private_segment_size 0
		.amdhsa_uses_dynamic_stack 0
		.amdhsa_enable_private_segment 0
		.amdhsa_system_sgpr_workgroup_id_x 1
		.amdhsa_system_sgpr_workgroup_id_y 1
		.amdhsa_system_sgpr_workgroup_id_z 1
		.amdhsa_system_sgpr_workgroup_info 0
		.amdhsa_system_vgpr_workitem_id 1
		.amdhsa_next_free_vgpr 54
		.amdhsa_next_free_sgpr 36
		.amdhsa_accum_offset 56
		.amdhsa_reserve_vcc 1
		.amdhsa_float_round_mode_32 0
		.amdhsa_float_round_mode_16_64 0
		.amdhsa_float_denorm_mode_32 3
		.amdhsa_float_denorm_mode_16_64 3
		.amdhsa_dx10_clamp 1
		.amdhsa_ieee_mode 1
		.amdhsa_fp16_overflow 0
		.amdhsa_tg_split 0
		.amdhsa_exception_fp_ieee_invalid_op 0
		.amdhsa_exception_fp_denorm_src 0
		.amdhsa_exception_fp_ieee_div_zero 0
		.amdhsa_exception_fp_ieee_overflow 0
		.amdhsa_exception_fp_ieee_underflow 0
		.amdhsa_exception_fp_ieee_inexact 0
		.amdhsa_exception_int_div_zero 0
	.end_amdhsa_kernel
	.section	.text._ZL29rocblas_internal_gemmt_kernelIlLi16ELi32ELi8ELc84ELc67ELc85ELb0ELb0EddPKdPdEviT_T9_T10_S3_lS5_S3_lS4_T11_S3_li,"axG",@progbits,_ZL29rocblas_internal_gemmt_kernelIlLi16ELi32ELi8ELc84ELc67ELc85ELb0ELb0EddPKdPdEviT_T9_T10_S3_lS5_S3_lS4_T11_S3_li,comdat
.Lfunc_end203:
	.size	_ZL29rocblas_internal_gemmt_kernelIlLi16ELi32ELi8ELc84ELc67ELc85ELb0ELb0EddPKdPdEviT_T9_T10_S3_lS5_S3_lS4_T11_S3_li, .Lfunc_end203-_ZL29rocblas_internal_gemmt_kernelIlLi16ELi32ELi8ELc84ELc67ELc85ELb0ELb0EddPKdPdEviT_T9_T10_S3_lS5_S3_lS4_T11_S3_li
                                        ; -- End function
	.set _ZL29rocblas_internal_gemmt_kernelIlLi16ELi32ELi8ELc84ELc67ELc85ELb0ELb0EddPKdPdEviT_T9_T10_S3_lS5_S3_lS4_T11_S3_li.num_vgpr, 54
	.set _ZL29rocblas_internal_gemmt_kernelIlLi16ELi32ELi8ELc84ELc67ELc85ELb0ELb0EddPKdPdEviT_T9_T10_S3_lS5_S3_lS4_T11_S3_li.num_agpr, 0
	.set _ZL29rocblas_internal_gemmt_kernelIlLi16ELi32ELi8ELc84ELc67ELc85ELb0ELb0EddPKdPdEviT_T9_T10_S3_lS5_S3_lS4_T11_S3_li.numbered_sgpr, 36
	.set _ZL29rocblas_internal_gemmt_kernelIlLi16ELi32ELi8ELc84ELc67ELc85ELb0ELb0EddPKdPdEviT_T9_T10_S3_lS5_S3_lS4_T11_S3_li.num_named_barrier, 0
	.set _ZL29rocblas_internal_gemmt_kernelIlLi16ELi32ELi8ELc84ELc67ELc85ELb0ELb0EddPKdPdEviT_T9_T10_S3_lS5_S3_lS4_T11_S3_li.private_seg_size, 0
	.set _ZL29rocblas_internal_gemmt_kernelIlLi16ELi32ELi8ELc84ELc67ELc85ELb0ELb0EddPKdPdEviT_T9_T10_S3_lS5_S3_lS4_T11_S3_li.uses_vcc, 1
	.set _ZL29rocblas_internal_gemmt_kernelIlLi16ELi32ELi8ELc84ELc67ELc85ELb0ELb0EddPKdPdEviT_T9_T10_S3_lS5_S3_lS4_T11_S3_li.uses_flat_scratch, 0
	.set _ZL29rocblas_internal_gemmt_kernelIlLi16ELi32ELi8ELc84ELc67ELc85ELb0ELb0EddPKdPdEviT_T9_T10_S3_lS5_S3_lS4_T11_S3_li.has_dyn_sized_stack, 0
	.set _ZL29rocblas_internal_gemmt_kernelIlLi16ELi32ELi8ELc84ELc67ELc85ELb0ELb0EddPKdPdEviT_T9_T10_S3_lS5_S3_lS4_T11_S3_li.has_recursion, 0
	.set _ZL29rocblas_internal_gemmt_kernelIlLi16ELi32ELi8ELc84ELc67ELc85ELb0ELb0EddPKdPdEviT_T9_T10_S3_lS5_S3_lS4_T11_S3_li.has_indirect_call, 0
	.section	.AMDGPU.csdata,"",@progbits
; Kernel info:
; codeLenInByte = 1316
; TotalNumSgprs: 42
; NumVgprs: 54
; NumAgprs: 0
; TotalNumVgprs: 54
; ScratchSize: 0
; MemoryBound: 0
; FloatMode: 240
; IeeeMode: 1
; LDSByteSize: 4096 bytes/workgroup (compile time only)
; SGPRBlocks: 5
; VGPRBlocks: 6
; NumSGPRsForWavesPerEU: 42
; NumVGPRsForWavesPerEU: 54
; AccumOffset: 56
; Occupancy: 8
; WaveLimiterHint : 0
; COMPUTE_PGM_RSRC2:SCRATCH_EN: 0
; COMPUTE_PGM_RSRC2:USER_SGPR: 2
; COMPUTE_PGM_RSRC2:TRAP_HANDLER: 0
; COMPUTE_PGM_RSRC2:TGID_X_EN: 1
; COMPUTE_PGM_RSRC2:TGID_Y_EN: 1
; COMPUTE_PGM_RSRC2:TGID_Z_EN: 1
; COMPUTE_PGM_RSRC2:TIDIG_COMP_CNT: 1
; COMPUTE_PGM_RSRC3_GFX90A:ACCUM_OFFSET: 13
; COMPUTE_PGM_RSRC3_GFX90A:TG_SPLIT: 0
	.section	.text._ZL29rocblas_internal_gemmt_kernelIlLi16ELi32ELi8ELc67ELc78ELc85ELb0ELb0EddPKdPdEviT_T9_T10_S3_lS5_S3_lS4_T11_S3_li,"axG",@progbits,_ZL29rocblas_internal_gemmt_kernelIlLi16ELi32ELi8ELc67ELc78ELc85ELb0ELb0EddPKdPdEviT_T9_T10_S3_lS5_S3_lS4_T11_S3_li,comdat
	.globl	_ZL29rocblas_internal_gemmt_kernelIlLi16ELi32ELi8ELc67ELc78ELc85ELb0ELb0EddPKdPdEviT_T9_T10_S3_lS5_S3_lS4_T11_S3_li ; -- Begin function _ZL29rocblas_internal_gemmt_kernelIlLi16ELi32ELi8ELc67ELc78ELc85ELb0ELb0EddPKdPdEviT_T9_T10_S3_lS5_S3_lS4_T11_S3_li
	.p2align	8
	.type	_ZL29rocblas_internal_gemmt_kernelIlLi16ELi32ELi8ELc67ELc78ELc85ELb0ELb0EddPKdPdEviT_T9_T10_S3_lS5_S3_lS4_T11_S3_li,@function
_ZL29rocblas_internal_gemmt_kernelIlLi16ELi32ELi8ELc67ELc78ELc85ELb0ELb0EddPKdPdEviT_T9_T10_S3_lS5_S3_lS4_T11_S3_li: ; @_ZL29rocblas_internal_gemmt_kernelIlLi16ELi32ELi8ELc67ELc78ELc85ELb0ELb0EddPKdPdEviT_T9_T10_S3_lS5_S3_lS4_T11_S3_li
; %bb.0:
	s_load_dwordx8 s[24:31], s[0:1], 0x48
	s_load_dwordx16 s[8:23], s[0:1], 0x8
	s_waitcnt lgkmcnt(0)
	v_cmp_neq_f64_e64 s[6:7], s[24:25], 1.0
	s_and_b64 vcc, exec, s[6:7]
	s_cbranch_vccnz .LBB204_2
; %bb.1:
	s_cmp_lg_u64 s[8:9], 0
	s_cselect_b64 s[6:7], -1, 0
	v_cmp_neq_f64_e64 s[34:35], s[10:11], 0
	s_and_b64 s[6:7], s[6:7], s[34:35]
.LBB204_2:
	s_andn2_b64 vcc, exec, s[6:7]
	s_cbranch_vccnz .LBB204_28
; %bb.3:
	s_load_dword s33, s[0:1], 0x0
	s_lshl_b32 s34, s2, 5
	s_lshl_b32 s35, s3, 5
	v_cmp_eq_f64_e64 s[0:1], s[10:11], 0
	v_cmp_lt_i64_e64 s[2:3], s[8:9], 1
	s_or_b64 s[0:1], s[0:1], s[2:3]
	v_and_b32_e32 v7, 0x3ff, v0
	v_bfe_u32 v9, v0, 10, 10
	v_mov_b64_e32 v[10:11], 0
	s_and_b64 vcc, exec, s[0:1]
	v_mov_b64_e32 v[4:5], 0
	v_mov_b64_e32 v[2:3], 0
	;; [unrolled: 1-line block ×3, first 2 shown]
	s_cbranch_vccnz .LBB204_12
; %bb.4:
	s_mul_i32 s0, s23, s4
	s_mul_hi_u32 s1, s22, s4
	s_add_i32 s1, s1, s0
	s_mul_i32 s0, s22, s4
	s_lshl_b64 s[0:1], s[0:1], 3
	s_add_u32 s6, s18, s0
	s_addc_u32 s7, s19, s1
	s_mul_i32 s0, s17, s4
	s_mul_hi_u32 s1, s16, s4
	s_add_i32 s1, s1, s0
	s_mul_i32 s0, s16, s4
	v_lshl_add_u32 v0, v9, 4, v7
	s_lshl_b64 s[0:1], s[0:1], 3
	v_lshrrev_b32_e32 v8, 5, v0
	v_lshrrev_b32_e32 v2, 3, v0
	v_and_b32_e32 v0, 31, v0
	s_add_u32 s2, s12, s0
	v_or_b32_e32 v1, s34, v0
	s_addc_u32 s3, s13, s1
	v_lshlrev_b32_e32 v0, 3, v0
	s_ashr_i32 s5, s34, 31
	s_waitcnt lgkmcnt(0)
	v_cmp_gt_i32_e64 s[0:1], s33, v1
	v_lshl_or_b32 v18, v8, 8, v0
	v_mul_lo_u32 v4, s15, v1
	v_mad_u64_u32 v[0:1], s[12:13], s14, v1, 0
	s_mul_i32 s5, s14, s5
	v_and_b32_e32 v6, 7, v7
	v_add3_u32 v1, v1, s5, v4
	v_lshl_add_u64 v[12:13], v[0:1], 3, s[2:3]
	v_lshlrev_b32_e32 v0, 3, v6
	v_add_u32_e32 v3, s35, v2
	v_lshl_or_b32 v0, v2, 6, v0
	v_add_u32_e32 v19, 0x800, v0
	v_ashrrev_i32_e32 v0, 31, v3
	v_mul_lo_u32 v2, s20, v0
	v_mul_lo_u32 v4, s21, v3
	v_mad_u64_u32 v[0:1], s[12:13], s20, v3, 0
	v_add3_u32 v1, v1, v2, v4
	v_lshl_add_u64 v[14:15], v[0:1], 3, s[6:7]
	v_mov_b32_e32 v0, 0x800
	v_cmp_gt_i32_e64 s[2:3], s33, v3
	v_lshlrev_b32_e32 v20, 3, v7
	v_lshl_add_u32 v21, v9, 6, v0
	v_mov_b32_e32 v17, 0
	v_mov_b64_e32 v[0:1], 0
	s_mov_b64 s[6:7], 0
	v_mov_b64_e32 v[2:3], 0
	v_mov_b64_e32 v[4:5], 0
	;; [unrolled: 1-line block ×3, first 2 shown]
	s_branch .LBB204_6
.LBB204_5:                              ;   in Loop: Header=BB204_6 Depth=1
	s_or_b64 exec, exec, s[12:13]
	s_waitcnt vmcnt(0)
	ds_write_b64 v19, v[22:23]
	s_waitcnt lgkmcnt(0)
	s_barrier
	ds_read2_b64 v[22:25], v20 offset1:16
	ds_read_b128 v[26:29], v21
	ds_read_b128 v[30:33], v21 offset:16
	ds_read_b128 v[34:37], v21 offset:32
	;; [unrolled: 1-line block ×4, first 2 shown]
	ds_read2_b64 v[46:49], v20 offset0:32 offset1:48
	s_waitcnt lgkmcnt(5)
	v_fmac_f64_e32 v[10:11], v[22:23], v[26:27]
	v_fmac_f64_e32 v[4:5], v[24:25], v[26:27]
	ds_read_b128 v[50:53], v21 offset:1040
	s_waitcnt lgkmcnt(2)
	v_fmac_f64_e32 v[2:3], v[22:23], v[42:43]
	v_fmac_f64_e32 v[0:1], v[24:25], v[42:43]
	ds_read2_b64 v[22:25], v20 offset0:64 offset1:80
	s_waitcnt lgkmcnt(2)
	v_fmac_f64_e32 v[10:11], v[46:47], v[28:29]
	v_fmac_f64_e32 v[4:5], v[48:49], v[28:29]
	ds_read2_b64 v[26:29], v20 offset0:96 offset1:112
	v_fmac_f64_e32 v[2:3], v[46:47], v[44:45]
	v_fmac_f64_e32 v[0:1], v[48:49], v[44:45]
	s_waitcnt lgkmcnt(1)
	v_fmac_f64_e32 v[10:11], v[22:23], v[30:31]
	v_fmac_f64_e32 v[4:5], v[24:25], v[30:31]
	ds_read_b128 v[42:45], v21 offset:1072
	v_fmac_f64_e32 v[2:3], v[22:23], v[50:51]
	v_fmac_f64_e32 v[0:1], v[24:25], v[50:51]
	s_waitcnt lgkmcnt(1)
	v_fmac_f64_e32 v[10:11], v[26:27], v[32:33]
	ds_read2_b64 v[22:25], v20 offset0:128 offset1:144
	v_fmac_f64_e32 v[4:5], v[28:29], v[32:33]
	v_fmac_f64_e32 v[2:3], v[26:27], v[52:53]
	;; [unrolled: 1-line block ×3, first 2 shown]
	ds_read_b128 v[26:29], v21 offset:1056
	ds_read2_b64 v[30:33], v20 offset0:160 offset1:176
	s_waitcnt lgkmcnt(2)
	v_fmac_f64_e32 v[10:11], v[22:23], v[34:35]
	v_fmac_f64_e32 v[4:5], v[24:25], v[34:35]
	s_add_u32 s6, s6, 8
	s_waitcnt lgkmcnt(1)
	v_fmac_f64_e32 v[2:3], v[22:23], v[26:27]
	v_fmac_f64_e32 v[0:1], v[24:25], v[26:27]
	ds_read2_b64 v[22:25], v20 offset0:192 offset1:208
	s_waitcnt lgkmcnt(1)
	v_fmac_f64_e32 v[2:3], v[30:31], v[28:29]
	v_fmac_f64_e32 v[0:1], v[32:33], v[28:29]
	ds_read2_b64 v[26:29], v20 offset0:224 offset1:240
	v_fmac_f64_e32 v[10:11], v[30:31], v[36:37]
	s_addc_u32 s7, s7, 0
	v_fmac_f64_e32 v[4:5], v[32:33], v[36:37]
	s_waitcnt lgkmcnt(1)
	v_fmac_f64_e32 v[10:11], v[22:23], v[38:39]
	v_fmac_f64_e32 v[2:3], v[22:23], v[42:43]
	v_mov_b64_e32 v[22:23], s[6:7]
	v_fmac_f64_e32 v[4:5], v[24:25], v[38:39]
	v_fmac_f64_e32 v[0:1], v[24:25], v[42:43]
	v_cmp_gt_i64_e32 vcc, s[8:9], v[22:23]
	s_waitcnt lgkmcnt(0)
	v_fmac_f64_e32 v[10:11], v[26:27], v[40:41]
	v_fmac_f64_e32 v[4:5], v[28:29], v[40:41]
	;; [unrolled: 1-line block ×4, first 2 shown]
	s_barrier
	s_cbranch_vccz .LBB204_12
.LBB204_6:                              ; =>This Inner Loop Header: Depth=1
	v_mov_b64_e32 v[22:23], 0
	s_and_saveexec_b64 s[12:13], s[0:1]
	s_cbranch_execz .LBB204_10
; %bb.7:                                ;   in Loop: Header=BB204_6 Depth=1
	v_add_u32_e32 v16, s6, v8
	v_cmp_gt_u64_e32 vcc, s[8:9], v[16:17]
	v_mov_b64_e32 v[22:23], 0
	s_and_saveexec_b64 s[14:15], vcc
	s_cbranch_execz .LBB204_9
; %bb.8:                                ;   in Loop: Header=BB204_6 Depth=1
	v_lshl_add_u64 v[22:23], v[16:17], 3, v[12:13]
	global_load_dwordx2 v[22:23], v[22:23], off
.LBB204_9:                              ;   in Loop: Header=BB204_6 Depth=1
	s_or_b64 exec, exec, s[14:15]
.LBB204_10:                             ;   in Loop: Header=BB204_6 Depth=1
	s_or_b64 exec, exec, s[12:13]
	v_add_u32_e32 v16, s6, v6
	v_cmp_gt_u64_e32 vcc, s[8:9], v[16:17]
	s_waitcnt vmcnt(0)
	ds_write_b64 v18, v[22:23]
	s_and_b64 s[14:15], vcc, s[2:3]
	v_mov_b64_e32 v[22:23], 0
	s_and_saveexec_b64 s[12:13], s[14:15]
	s_cbranch_execz .LBB204_5
; %bb.11:                               ;   in Loop: Header=BB204_6 Depth=1
	v_lshl_add_u64 v[22:23], v[16:17], 3, v[14:15]
	global_load_dwordx2 v[22:23], v[22:23], off
	s_branch .LBB204_5
.LBB204_12:
	s_mul_i32 s0, s31, s4
	s_mul_hi_u32 s1, s30, s4
	s_add_i32 s1, s1, s0
	s_mul_i32 s0, s30, s4
	s_lshl_b64 s[0:1], s[0:1], 3
	v_add_u32_e32 v14, s35, v9
	s_add_u32 s4, s26, s0
	v_add_u32_e32 v6, s34, v7
	v_ashrrev_i32_e32 v7, 31, v14
	s_addc_u32 s5, s27, s1
	v_mul_lo_u32 v7, s28, v7
	v_mul_lo_u32 v12, s29, v14
	v_mad_u64_u32 v[8:9], s[0:1], s28, v14, 0
	v_add3_u32 v9, v9, v7, v12
	v_cmp_neq_f64_e64 s[0:1], s[24:25], 0
	s_waitcnt lgkmcnt(0)
	v_cmp_gt_i32_e64 s[2:3], s33, v14
	v_lshl_add_u64 v[12:13], v[8:9], 3, s[4:5]
	v_cmp_le_i32_e32 vcc, v6, v14
	v_cndmask_b32_e64 v8, 0, 1, s[0:1]
	s_and_b64 s[8:9], s[2:3], vcc
	v_ashrrev_i32_e32 v7, 31, v6
	v_cmp_ne_u32_e64 s[0:1], 1, v8
	s_and_saveexec_b64 s[6:7], s[8:9]
	s_cbranch_execz .LBB204_16
; %bb.13:
	v_mul_f64 v[8:9], s[10:11], v[10:11]
	s_and_b64 vcc, exec, s[0:1]
	v_lshl_add_u64 v[10:11], v[6:7], 3, v[12:13]
	s_cbranch_vccnz .LBB204_15
; %bb.14:
	global_load_dwordx2 v[16:17], v[10:11], off
	s_waitcnt vmcnt(0)
	v_fmac_f64_e32 v[8:9], s[24:25], v[16:17]
.LBB204_15:
	global_store_dwordx2 v[10:11], v[8:9], off
.LBB204_16:
	s_or_b64 exec, exec, s[6:7]
	v_add_u32_e32 v8, 16, v6
	v_cmp_le_i32_e32 vcc, v8, v14
	s_and_b64 s[6:7], s[2:3], vcc
	v_ashrrev_i32_e32 v9, 31, v8
	s_and_saveexec_b64 s[2:3], s[6:7]
	s_cbranch_execz .LBB204_20
; %bb.17:
	v_mul_f64 v[4:5], s[10:11], v[4:5]
	s_and_b64 vcc, exec, s[0:1]
	v_lshl_add_u64 v[10:11], v[8:9], 3, v[12:13]
	s_cbranch_vccnz .LBB204_19
; %bb.18:
	global_load_dwordx2 v[12:13], v[10:11], off
	s_waitcnt vmcnt(0)
	v_fmac_f64_e32 v[4:5], s[24:25], v[12:13]
.LBB204_19:
	global_store_dwordx2 v[10:11], v[4:5], off
.LBB204_20:
	s_or_b64 exec, exec, s[2:3]
	v_add_u32_e32 v10, 16, v14
	v_ashrrev_i32_e32 v4, 31, v10
	v_mul_lo_u32 v11, s28, v4
	v_mul_lo_u32 v12, s29, v10
	v_mad_u64_u32 v[4:5], s[6:7], s28, v10, 0
	v_cmp_gt_i32_e64 s[2:3], s33, v10
	v_add3_u32 v5, v5, v11, v12
	v_cmp_le_i32_e32 vcc, v6, v10
	v_lshl_add_u64 v[4:5], v[4:5], 3, s[4:5]
	s_and_b64 s[6:7], s[2:3], vcc
	s_and_saveexec_b64 s[4:5], s[6:7]
	s_cbranch_execz .LBB204_24
; %bb.21:
	v_mul_f64 v[2:3], s[10:11], v[2:3]
	s_and_b64 vcc, exec, s[0:1]
	v_lshl_add_u64 v[6:7], v[6:7], 3, v[4:5]
	s_cbranch_vccnz .LBB204_23
; %bb.22:
	global_load_dwordx2 v[12:13], v[6:7], off
	s_waitcnt vmcnt(0)
	v_fmac_f64_e32 v[2:3], s[24:25], v[12:13]
.LBB204_23:
	global_store_dwordx2 v[6:7], v[2:3], off
.LBB204_24:
	s_or_b64 exec, exec, s[4:5]
	v_cmp_le_i32_e32 vcc, v8, v10
	s_and_b64 s[2:3], s[2:3], vcc
	s_and_saveexec_b64 s[4:5], s[2:3]
	s_cbranch_execz .LBB204_28
; %bb.25:
	v_mul_f64 v[0:1], s[10:11], v[0:1]
	s_and_b64 vcc, exec, s[0:1]
	v_lshl_add_u64 v[2:3], v[8:9], 3, v[4:5]
	s_cbranch_vccnz .LBB204_27
; %bb.26:
	global_load_dwordx2 v[4:5], v[2:3], off
	s_waitcnt vmcnt(0)
	v_fmac_f64_e32 v[0:1], s[24:25], v[4:5]
.LBB204_27:
	global_store_dwordx2 v[2:3], v[0:1], off
.LBB204_28:
	s_endpgm
	.section	.rodata,"a",@progbits
	.p2align	6, 0x0
	.amdhsa_kernel _ZL29rocblas_internal_gemmt_kernelIlLi16ELi32ELi8ELc67ELc78ELc85ELb0ELb0EddPKdPdEviT_T9_T10_S3_lS5_S3_lS4_T11_S3_li
		.amdhsa_group_segment_fixed_size 4096
		.amdhsa_private_segment_fixed_size 0
		.amdhsa_kernarg_size 108
		.amdhsa_user_sgpr_count 2
		.amdhsa_user_sgpr_dispatch_ptr 0
		.amdhsa_user_sgpr_queue_ptr 0
		.amdhsa_user_sgpr_kernarg_segment_ptr 1
		.amdhsa_user_sgpr_dispatch_id 0
		.amdhsa_user_sgpr_kernarg_preload_length 0
		.amdhsa_user_sgpr_kernarg_preload_offset 0
		.amdhsa_user_sgpr_private_segment_size 0
		.amdhsa_uses_dynamic_stack 0
		.amdhsa_enable_private_segment 0
		.amdhsa_system_sgpr_workgroup_id_x 1
		.amdhsa_system_sgpr_workgroup_id_y 1
		.amdhsa_system_sgpr_workgroup_id_z 1
		.amdhsa_system_sgpr_workgroup_info 0
		.amdhsa_system_vgpr_workitem_id 1
		.amdhsa_next_free_vgpr 54
		.amdhsa_next_free_sgpr 36
		.amdhsa_accum_offset 56
		.amdhsa_reserve_vcc 1
		.amdhsa_float_round_mode_32 0
		.amdhsa_float_round_mode_16_64 0
		.amdhsa_float_denorm_mode_32 3
		.amdhsa_float_denorm_mode_16_64 3
		.amdhsa_dx10_clamp 1
		.amdhsa_ieee_mode 1
		.amdhsa_fp16_overflow 0
		.amdhsa_tg_split 0
		.amdhsa_exception_fp_ieee_invalid_op 0
		.amdhsa_exception_fp_denorm_src 0
		.amdhsa_exception_fp_ieee_div_zero 0
		.amdhsa_exception_fp_ieee_overflow 0
		.amdhsa_exception_fp_ieee_underflow 0
		.amdhsa_exception_fp_ieee_inexact 0
		.amdhsa_exception_int_div_zero 0
	.end_amdhsa_kernel
	.section	.text._ZL29rocblas_internal_gemmt_kernelIlLi16ELi32ELi8ELc67ELc78ELc85ELb0ELb0EddPKdPdEviT_T9_T10_S3_lS5_S3_lS4_T11_S3_li,"axG",@progbits,_ZL29rocblas_internal_gemmt_kernelIlLi16ELi32ELi8ELc67ELc78ELc85ELb0ELb0EddPKdPdEviT_T9_T10_S3_lS5_S3_lS4_T11_S3_li,comdat
.Lfunc_end204:
	.size	_ZL29rocblas_internal_gemmt_kernelIlLi16ELi32ELi8ELc67ELc78ELc85ELb0ELb0EddPKdPdEviT_T9_T10_S3_lS5_S3_lS4_T11_S3_li, .Lfunc_end204-_ZL29rocblas_internal_gemmt_kernelIlLi16ELi32ELi8ELc67ELc78ELc85ELb0ELb0EddPKdPdEviT_T9_T10_S3_lS5_S3_lS4_T11_S3_li
                                        ; -- End function
	.set _ZL29rocblas_internal_gemmt_kernelIlLi16ELi32ELi8ELc67ELc78ELc85ELb0ELb0EddPKdPdEviT_T9_T10_S3_lS5_S3_lS4_T11_S3_li.num_vgpr, 54
	.set _ZL29rocblas_internal_gemmt_kernelIlLi16ELi32ELi8ELc67ELc78ELc85ELb0ELb0EddPKdPdEviT_T9_T10_S3_lS5_S3_lS4_T11_S3_li.num_agpr, 0
	.set _ZL29rocblas_internal_gemmt_kernelIlLi16ELi32ELi8ELc67ELc78ELc85ELb0ELb0EddPKdPdEviT_T9_T10_S3_lS5_S3_lS4_T11_S3_li.numbered_sgpr, 36
	.set _ZL29rocblas_internal_gemmt_kernelIlLi16ELi32ELi8ELc67ELc78ELc85ELb0ELb0EddPKdPdEviT_T9_T10_S3_lS5_S3_lS4_T11_S3_li.num_named_barrier, 0
	.set _ZL29rocblas_internal_gemmt_kernelIlLi16ELi32ELi8ELc67ELc78ELc85ELb0ELb0EddPKdPdEviT_T9_T10_S3_lS5_S3_lS4_T11_S3_li.private_seg_size, 0
	.set _ZL29rocblas_internal_gemmt_kernelIlLi16ELi32ELi8ELc67ELc78ELc85ELb0ELb0EddPKdPdEviT_T9_T10_S3_lS5_S3_lS4_T11_S3_li.uses_vcc, 1
	.set _ZL29rocblas_internal_gemmt_kernelIlLi16ELi32ELi8ELc67ELc78ELc85ELb0ELb0EddPKdPdEviT_T9_T10_S3_lS5_S3_lS4_T11_S3_li.uses_flat_scratch, 0
	.set _ZL29rocblas_internal_gemmt_kernelIlLi16ELi32ELi8ELc67ELc78ELc85ELb0ELb0EddPKdPdEviT_T9_T10_S3_lS5_S3_lS4_T11_S3_li.has_dyn_sized_stack, 0
	.set _ZL29rocblas_internal_gemmt_kernelIlLi16ELi32ELi8ELc67ELc78ELc85ELb0ELb0EddPKdPdEviT_T9_T10_S3_lS5_S3_lS4_T11_S3_li.has_recursion, 0
	.set _ZL29rocblas_internal_gemmt_kernelIlLi16ELi32ELi8ELc67ELc78ELc85ELb0ELb0EddPKdPdEviT_T9_T10_S3_lS5_S3_lS4_T11_S3_li.has_indirect_call, 0
	.section	.AMDGPU.csdata,"",@progbits
; Kernel info:
; codeLenInByte = 1324
; TotalNumSgprs: 42
; NumVgprs: 54
; NumAgprs: 0
; TotalNumVgprs: 54
; ScratchSize: 0
; MemoryBound: 0
; FloatMode: 240
; IeeeMode: 1
; LDSByteSize: 4096 bytes/workgroup (compile time only)
; SGPRBlocks: 5
; VGPRBlocks: 6
; NumSGPRsForWavesPerEU: 42
; NumVGPRsForWavesPerEU: 54
; AccumOffset: 56
; Occupancy: 8
; WaveLimiterHint : 0
; COMPUTE_PGM_RSRC2:SCRATCH_EN: 0
; COMPUTE_PGM_RSRC2:USER_SGPR: 2
; COMPUTE_PGM_RSRC2:TRAP_HANDLER: 0
; COMPUTE_PGM_RSRC2:TGID_X_EN: 1
; COMPUTE_PGM_RSRC2:TGID_Y_EN: 1
; COMPUTE_PGM_RSRC2:TGID_Z_EN: 1
; COMPUTE_PGM_RSRC2:TIDIG_COMP_CNT: 1
; COMPUTE_PGM_RSRC3_GFX90A:ACCUM_OFFSET: 13
; COMPUTE_PGM_RSRC3_GFX90A:TG_SPLIT: 0
	.section	.text._ZL29rocblas_internal_gemmt_kernelIlLi16ELi32ELi8ELc67ELc84ELc85ELb0ELb0EddPKdPdEviT_T9_T10_S3_lS5_S3_lS4_T11_S3_li,"axG",@progbits,_ZL29rocblas_internal_gemmt_kernelIlLi16ELi32ELi8ELc67ELc84ELc85ELb0ELb0EddPKdPdEviT_T9_T10_S3_lS5_S3_lS4_T11_S3_li,comdat
	.globl	_ZL29rocblas_internal_gemmt_kernelIlLi16ELi32ELi8ELc67ELc84ELc85ELb0ELb0EddPKdPdEviT_T9_T10_S3_lS5_S3_lS4_T11_S3_li ; -- Begin function _ZL29rocblas_internal_gemmt_kernelIlLi16ELi32ELi8ELc67ELc84ELc85ELb0ELb0EddPKdPdEviT_T9_T10_S3_lS5_S3_lS4_T11_S3_li
	.p2align	8
	.type	_ZL29rocblas_internal_gemmt_kernelIlLi16ELi32ELi8ELc67ELc84ELc85ELb0ELb0EddPKdPdEviT_T9_T10_S3_lS5_S3_lS4_T11_S3_li,@function
_ZL29rocblas_internal_gemmt_kernelIlLi16ELi32ELi8ELc67ELc84ELc85ELb0ELb0EddPKdPdEviT_T9_T10_S3_lS5_S3_lS4_T11_S3_li: ; @_ZL29rocblas_internal_gemmt_kernelIlLi16ELi32ELi8ELc67ELc84ELc85ELb0ELb0EddPKdPdEviT_T9_T10_S3_lS5_S3_lS4_T11_S3_li
; %bb.0:
	s_load_dwordx8 s[24:31], s[0:1], 0x48
	s_load_dwordx16 s[8:23], s[0:1], 0x8
	s_waitcnt lgkmcnt(0)
	v_cmp_neq_f64_e64 s[6:7], s[24:25], 1.0
	s_and_b64 vcc, exec, s[6:7]
	s_cbranch_vccnz .LBB205_2
; %bb.1:
	s_cmp_lg_u64 s[8:9], 0
	s_cselect_b64 s[6:7], -1, 0
	v_cmp_neq_f64_e64 s[34:35], s[10:11], 0
	s_and_b64 s[6:7], s[6:7], s[34:35]
.LBB205_2:
	s_andn2_b64 vcc, exec, s[6:7]
	s_cbranch_vccnz .LBB205_28
; %bb.3:
	s_load_dword s33, s[0:1], 0x0
	s_lshl_b32 s34, s2, 5
	s_lshl_b32 s35, s3, 5
	v_cmp_eq_f64_e64 s[0:1], s[10:11], 0
	v_cmp_lt_i64_e64 s[2:3], s[8:9], 1
	s_or_b64 s[0:1], s[0:1], s[2:3]
	v_and_b32_e32 v7, 0x3ff, v0
	v_bfe_u32 v11, v0, 10, 10
	v_mov_b64_e32 v[8:9], 0
	s_and_b64 vcc, exec, s[0:1]
	v_mov_b64_e32 v[4:5], 0
	v_mov_b64_e32 v[2:3], 0
	;; [unrolled: 1-line block ×3, first 2 shown]
	s_cbranch_vccnz .LBB205_12
; %bb.4:
	s_mul_i32 s0, s23, s4
	s_mul_hi_u32 s1, s22, s4
	s_add_i32 s1, s1, s0
	s_mul_i32 s0, s22, s4
	s_lshl_b64 s[0:1], s[0:1], 3
	s_add_u32 s6, s18, s0
	s_addc_u32 s7, s19, s1
	s_mul_i32 s0, s17, s4
	s_mul_hi_u32 s1, s16, s4
	s_add_i32 s1, s1, s0
	s_mul_i32 s0, s16, s4
	v_lshl_add_u32 v1, v11, 4, v7
	s_lshl_b64 s[0:1], s[0:1], 3
	v_lshrrev_b32_e32 v10, 5, v1
	v_lshrrev_b32_e32 v4, 3, v1
	v_and_b32_e32 v1, 31, v1
	s_add_u32 s2, s12, s0
	v_or_b32_e32 v2, s34, v1
	s_addc_u32 s3, s13, s1
	v_lshlrev_b32_e32 v1, 3, v1
	s_ashr_i32 s5, s34, 31
	v_and_b32_e32 v6, 7, v7
	s_waitcnt lgkmcnt(0)
	v_cmp_gt_i32_e64 s[0:1], s33, v2
	v_lshl_or_b32 v18, v10, 8, v1
	v_mul_lo_u32 v1, s15, v2
	v_mad_u64_u32 v[2:3], s[12:13], s14, v2, 0
	s_mul_i32 s5, s14, s5
	v_add3_u32 v3, v3, s5, v1
	v_lshlrev_b32_e32 v1, 3, v6
	v_add_u32_e32 v0, s35, v4
	v_lshl_or_b32 v1, v4, 6, v1
	v_add_u32_e32 v19, 0x800, v1
	v_ashrrev_i32_e32 v1, 31, v0
	v_lshl_add_u64 v[12:13], v[2:3], 3, s[2:3]
	v_cmp_gt_i32_e64 s[2:3], s33, v0
	v_lshl_add_u64 v[14:15], v[0:1], 3, s[6:7]
	v_mov_b32_e32 v0, 0x800
	v_lshlrev_b32_e32 v20, 3, v7
	v_lshl_add_u32 v21, v11, 6, v0
	v_mov_b32_e32 v17, 0
	v_mov_b64_e32 v[0:1], 0
	s_mov_b64 s[6:7], 0
	v_mov_b64_e32 v[2:3], 0
	v_mov_b64_e32 v[4:5], 0
	;; [unrolled: 1-line block ×3, first 2 shown]
	s_branch .LBB205_6
.LBB205_5:                              ;   in Loop: Header=BB205_6 Depth=1
	s_or_b64 exec, exec, s[12:13]
	s_waitcnt vmcnt(0)
	ds_write_b64 v19, v[22:23]
	s_waitcnt lgkmcnt(0)
	s_barrier
	ds_read2_b64 v[22:25], v20 offset1:16
	ds_read_b128 v[26:29], v21
	ds_read_b128 v[30:33], v21 offset:16
	ds_read_b128 v[34:37], v21 offset:32
	;; [unrolled: 1-line block ×4, first 2 shown]
	ds_read2_b64 v[46:49], v20 offset0:32 offset1:48
	s_waitcnt lgkmcnt(5)
	v_fmac_f64_e32 v[8:9], v[22:23], v[26:27]
	v_fmac_f64_e32 v[4:5], v[24:25], v[26:27]
	ds_read_b128 v[50:53], v21 offset:1040
	s_waitcnt lgkmcnt(2)
	v_fmac_f64_e32 v[2:3], v[22:23], v[42:43]
	v_fmac_f64_e32 v[0:1], v[24:25], v[42:43]
	ds_read2_b64 v[22:25], v20 offset0:64 offset1:80
	s_waitcnt lgkmcnt(2)
	v_fmac_f64_e32 v[8:9], v[46:47], v[28:29]
	v_fmac_f64_e32 v[4:5], v[48:49], v[28:29]
	ds_read2_b64 v[26:29], v20 offset0:96 offset1:112
	v_fmac_f64_e32 v[2:3], v[46:47], v[44:45]
	v_fmac_f64_e32 v[0:1], v[48:49], v[44:45]
	s_waitcnt lgkmcnt(1)
	v_fmac_f64_e32 v[8:9], v[22:23], v[30:31]
	v_fmac_f64_e32 v[4:5], v[24:25], v[30:31]
	ds_read_b128 v[42:45], v21 offset:1072
	v_fmac_f64_e32 v[2:3], v[22:23], v[50:51]
	v_fmac_f64_e32 v[0:1], v[24:25], v[50:51]
	s_waitcnt lgkmcnt(1)
	v_fmac_f64_e32 v[8:9], v[26:27], v[32:33]
	ds_read2_b64 v[22:25], v20 offset0:128 offset1:144
	v_fmac_f64_e32 v[4:5], v[28:29], v[32:33]
	v_fmac_f64_e32 v[2:3], v[26:27], v[52:53]
	;; [unrolled: 1-line block ×3, first 2 shown]
	ds_read_b128 v[26:29], v21 offset:1056
	ds_read2_b64 v[30:33], v20 offset0:160 offset1:176
	s_waitcnt lgkmcnt(2)
	v_fmac_f64_e32 v[8:9], v[22:23], v[34:35]
	v_fmac_f64_e32 v[4:5], v[24:25], v[34:35]
	s_add_u32 s6, s6, 8
	s_waitcnt lgkmcnt(1)
	v_fmac_f64_e32 v[2:3], v[22:23], v[26:27]
	v_fmac_f64_e32 v[0:1], v[24:25], v[26:27]
	ds_read2_b64 v[22:25], v20 offset0:192 offset1:208
	s_waitcnt lgkmcnt(1)
	v_fmac_f64_e32 v[2:3], v[30:31], v[28:29]
	v_fmac_f64_e32 v[0:1], v[32:33], v[28:29]
	ds_read2_b64 v[26:29], v20 offset0:224 offset1:240
	v_fmac_f64_e32 v[8:9], v[30:31], v[36:37]
	s_addc_u32 s7, s7, 0
	v_fmac_f64_e32 v[4:5], v[32:33], v[36:37]
	s_waitcnt lgkmcnt(1)
	v_fmac_f64_e32 v[8:9], v[22:23], v[38:39]
	v_fmac_f64_e32 v[2:3], v[22:23], v[42:43]
	v_mov_b64_e32 v[22:23], s[6:7]
	v_fmac_f64_e32 v[4:5], v[24:25], v[38:39]
	v_fmac_f64_e32 v[0:1], v[24:25], v[42:43]
	v_cmp_gt_i64_e32 vcc, s[8:9], v[22:23]
	s_waitcnt lgkmcnt(0)
	v_fmac_f64_e32 v[8:9], v[26:27], v[40:41]
	v_fmac_f64_e32 v[4:5], v[28:29], v[40:41]
	;; [unrolled: 1-line block ×4, first 2 shown]
	s_barrier
	s_cbranch_vccz .LBB205_12
.LBB205_6:                              ; =>This Inner Loop Header: Depth=1
	v_mov_b64_e32 v[22:23], 0
	s_and_saveexec_b64 s[12:13], s[0:1]
	s_cbranch_execz .LBB205_10
; %bb.7:                                ;   in Loop: Header=BB205_6 Depth=1
	v_add_u32_e32 v16, s6, v10
	v_cmp_gt_u64_e32 vcc, s[8:9], v[16:17]
	v_mov_b64_e32 v[22:23], 0
	s_and_saveexec_b64 s[14:15], vcc
	s_cbranch_execz .LBB205_9
; %bb.8:                                ;   in Loop: Header=BB205_6 Depth=1
	v_lshl_add_u64 v[22:23], v[16:17], 3, v[12:13]
	global_load_dwordx2 v[22:23], v[22:23], off
.LBB205_9:                              ;   in Loop: Header=BB205_6 Depth=1
	s_or_b64 exec, exec, s[14:15]
.LBB205_10:                             ;   in Loop: Header=BB205_6 Depth=1
	s_or_b64 exec, exec, s[12:13]
	v_add_u32_e32 v16, s6, v6
	v_cmp_gt_u64_e32 vcc, s[8:9], v[16:17]
	s_waitcnt vmcnt(0)
	ds_write_b64 v18, v[22:23]
	s_and_b64 s[14:15], vcc, s[2:3]
	v_mov_b64_e32 v[22:23], 0
	s_and_saveexec_b64 s[12:13], s[14:15]
	s_cbranch_execz .LBB205_5
; %bb.11:                               ;   in Loop: Header=BB205_6 Depth=1
	v_mad_u64_u32 v[22:23], s[14:15], s20, v16, 0
	v_mov_b32_e32 v24, v23
	v_mad_u64_u32 v[24:25], s[14:15], s21, v16, v[24:25]
	v_mov_b32_e32 v23, v24
	v_lshl_add_u64 v[22:23], v[22:23], 3, v[14:15]
	global_load_dwordx2 v[22:23], v[22:23], off
	s_branch .LBB205_5
.LBB205_12:
	s_mul_i32 s0, s31, s4
	s_mul_hi_u32 s1, s30, s4
	s_add_i32 s1, s1, s0
	s_mul_i32 s0, s30, s4
	s_lshl_b64 s[0:1], s[0:1], 3
	s_add_u32 s4, s26, s0
	v_add_u32_e32 v14, s35, v11
	s_addc_u32 s5, s27, s1
	v_add_u32_e32 v6, s34, v7
	v_ashrrev_i32_e32 v7, 31, v14
	v_mad_u64_u32 v[10:11], s[0:1], s28, v14, 0
	v_mul_lo_u32 v7, s28, v7
	v_mul_lo_u32 v12, s29, v14
	v_cmp_neq_f64_e64 s[0:1], s[24:25], 0
	s_waitcnt lgkmcnt(0)
	v_cmp_gt_i32_e64 s[2:3], s33, v14
	v_add3_u32 v11, v11, v7, v12
	v_cmp_le_i32_e32 vcc, v6, v14
	v_cndmask_b32_e64 v12, 0, 1, s[0:1]
	v_lshl_add_u64 v[10:11], v[10:11], 3, s[4:5]
	s_and_b64 s[8:9], s[2:3], vcc
	v_ashrrev_i32_e32 v7, 31, v6
	v_cmp_ne_u32_e64 s[0:1], 1, v12
	s_and_saveexec_b64 s[6:7], s[8:9]
	s_cbranch_execz .LBB205_16
; %bb.13:
	v_mul_f64 v[8:9], s[10:11], v[8:9]
	s_and_b64 vcc, exec, s[0:1]
	v_lshl_add_u64 v[12:13], v[6:7], 3, v[10:11]
	s_cbranch_vccnz .LBB205_15
; %bb.14:
	global_load_dwordx2 v[16:17], v[12:13], off
	s_waitcnt vmcnt(0)
	v_fmac_f64_e32 v[8:9], s[24:25], v[16:17]
.LBB205_15:
	global_store_dwordx2 v[12:13], v[8:9], off
.LBB205_16:
	s_or_b64 exec, exec, s[6:7]
	v_add_u32_e32 v8, 16, v6
	v_cmp_le_i32_e32 vcc, v8, v14
	s_and_b64 s[6:7], s[2:3], vcc
	v_ashrrev_i32_e32 v9, 31, v8
	s_and_saveexec_b64 s[2:3], s[6:7]
	s_cbranch_execz .LBB205_20
; %bb.17:
	v_mul_f64 v[4:5], s[10:11], v[4:5]
	s_and_b64 vcc, exec, s[0:1]
	v_lshl_add_u64 v[10:11], v[8:9], 3, v[10:11]
	s_cbranch_vccnz .LBB205_19
; %bb.18:
	global_load_dwordx2 v[12:13], v[10:11], off
	s_waitcnt vmcnt(0)
	v_fmac_f64_e32 v[4:5], s[24:25], v[12:13]
.LBB205_19:
	global_store_dwordx2 v[10:11], v[4:5], off
.LBB205_20:
	s_or_b64 exec, exec, s[2:3]
	v_add_u32_e32 v10, 16, v14
	v_ashrrev_i32_e32 v4, 31, v10
	v_mul_lo_u32 v11, s28, v4
	v_mul_lo_u32 v12, s29, v10
	v_mad_u64_u32 v[4:5], s[6:7], s28, v10, 0
	v_cmp_gt_i32_e64 s[2:3], s33, v10
	v_add3_u32 v5, v5, v11, v12
	v_cmp_le_i32_e32 vcc, v6, v10
	v_lshl_add_u64 v[4:5], v[4:5], 3, s[4:5]
	s_and_b64 s[6:7], s[2:3], vcc
	s_and_saveexec_b64 s[4:5], s[6:7]
	s_cbranch_execz .LBB205_24
; %bb.21:
	v_mul_f64 v[2:3], s[10:11], v[2:3]
	s_and_b64 vcc, exec, s[0:1]
	v_lshl_add_u64 v[6:7], v[6:7], 3, v[4:5]
	s_cbranch_vccnz .LBB205_23
; %bb.22:
	global_load_dwordx2 v[12:13], v[6:7], off
	s_waitcnt vmcnt(0)
	v_fmac_f64_e32 v[2:3], s[24:25], v[12:13]
.LBB205_23:
	global_store_dwordx2 v[6:7], v[2:3], off
.LBB205_24:
	s_or_b64 exec, exec, s[4:5]
	v_cmp_le_i32_e32 vcc, v8, v10
	s_and_b64 s[2:3], s[2:3], vcc
	s_and_saveexec_b64 s[4:5], s[2:3]
	s_cbranch_execz .LBB205_28
; %bb.25:
	v_mul_f64 v[0:1], s[10:11], v[0:1]
	s_and_b64 vcc, exec, s[0:1]
	v_lshl_add_u64 v[2:3], v[8:9], 3, v[4:5]
	s_cbranch_vccnz .LBB205_27
; %bb.26:
	global_load_dwordx2 v[4:5], v[2:3], off
	s_waitcnt vmcnt(0)
	v_fmac_f64_e32 v[0:1], s[24:25], v[4:5]
.LBB205_27:
	global_store_dwordx2 v[2:3], v[0:1], off
.LBB205_28:
	s_endpgm
	.section	.rodata,"a",@progbits
	.p2align	6, 0x0
	.amdhsa_kernel _ZL29rocblas_internal_gemmt_kernelIlLi16ELi32ELi8ELc67ELc84ELc85ELb0ELb0EddPKdPdEviT_T9_T10_S3_lS5_S3_lS4_T11_S3_li
		.amdhsa_group_segment_fixed_size 4096
		.amdhsa_private_segment_fixed_size 0
		.amdhsa_kernarg_size 108
		.amdhsa_user_sgpr_count 2
		.amdhsa_user_sgpr_dispatch_ptr 0
		.amdhsa_user_sgpr_queue_ptr 0
		.amdhsa_user_sgpr_kernarg_segment_ptr 1
		.amdhsa_user_sgpr_dispatch_id 0
		.amdhsa_user_sgpr_kernarg_preload_length 0
		.amdhsa_user_sgpr_kernarg_preload_offset 0
		.amdhsa_user_sgpr_private_segment_size 0
		.amdhsa_uses_dynamic_stack 0
		.amdhsa_enable_private_segment 0
		.amdhsa_system_sgpr_workgroup_id_x 1
		.amdhsa_system_sgpr_workgroup_id_y 1
		.amdhsa_system_sgpr_workgroup_id_z 1
		.amdhsa_system_sgpr_workgroup_info 0
		.amdhsa_system_vgpr_workitem_id 1
		.amdhsa_next_free_vgpr 54
		.amdhsa_next_free_sgpr 36
		.amdhsa_accum_offset 56
		.amdhsa_reserve_vcc 1
		.amdhsa_float_round_mode_32 0
		.amdhsa_float_round_mode_16_64 0
		.amdhsa_float_denorm_mode_32 3
		.amdhsa_float_denorm_mode_16_64 3
		.amdhsa_dx10_clamp 1
		.amdhsa_ieee_mode 1
		.amdhsa_fp16_overflow 0
		.amdhsa_tg_split 0
		.amdhsa_exception_fp_ieee_invalid_op 0
		.amdhsa_exception_fp_denorm_src 0
		.amdhsa_exception_fp_ieee_div_zero 0
		.amdhsa_exception_fp_ieee_overflow 0
		.amdhsa_exception_fp_ieee_underflow 0
		.amdhsa_exception_fp_ieee_inexact 0
		.amdhsa_exception_int_div_zero 0
	.end_amdhsa_kernel
	.section	.text._ZL29rocblas_internal_gemmt_kernelIlLi16ELi32ELi8ELc67ELc84ELc85ELb0ELb0EddPKdPdEviT_T9_T10_S3_lS5_S3_lS4_T11_S3_li,"axG",@progbits,_ZL29rocblas_internal_gemmt_kernelIlLi16ELi32ELi8ELc67ELc84ELc85ELb0ELb0EddPKdPdEviT_T9_T10_S3_lS5_S3_lS4_T11_S3_li,comdat
.Lfunc_end205:
	.size	_ZL29rocblas_internal_gemmt_kernelIlLi16ELi32ELi8ELc67ELc84ELc85ELb0ELb0EddPKdPdEviT_T9_T10_S3_lS5_S3_lS4_T11_S3_li, .Lfunc_end205-_ZL29rocblas_internal_gemmt_kernelIlLi16ELi32ELi8ELc67ELc84ELc85ELb0ELb0EddPKdPdEviT_T9_T10_S3_lS5_S3_lS4_T11_S3_li
                                        ; -- End function
	.set _ZL29rocblas_internal_gemmt_kernelIlLi16ELi32ELi8ELc67ELc84ELc85ELb0ELb0EddPKdPdEviT_T9_T10_S3_lS5_S3_lS4_T11_S3_li.num_vgpr, 54
	.set _ZL29rocblas_internal_gemmt_kernelIlLi16ELi32ELi8ELc67ELc84ELc85ELb0ELb0EddPKdPdEviT_T9_T10_S3_lS5_S3_lS4_T11_S3_li.num_agpr, 0
	.set _ZL29rocblas_internal_gemmt_kernelIlLi16ELi32ELi8ELc67ELc84ELc85ELb0ELb0EddPKdPdEviT_T9_T10_S3_lS5_S3_lS4_T11_S3_li.numbered_sgpr, 36
	.set _ZL29rocblas_internal_gemmt_kernelIlLi16ELi32ELi8ELc67ELc84ELc85ELb0ELb0EddPKdPdEviT_T9_T10_S3_lS5_S3_lS4_T11_S3_li.num_named_barrier, 0
	.set _ZL29rocblas_internal_gemmt_kernelIlLi16ELi32ELi8ELc67ELc84ELc85ELb0ELb0EddPKdPdEviT_T9_T10_S3_lS5_S3_lS4_T11_S3_li.private_seg_size, 0
	.set _ZL29rocblas_internal_gemmt_kernelIlLi16ELi32ELi8ELc67ELc84ELc85ELb0ELb0EddPKdPdEviT_T9_T10_S3_lS5_S3_lS4_T11_S3_li.uses_vcc, 1
	.set _ZL29rocblas_internal_gemmt_kernelIlLi16ELi32ELi8ELc67ELc84ELc85ELb0ELb0EddPKdPdEviT_T9_T10_S3_lS5_S3_lS4_T11_S3_li.uses_flat_scratch, 0
	.set _ZL29rocblas_internal_gemmt_kernelIlLi16ELi32ELi8ELc67ELc84ELc85ELb0ELb0EddPKdPdEviT_T9_T10_S3_lS5_S3_lS4_T11_S3_li.has_dyn_sized_stack, 0
	.set _ZL29rocblas_internal_gemmt_kernelIlLi16ELi32ELi8ELc67ELc84ELc85ELb0ELb0EddPKdPdEviT_T9_T10_S3_lS5_S3_lS4_T11_S3_li.has_recursion, 0
	.set _ZL29rocblas_internal_gemmt_kernelIlLi16ELi32ELi8ELc67ELc84ELc85ELb0ELb0EddPKdPdEviT_T9_T10_S3_lS5_S3_lS4_T11_S3_li.has_indirect_call, 0
	.section	.AMDGPU.csdata,"",@progbits
; Kernel info:
; codeLenInByte = 1316
; TotalNumSgprs: 42
; NumVgprs: 54
; NumAgprs: 0
; TotalNumVgprs: 54
; ScratchSize: 0
; MemoryBound: 0
; FloatMode: 240
; IeeeMode: 1
; LDSByteSize: 4096 bytes/workgroup (compile time only)
; SGPRBlocks: 5
; VGPRBlocks: 6
; NumSGPRsForWavesPerEU: 42
; NumVGPRsForWavesPerEU: 54
; AccumOffset: 56
; Occupancy: 8
; WaveLimiterHint : 0
; COMPUTE_PGM_RSRC2:SCRATCH_EN: 0
; COMPUTE_PGM_RSRC2:USER_SGPR: 2
; COMPUTE_PGM_RSRC2:TRAP_HANDLER: 0
; COMPUTE_PGM_RSRC2:TGID_X_EN: 1
; COMPUTE_PGM_RSRC2:TGID_Y_EN: 1
; COMPUTE_PGM_RSRC2:TGID_Z_EN: 1
; COMPUTE_PGM_RSRC2:TIDIG_COMP_CNT: 1
; COMPUTE_PGM_RSRC3_GFX90A:ACCUM_OFFSET: 13
; COMPUTE_PGM_RSRC3_GFX90A:TG_SPLIT: 0
	.section	.text._ZL29rocblas_internal_gemmt_kernelIlLi16ELi32ELi8ELc67ELc67ELc85ELb0ELb0EddPKdPdEviT_T9_T10_S3_lS5_S3_lS4_T11_S3_li,"axG",@progbits,_ZL29rocblas_internal_gemmt_kernelIlLi16ELi32ELi8ELc67ELc67ELc85ELb0ELb0EddPKdPdEviT_T9_T10_S3_lS5_S3_lS4_T11_S3_li,comdat
	.globl	_ZL29rocblas_internal_gemmt_kernelIlLi16ELi32ELi8ELc67ELc67ELc85ELb0ELb0EddPKdPdEviT_T9_T10_S3_lS5_S3_lS4_T11_S3_li ; -- Begin function _ZL29rocblas_internal_gemmt_kernelIlLi16ELi32ELi8ELc67ELc67ELc85ELb0ELb0EddPKdPdEviT_T9_T10_S3_lS5_S3_lS4_T11_S3_li
	.p2align	8
	.type	_ZL29rocblas_internal_gemmt_kernelIlLi16ELi32ELi8ELc67ELc67ELc85ELb0ELb0EddPKdPdEviT_T9_T10_S3_lS5_S3_lS4_T11_S3_li,@function
_ZL29rocblas_internal_gemmt_kernelIlLi16ELi32ELi8ELc67ELc67ELc85ELb0ELb0EddPKdPdEviT_T9_T10_S3_lS5_S3_lS4_T11_S3_li: ; @_ZL29rocblas_internal_gemmt_kernelIlLi16ELi32ELi8ELc67ELc67ELc85ELb0ELb0EddPKdPdEviT_T9_T10_S3_lS5_S3_lS4_T11_S3_li
; %bb.0:
	s_load_dwordx8 s[24:31], s[0:1], 0x48
	s_load_dwordx16 s[8:23], s[0:1], 0x8
	s_waitcnt lgkmcnt(0)
	v_cmp_neq_f64_e64 s[6:7], s[24:25], 1.0
	s_and_b64 vcc, exec, s[6:7]
	s_cbranch_vccnz .LBB206_2
; %bb.1:
	s_cmp_lg_u64 s[8:9], 0
	s_cselect_b64 s[6:7], -1, 0
	v_cmp_neq_f64_e64 s[34:35], s[10:11], 0
	s_and_b64 s[6:7], s[6:7], s[34:35]
.LBB206_2:
	s_andn2_b64 vcc, exec, s[6:7]
	s_cbranch_vccnz .LBB206_28
; %bb.3:
	s_load_dword s33, s[0:1], 0x0
	s_lshl_b32 s34, s2, 5
	s_lshl_b32 s35, s3, 5
	v_cmp_eq_f64_e64 s[0:1], s[10:11], 0
	v_cmp_lt_i64_e64 s[2:3], s[8:9], 1
	s_or_b64 s[0:1], s[0:1], s[2:3]
	v_and_b32_e32 v7, 0x3ff, v0
	v_bfe_u32 v11, v0, 10, 10
	v_mov_b64_e32 v[8:9], 0
	s_and_b64 vcc, exec, s[0:1]
	v_mov_b64_e32 v[4:5], 0
	v_mov_b64_e32 v[2:3], 0
	v_mov_b64_e32 v[0:1], 0
	s_cbranch_vccnz .LBB206_12
; %bb.4:
	s_mul_i32 s0, s23, s4
	s_mul_hi_u32 s1, s22, s4
	s_add_i32 s1, s1, s0
	s_mul_i32 s0, s22, s4
	s_lshl_b64 s[0:1], s[0:1], 3
	s_add_u32 s6, s18, s0
	s_addc_u32 s7, s19, s1
	s_mul_i32 s0, s17, s4
	s_mul_hi_u32 s1, s16, s4
	s_add_i32 s1, s1, s0
	s_mul_i32 s0, s16, s4
	v_lshl_add_u32 v1, v11, 4, v7
	s_lshl_b64 s[0:1], s[0:1], 3
	v_lshrrev_b32_e32 v10, 5, v1
	v_lshrrev_b32_e32 v4, 3, v1
	v_and_b32_e32 v1, 31, v1
	s_add_u32 s2, s12, s0
	v_or_b32_e32 v2, s34, v1
	s_addc_u32 s3, s13, s1
	v_lshlrev_b32_e32 v1, 3, v1
	s_ashr_i32 s5, s34, 31
	v_and_b32_e32 v6, 7, v7
	s_waitcnt lgkmcnt(0)
	v_cmp_gt_i32_e64 s[0:1], s33, v2
	v_lshl_or_b32 v18, v10, 8, v1
	v_mul_lo_u32 v1, s15, v2
	v_mad_u64_u32 v[2:3], s[12:13], s14, v2, 0
	s_mul_i32 s5, s14, s5
	v_add3_u32 v3, v3, s5, v1
	v_lshlrev_b32_e32 v1, 3, v6
	v_add_u32_e32 v0, s35, v4
	v_lshl_or_b32 v1, v4, 6, v1
	v_add_u32_e32 v19, 0x800, v1
	v_ashrrev_i32_e32 v1, 31, v0
	v_lshl_add_u64 v[12:13], v[2:3], 3, s[2:3]
	v_cmp_gt_i32_e64 s[2:3], s33, v0
	v_lshl_add_u64 v[14:15], v[0:1], 3, s[6:7]
	v_mov_b32_e32 v0, 0x800
	v_lshlrev_b32_e32 v20, 3, v7
	v_lshl_add_u32 v21, v11, 6, v0
	v_mov_b32_e32 v17, 0
	v_mov_b64_e32 v[0:1], 0
	s_mov_b64 s[6:7], 0
	v_mov_b64_e32 v[2:3], 0
	v_mov_b64_e32 v[4:5], 0
	;; [unrolled: 1-line block ×3, first 2 shown]
	s_branch .LBB206_6
.LBB206_5:                              ;   in Loop: Header=BB206_6 Depth=1
	s_or_b64 exec, exec, s[12:13]
	s_waitcnt vmcnt(0)
	ds_write_b64 v19, v[22:23]
	s_waitcnt lgkmcnt(0)
	s_barrier
	ds_read2_b64 v[22:25], v20 offset1:16
	ds_read_b128 v[26:29], v21
	ds_read_b128 v[30:33], v21 offset:16
	ds_read_b128 v[34:37], v21 offset:32
	;; [unrolled: 1-line block ×4, first 2 shown]
	ds_read2_b64 v[46:49], v20 offset0:32 offset1:48
	s_waitcnt lgkmcnt(5)
	v_fmac_f64_e32 v[8:9], v[22:23], v[26:27]
	v_fmac_f64_e32 v[4:5], v[24:25], v[26:27]
	ds_read_b128 v[50:53], v21 offset:1040
	s_waitcnt lgkmcnt(2)
	v_fmac_f64_e32 v[2:3], v[22:23], v[42:43]
	v_fmac_f64_e32 v[0:1], v[24:25], v[42:43]
	ds_read2_b64 v[22:25], v20 offset0:64 offset1:80
	s_waitcnt lgkmcnt(2)
	v_fmac_f64_e32 v[8:9], v[46:47], v[28:29]
	v_fmac_f64_e32 v[4:5], v[48:49], v[28:29]
	ds_read2_b64 v[26:29], v20 offset0:96 offset1:112
	v_fmac_f64_e32 v[2:3], v[46:47], v[44:45]
	v_fmac_f64_e32 v[0:1], v[48:49], v[44:45]
	s_waitcnt lgkmcnt(1)
	v_fmac_f64_e32 v[8:9], v[22:23], v[30:31]
	v_fmac_f64_e32 v[4:5], v[24:25], v[30:31]
	ds_read_b128 v[42:45], v21 offset:1072
	v_fmac_f64_e32 v[2:3], v[22:23], v[50:51]
	v_fmac_f64_e32 v[0:1], v[24:25], v[50:51]
	s_waitcnt lgkmcnt(1)
	v_fmac_f64_e32 v[8:9], v[26:27], v[32:33]
	ds_read2_b64 v[22:25], v20 offset0:128 offset1:144
	v_fmac_f64_e32 v[4:5], v[28:29], v[32:33]
	v_fmac_f64_e32 v[2:3], v[26:27], v[52:53]
	;; [unrolled: 1-line block ×3, first 2 shown]
	ds_read_b128 v[26:29], v21 offset:1056
	ds_read2_b64 v[30:33], v20 offset0:160 offset1:176
	s_waitcnt lgkmcnt(2)
	v_fmac_f64_e32 v[8:9], v[22:23], v[34:35]
	v_fmac_f64_e32 v[4:5], v[24:25], v[34:35]
	s_add_u32 s6, s6, 8
	s_waitcnt lgkmcnt(1)
	v_fmac_f64_e32 v[2:3], v[22:23], v[26:27]
	v_fmac_f64_e32 v[0:1], v[24:25], v[26:27]
	ds_read2_b64 v[22:25], v20 offset0:192 offset1:208
	s_waitcnt lgkmcnt(1)
	v_fmac_f64_e32 v[2:3], v[30:31], v[28:29]
	v_fmac_f64_e32 v[0:1], v[32:33], v[28:29]
	ds_read2_b64 v[26:29], v20 offset0:224 offset1:240
	v_fmac_f64_e32 v[8:9], v[30:31], v[36:37]
	s_addc_u32 s7, s7, 0
	v_fmac_f64_e32 v[4:5], v[32:33], v[36:37]
	s_waitcnt lgkmcnt(1)
	v_fmac_f64_e32 v[8:9], v[22:23], v[38:39]
	v_fmac_f64_e32 v[2:3], v[22:23], v[42:43]
	v_mov_b64_e32 v[22:23], s[6:7]
	v_fmac_f64_e32 v[4:5], v[24:25], v[38:39]
	v_fmac_f64_e32 v[0:1], v[24:25], v[42:43]
	v_cmp_gt_i64_e32 vcc, s[8:9], v[22:23]
	s_waitcnt lgkmcnt(0)
	v_fmac_f64_e32 v[8:9], v[26:27], v[40:41]
	v_fmac_f64_e32 v[4:5], v[28:29], v[40:41]
	;; [unrolled: 1-line block ×4, first 2 shown]
	s_barrier
	s_cbranch_vccz .LBB206_12
.LBB206_6:                              ; =>This Inner Loop Header: Depth=1
	v_mov_b64_e32 v[22:23], 0
	s_and_saveexec_b64 s[12:13], s[0:1]
	s_cbranch_execz .LBB206_10
; %bb.7:                                ;   in Loop: Header=BB206_6 Depth=1
	v_add_u32_e32 v16, s6, v10
	v_cmp_gt_u64_e32 vcc, s[8:9], v[16:17]
	v_mov_b64_e32 v[22:23], 0
	s_and_saveexec_b64 s[14:15], vcc
	s_cbranch_execz .LBB206_9
; %bb.8:                                ;   in Loop: Header=BB206_6 Depth=1
	v_lshl_add_u64 v[22:23], v[16:17], 3, v[12:13]
	global_load_dwordx2 v[22:23], v[22:23], off
.LBB206_9:                              ;   in Loop: Header=BB206_6 Depth=1
	s_or_b64 exec, exec, s[14:15]
.LBB206_10:                             ;   in Loop: Header=BB206_6 Depth=1
	s_or_b64 exec, exec, s[12:13]
	v_add_u32_e32 v16, s6, v6
	v_cmp_gt_u64_e32 vcc, s[8:9], v[16:17]
	s_waitcnt vmcnt(0)
	ds_write_b64 v18, v[22:23]
	s_and_b64 s[14:15], vcc, s[2:3]
	v_mov_b64_e32 v[22:23], 0
	s_and_saveexec_b64 s[12:13], s[14:15]
	s_cbranch_execz .LBB206_5
; %bb.11:                               ;   in Loop: Header=BB206_6 Depth=1
	v_mad_u64_u32 v[22:23], s[14:15], s20, v16, 0
	v_mov_b32_e32 v24, v23
	v_mad_u64_u32 v[24:25], s[14:15], s21, v16, v[24:25]
	v_mov_b32_e32 v23, v24
	v_lshl_add_u64 v[22:23], v[22:23], 3, v[14:15]
	global_load_dwordx2 v[22:23], v[22:23], off
	s_branch .LBB206_5
.LBB206_12:
	s_mul_i32 s0, s31, s4
	s_mul_hi_u32 s1, s30, s4
	s_add_i32 s1, s1, s0
	s_mul_i32 s0, s30, s4
	s_lshl_b64 s[0:1], s[0:1], 3
	s_add_u32 s4, s26, s0
	v_add_u32_e32 v14, s35, v11
	s_addc_u32 s5, s27, s1
	v_add_u32_e32 v6, s34, v7
	v_ashrrev_i32_e32 v7, 31, v14
	v_mad_u64_u32 v[10:11], s[0:1], s28, v14, 0
	v_mul_lo_u32 v7, s28, v7
	v_mul_lo_u32 v12, s29, v14
	v_cmp_neq_f64_e64 s[0:1], s[24:25], 0
	s_waitcnt lgkmcnt(0)
	v_cmp_gt_i32_e64 s[2:3], s33, v14
	v_add3_u32 v11, v11, v7, v12
	v_cmp_le_i32_e32 vcc, v6, v14
	v_cndmask_b32_e64 v12, 0, 1, s[0:1]
	v_lshl_add_u64 v[10:11], v[10:11], 3, s[4:5]
	s_and_b64 s[8:9], s[2:3], vcc
	v_ashrrev_i32_e32 v7, 31, v6
	v_cmp_ne_u32_e64 s[0:1], 1, v12
	s_and_saveexec_b64 s[6:7], s[8:9]
	s_cbranch_execz .LBB206_16
; %bb.13:
	v_mul_f64 v[8:9], s[10:11], v[8:9]
	s_and_b64 vcc, exec, s[0:1]
	v_lshl_add_u64 v[12:13], v[6:7], 3, v[10:11]
	s_cbranch_vccnz .LBB206_15
; %bb.14:
	global_load_dwordx2 v[16:17], v[12:13], off
	s_waitcnt vmcnt(0)
	v_fmac_f64_e32 v[8:9], s[24:25], v[16:17]
.LBB206_15:
	global_store_dwordx2 v[12:13], v[8:9], off
.LBB206_16:
	s_or_b64 exec, exec, s[6:7]
	v_add_u32_e32 v8, 16, v6
	v_cmp_le_i32_e32 vcc, v8, v14
	s_and_b64 s[6:7], s[2:3], vcc
	v_ashrrev_i32_e32 v9, 31, v8
	s_and_saveexec_b64 s[2:3], s[6:7]
	s_cbranch_execz .LBB206_20
; %bb.17:
	v_mul_f64 v[4:5], s[10:11], v[4:5]
	s_and_b64 vcc, exec, s[0:1]
	v_lshl_add_u64 v[10:11], v[8:9], 3, v[10:11]
	s_cbranch_vccnz .LBB206_19
; %bb.18:
	global_load_dwordx2 v[12:13], v[10:11], off
	s_waitcnt vmcnt(0)
	v_fmac_f64_e32 v[4:5], s[24:25], v[12:13]
.LBB206_19:
	global_store_dwordx2 v[10:11], v[4:5], off
.LBB206_20:
	s_or_b64 exec, exec, s[2:3]
	v_add_u32_e32 v10, 16, v14
	v_ashrrev_i32_e32 v4, 31, v10
	v_mul_lo_u32 v11, s28, v4
	v_mul_lo_u32 v12, s29, v10
	v_mad_u64_u32 v[4:5], s[6:7], s28, v10, 0
	v_cmp_gt_i32_e64 s[2:3], s33, v10
	v_add3_u32 v5, v5, v11, v12
	v_cmp_le_i32_e32 vcc, v6, v10
	v_lshl_add_u64 v[4:5], v[4:5], 3, s[4:5]
	s_and_b64 s[6:7], s[2:3], vcc
	s_and_saveexec_b64 s[4:5], s[6:7]
	s_cbranch_execz .LBB206_24
; %bb.21:
	v_mul_f64 v[2:3], s[10:11], v[2:3]
	s_and_b64 vcc, exec, s[0:1]
	v_lshl_add_u64 v[6:7], v[6:7], 3, v[4:5]
	s_cbranch_vccnz .LBB206_23
; %bb.22:
	global_load_dwordx2 v[12:13], v[6:7], off
	s_waitcnt vmcnt(0)
	v_fmac_f64_e32 v[2:3], s[24:25], v[12:13]
.LBB206_23:
	global_store_dwordx2 v[6:7], v[2:3], off
.LBB206_24:
	s_or_b64 exec, exec, s[4:5]
	v_cmp_le_i32_e32 vcc, v8, v10
	s_and_b64 s[2:3], s[2:3], vcc
	s_and_saveexec_b64 s[4:5], s[2:3]
	s_cbranch_execz .LBB206_28
; %bb.25:
	v_mul_f64 v[0:1], s[10:11], v[0:1]
	s_and_b64 vcc, exec, s[0:1]
	v_lshl_add_u64 v[2:3], v[8:9], 3, v[4:5]
	s_cbranch_vccnz .LBB206_27
; %bb.26:
	global_load_dwordx2 v[4:5], v[2:3], off
	s_waitcnt vmcnt(0)
	v_fmac_f64_e32 v[0:1], s[24:25], v[4:5]
.LBB206_27:
	global_store_dwordx2 v[2:3], v[0:1], off
.LBB206_28:
	s_endpgm
	.section	.rodata,"a",@progbits
	.p2align	6, 0x0
	.amdhsa_kernel _ZL29rocblas_internal_gemmt_kernelIlLi16ELi32ELi8ELc67ELc67ELc85ELb0ELb0EddPKdPdEviT_T9_T10_S3_lS5_S3_lS4_T11_S3_li
		.amdhsa_group_segment_fixed_size 4096
		.amdhsa_private_segment_fixed_size 0
		.amdhsa_kernarg_size 108
		.amdhsa_user_sgpr_count 2
		.amdhsa_user_sgpr_dispatch_ptr 0
		.amdhsa_user_sgpr_queue_ptr 0
		.amdhsa_user_sgpr_kernarg_segment_ptr 1
		.amdhsa_user_sgpr_dispatch_id 0
		.amdhsa_user_sgpr_kernarg_preload_length 0
		.amdhsa_user_sgpr_kernarg_preload_offset 0
		.amdhsa_user_sgpr_private_segment_size 0
		.amdhsa_uses_dynamic_stack 0
		.amdhsa_enable_private_segment 0
		.amdhsa_system_sgpr_workgroup_id_x 1
		.amdhsa_system_sgpr_workgroup_id_y 1
		.amdhsa_system_sgpr_workgroup_id_z 1
		.amdhsa_system_sgpr_workgroup_info 0
		.amdhsa_system_vgpr_workitem_id 1
		.amdhsa_next_free_vgpr 54
		.amdhsa_next_free_sgpr 36
		.amdhsa_accum_offset 56
		.amdhsa_reserve_vcc 1
		.amdhsa_float_round_mode_32 0
		.amdhsa_float_round_mode_16_64 0
		.amdhsa_float_denorm_mode_32 3
		.amdhsa_float_denorm_mode_16_64 3
		.amdhsa_dx10_clamp 1
		.amdhsa_ieee_mode 1
		.amdhsa_fp16_overflow 0
		.amdhsa_tg_split 0
		.amdhsa_exception_fp_ieee_invalid_op 0
		.amdhsa_exception_fp_denorm_src 0
		.amdhsa_exception_fp_ieee_div_zero 0
		.amdhsa_exception_fp_ieee_overflow 0
		.amdhsa_exception_fp_ieee_underflow 0
		.amdhsa_exception_fp_ieee_inexact 0
		.amdhsa_exception_int_div_zero 0
	.end_amdhsa_kernel
	.section	.text._ZL29rocblas_internal_gemmt_kernelIlLi16ELi32ELi8ELc67ELc67ELc85ELb0ELb0EddPKdPdEviT_T9_T10_S3_lS5_S3_lS4_T11_S3_li,"axG",@progbits,_ZL29rocblas_internal_gemmt_kernelIlLi16ELi32ELi8ELc67ELc67ELc85ELb0ELb0EddPKdPdEviT_T9_T10_S3_lS5_S3_lS4_T11_S3_li,comdat
.Lfunc_end206:
	.size	_ZL29rocblas_internal_gemmt_kernelIlLi16ELi32ELi8ELc67ELc67ELc85ELb0ELb0EddPKdPdEviT_T9_T10_S3_lS5_S3_lS4_T11_S3_li, .Lfunc_end206-_ZL29rocblas_internal_gemmt_kernelIlLi16ELi32ELi8ELc67ELc67ELc85ELb0ELb0EddPKdPdEviT_T9_T10_S3_lS5_S3_lS4_T11_S3_li
                                        ; -- End function
	.set _ZL29rocblas_internal_gemmt_kernelIlLi16ELi32ELi8ELc67ELc67ELc85ELb0ELb0EddPKdPdEviT_T9_T10_S3_lS5_S3_lS4_T11_S3_li.num_vgpr, 54
	.set _ZL29rocblas_internal_gemmt_kernelIlLi16ELi32ELi8ELc67ELc67ELc85ELb0ELb0EddPKdPdEviT_T9_T10_S3_lS5_S3_lS4_T11_S3_li.num_agpr, 0
	.set _ZL29rocblas_internal_gemmt_kernelIlLi16ELi32ELi8ELc67ELc67ELc85ELb0ELb0EddPKdPdEviT_T9_T10_S3_lS5_S3_lS4_T11_S3_li.numbered_sgpr, 36
	.set _ZL29rocblas_internal_gemmt_kernelIlLi16ELi32ELi8ELc67ELc67ELc85ELb0ELb0EddPKdPdEviT_T9_T10_S3_lS5_S3_lS4_T11_S3_li.num_named_barrier, 0
	.set _ZL29rocblas_internal_gemmt_kernelIlLi16ELi32ELi8ELc67ELc67ELc85ELb0ELb0EddPKdPdEviT_T9_T10_S3_lS5_S3_lS4_T11_S3_li.private_seg_size, 0
	.set _ZL29rocblas_internal_gemmt_kernelIlLi16ELi32ELi8ELc67ELc67ELc85ELb0ELb0EddPKdPdEviT_T9_T10_S3_lS5_S3_lS4_T11_S3_li.uses_vcc, 1
	.set _ZL29rocblas_internal_gemmt_kernelIlLi16ELi32ELi8ELc67ELc67ELc85ELb0ELb0EddPKdPdEviT_T9_T10_S3_lS5_S3_lS4_T11_S3_li.uses_flat_scratch, 0
	.set _ZL29rocblas_internal_gemmt_kernelIlLi16ELi32ELi8ELc67ELc67ELc85ELb0ELb0EddPKdPdEviT_T9_T10_S3_lS5_S3_lS4_T11_S3_li.has_dyn_sized_stack, 0
	.set _ZL29rocblas_internal_gemmt_kernelIlLi16ELi32ELi8ELc67ELc67ELc85ELb0ELb0EddPKdPdEviT_T9_T10_S3_lS5_S3_lS4_T11_S3_li.has_recursion, 0
	.set _ZL29rocblas_internal_gemmt_kernelIlLi16ELi32ELi8ELc67ELc67ELc85ELb0ELb0EddPKdPdEviT_T9_T10_S3_lS5_S3_lS4_T11_S3_li.has_indirect_call, 0
	.section	.AMDGPU.csdata,"",@progbits
; Kernel info:
; codeLenInByte = 1316
; TotalNumSgprs: 42
; NumVgprs: 54
; NumAgprs: 0
; TotalNumVgprs: 54
; ScratchSize: 0
; MemoryBound: 0
; FloatMode: 240
; IeeeMode: 1
; LDSByteSize: 4096 bytes/workgroup (compile time only)
; SGPRBlocks: 5
; VGPRBlocks: 6
; NumSGPRsForWavesPerEU: 42
; NumVGPRsForWavesPerEU: 54
; AccumOffset: 56
; Occupancy: 8
; WaveLimiterHint : 0
; COMPUTE_PGM_RSRC2:SCRATCH_EN: 0
; COMPUTE_PGM_RSRC2:USER_SGPR: 2
; COMPUTE_PGM_RSRC2:TRAP_HANDLER: 0
; COMPUTE_PGM_RSRC2:TGID_X_EN: 1
; COMPUTE_PGM_RSRC2:TGID_Y_EN: 1
; COMPUTE_PGM_RSRC2:TGID_Z_EN: 1
; COMPUTE_PGM_RSRC2:TIDIG_COMP_CNT: 1
; COMPUTE_PGM_RSRC3_GFX90A:ACCUM_OFFSET: 13
; COMPUTE_PGM_RSRC3_GFX90A:TG_SPLIT: 0
	.section	.text._ZL29rocblas_internal_gemmt_kernelIlLi16ELi32ELi8ELc78ELc78ELc76ELb0ELb0EddPKdPdEviT_T9_T10_S3_lS5_S3_lS4_T11_S3_li,"axG",@progbits,_ZL29rocblas_internal_gemmt_kernelIlLi16ELi32ELi8ELc78ELc78ELc76ELb0ELb0EddPKdPdEviT_T9_T10_S3_lS5_S3_lS4_T11_S3_li,comdat
	.globl	_ZL29rocblas_internal_gemmt_kernelIlLi16ELi32ELi8ELc78ELc78ELc76ELb0ELb0EddPKdPdEviT_T9_T10_S3_lS5_S3_lS4_T11_S3_li ; -- Begin function _ZL29rocblas_internal_gemmt_kernelIlLi16ELi32ELi8ELc78ELc78ELc76ELb0ELb0EddPKdPdEviT_T9_T10_S3_lS5_S3_lS4_T11_S3_li
	.p2align	8
	.type	_ZL29rocblas_internal_gemmt_kernelIlLi16ELi32ELi8ELc78ELc78ELc76ELb0ELb0EddPKdPdEviT_T9_T10_S3_lS5_S3_lS4_T11_S3_li,@function
_ZL29rocblas_internal_gemmt_kernelIlLi16ELi32ELi8ELc78ELc78ELc76ELb0ELb0EddPKdPdEviT_T9_T10_S3_lS5_S3_lS4_T11_S3_li: ; @_ZL29rocblas_internal_gemmt_kernelIlLi16ELi32ELi8ELc78ELc78ELc76ELb0ELb0EddPKdPdEviT_T9_T10_S3_lS5_S3_lS4_T11_S3_li
; %bb.0:
	s_load_dwordx8 s[24:31], s[0:1], 0x48
	s_load_dwordx16 s[8:23], s[0:1], 0x8
	s_waitcnt lgkmcnt(0)
	v_cmp_neq_f64_e64 s[6:7], s[24:25], 1.0
	s_and_b64 vcc, exec, s[6:7]
	s_cbranch_vccnz .LBB207_2
; %bb.1:
	s_cmp_lg_u64 s[8:9], 0
	s_cselect_b64 s[6:7], -1, 0
	v_cmp_neq_f64_e64 s[34:35], s[10:11], 0
	s_and_b64 s[6:7], s[6:7], s[34:35]
.LBB207_2:
	s_andn2_b64 vcc, exec, s[6:7]
	s_cbranch_vccnz .LBB207_28
; %bb.3:
	s_load_dword s33, s[0:1], 0x0
	s_lshl_b32 s5, s2, 5
	s_lshl_b32 s34, s3, 5
	v_cmp_eq_f64_e64 s[0:1], s[10:11], 0
	v_cmp_lt_i64_e64 s[2:3], s[8:9], 1
	s_or_b64 s[0:1], s[0:1], s[2:3]
	v_and_b32_e32 v7, 0x3ff, v0
	v_bfe_u32 v11, v0, 10, 10
	v_mov_b64_e32 v[8:9], 0
	s_and_b64 vcc, exec, s[0:1]
	v_mov_b64_e32 v[4:5], 0
	v_mov_b64_e32 v[2:3], 0
	v_mov_b64_e32 v[0:1], 0
	s_cbranch_vccnz .LBB207_12
; %bb.4:
	s_mul_i32 s0, s23, s4
	s_mul_hi_u32 s1, s22, s4
	s_add_i32 s1, s1, s0
	s_mul_i32 s0, s22, s4
	s_lshl_b64 s[0:1], s[0:1], 3
	s_add_u32 s6, s18, s0
	s_addc_u32 s7, s19, s1
	s_mul_i32 s0, s17, s4
	s_mul_hi_u32 s1, s16, s4
	v_lshl_add_u32 v0, v11, 4, v7
	s_add_i32 s1, s1, s0
	s_mul_i32 s0, s16, s4
	v_and_b32_e32 v1, 31, v0
	s_lshl_b64 s[0:1], s[0:1], 3
	v_lshrrev_b32_e32 v10, 5, v0
	v_lshrrev_b32_e32 v2, 3, v0
	v_or_b32_e32 v0, s5, v1
	s_add_u32 s2, s12, s0
	v_lshlrev_b32_e32 v1, 3, v1
	v_and_b32_e32 v6, 7, v7
	s_addc_u32 s3, s13, s1
	v_lshl_or_b32 v18, v10, 8, v1
	v_ashrrev_i32_e32 v1, 31, v0
	s_waitcnt lgkmcnt(0)
	v_cmp_gt_i32_e64 s[0:1], s33, v0
	v_lshl_add_u64 v[12:13], v[0:1], 3, s[2:3]
	v_lshlrev_b32_e32 v0, 3, v6
	v_add_u32_e32 v3, s34, v2
	v_lshl_or_b32 v0, v2, 6, v0
	v_add_u32_e32 v19, 0x800, v0
	v_ashrrev_i32_e32 v0, 31, v3
	v_mul_lo_u32 v2, s20, v0
	v_mul_lo_u32 v4, s21, v3
	v_mad_u64_u32 v[0:1], s[12:13], s20, v3, 0
	v_add3_u32 v1, v1, v2, v4
	v_lshl_add_u64 v[14:15], v[0:1], 3, s[6:7]
	v_mov_b32_e32 v0, 0x800
	v_cmp_gt_i32_e64 s[2:3], s33, v3
	v_lshlrev_b32_e32 v20, 3, v7
	v_lshl_add_u32 v21, v11, 6, v0
	v_mov_b32_e32 v17, 0
	v_mov_b64_e32 v[0:1], 0
	s_mov_b64 s[6:7], 0
	v_mov_b64_e32 v[2:3], 0
	v_mov_b64_e32 v[4:5], 0
	;; [unrolled: 1-line block ×3, first 2 shown]
	s_branch .LBB207_6
.LBB207_5:                              ;   in Loop: Header=BB207_6 Depth=1
	s_or_b64 exec, exec, s[12:13]
	s_waitcnt vmcnt(0)
	ds_write_b64 v19, v[22:23]
	s_waitcnt lgkmcnt(0)
	s_barrier
	ds_read2_b64 v[22:25], v20 offset1:16
	ds_read_b128 v[26:29], v21
	ds_read_b128 v[30:33], v21 offset:16
	ds_read_b128 v[34:37], v21 offset:32
	;; [unrolled: 1-line block ×4, first 2 shown]
	ds_read2_b64 v[46:49], v20 offset0:32 offset1:48
	s_waitcnt lgkmcnt(5)
	v_fmac_f64_e32 v[8:9], v[22:23], v[26:27]
	v_fmac_f64_e32 v[4:5], v[24:25], v[26:27]
	ds_read_b128 v[50:53], v21 offset:1040
	s_waitcnt lgkmcnt(2)
	v_fmac_f64_e32 v[2:3], v[22:23], v[42:43]
	v_fmac_f64_e32 v[0:1], v[24:25], v[42:43]
	ds_read2_b64 v[22:25], v20 offset0:64 offset1:80
	s_waitcnt lgkmcnt(2)
	v_fmac_f64_e32 v[8:9], v[46:47], v[28:29]
	v_fmac_f64_e32 v[4:5], v[48:49], v[28:29]
	ds_read2_b64 v[26:29], v20 offset0:96 offset1:112
	v_fmac_f64_e32 v[2:3], v[46:47], v[44:45]
	v_fmac_f64_e32 v[0:1], v[48:49], v[44:45]
	s_waitcnt lgkmcnt(1)
	v_fmac_f64_e32 v[8:9], v[22:23], v[30:31]
	v_fmac_f64_e32 v[4:5], v[24:25], v[30:31]
	ds_read_b128 v[42:45], v21 offset:1072
	v_fmac_f64_e32 v[2:3], v[22:23], v[50:51]
	v_fmac_f64_e32 v[0:1], v[24:25], v[50:51]
	s_waitcnt lgkmcnt(1)
	v_fmac_f64_e32 v[8:9], v[26:27], v[32:33]
	ds_read2_b64 v[22:25], v20 offset0:128 offset1:144
	v_fmac_f64_e32 v[4:5], v[28:29], v[32:33]
	v_fmac_f64_e32 v[2:3], v[26:27], v[52:53]
	;; [unrolled: 1-line block ×3, first 2 shown]
	ds_read_b128 v[26:29], v21 offset:1056
	ds_read2_b64 v[30:33], v20 offset0:160 offset1:176
	s_waitcnt lgkmcnt(2)
	v_fmac_f64_e32 v[8:9], v[22:23], v[34:35]
	v_fmac_f64_e32 v[4:5], v[24:25], v[34:35]
	s_add_u32 s6, s6, 8
	s_waitcnt lgkmcnt(1)
	v_fmac_f64_e32 v[2:3], v[22:23], v[26:27]
	v_fmac_f64_e32 v[0:1], v[24:25], v[26:27]
	ds_read2_b64 v[22:25], v20 offset0:192 offset1:208
	s_waitcnt lgkmcnt(1)
	v_fmac_f64_e32 v[2:3], v[30:31], v[28:29]
	v_fmac_f64_e32 v[0:1], v[32:33], v[28:29]
	ds_read2_b64 v[26:29], v20 offset0:224 offset1:240
	v_fmac_f64_e32 v[8:9], v[30:31], v[36:37]
	s_addc_u32 s7, s7, 0
	v_fmac_f64_e32 v[4:5], v[32:33], v[36:37]
	s_waitcnt lgkmcnt(1)
	v_fmac_f64_e32 v[8:9], v[22:23], v[38:39]
	v_fmac_f64_e32 v[2:3], v[22:23], v[42:43]
	v_mov_b64_e32 v[22:23], s[6:7]
	v_fmac_f64_e32 v[4:5], v[24:25], v[38:39]
	v_fmac_f64_e32 v[0:1], v[24:25], v[42:43]
	v_cmp_gt_i64_e32 vcc, s[8:9], v[22:23]
	s_waitcnt lgkmcnt(0)
	v_fmac_f64_e32 v[8:9], v[26:27], v[40:41]
	v_fmac_f64_e32 v[4:5], v[28:29], v[40:41]
	;; [unrolled: 1-line block ×4, first 2 shown]
	s_barrier
	s_cbranch_vccz .LBB207_12
.LBB207_6:                              ; =>This Inner Loop Header: Depth=1
	v_mov_b64_e32 v[22:23], 0
	s_and_saveexec_b64 s[12:13], s[0:1]
	s_cbranch_execz .LBB207_10
; %bb.7:                                ;   in Loop: Header=BB207_6 Depth=1
	v_add_u32_e32 v16, s6, v10
	v_cmp_gt_u64_e32 vcc, s[8:9], v[16:17]
	v_mov_b64_e32 v[22:23], 0
	s_and_saveexec_b64 s[16:17], vcc
	s_cbranch_execz .LBB207_9
; %bb.8:                                ;   in Loop: Header=BB207_6 Depth=1
	v_mad_u64_u32 v[22:23], s[18:19], s14, v16, 0
	v_mov_b32_e32 v24, v23
	v_mad_u64_u32 v[24:25], s[18:19], s15, v16, v[24:25]
	v_mov_b32_e32 v23, v24
	v_lshl_add_u64 v[22:23], v[22:23], 3, v[12:13]
	global_load_dwordx2 v[22:23], v[22:23], off
.LBB207_9:                              ;   in Loop: Header=BB207_6 Depth=1
	s_or_b64 exec, exec, s[16:17]
.LBB207_10:                             ;   in Loop: Header=BB207_6 Depth=1
	s_or_b64 exec, exec, s[12:13]
	v_add_u32_e32 v16, s6, v6
	v_cmp_gt_u64_e32 vcc, s[8:9], v[16:17]
	s_waitcnt vmcnt(0)
	ds_write_b64 v18, v[22:23]
	s_and_b64 s[16:17], vcc, s[2:3]
	v_mov_b64_e32 v[22:23], 0
	s_and_saveexec_b64 s[12:13], s[16:17]
	s_cbranch_execz .LBB207_5
; %bb.11:                               ;   in Loop: Header=BB207_6 Depth=1
	v_lshl_add_u64 v[22:23], v[16:17], 3, v[14:15]
	global_load_dwordx2 v[22:23], v[22:23], off
	s_branch .LBB207_5
.LBB207_12:
	s_mul_i32 s0, s31, s4
	s_mul_hi_u32 s1, s30, s4
	s_add_i32 s1, s1, s0
	s_mul_i32 s0, s30, s4
	s_lshl_b64 s[0:1], s[0:1], 3
	s_add_u32 s6, s26, s0
	v_add_u32_e32 v14, s34, v11
	s_addc_u32 s7, s27, s1
	v_add_u32_e32 v6, s5, v7
	v_ashrrev_i32_e32 v7, 31, v14
	v_mad_u64_u32 v[10:11], s[0:1], s28, v14, 0
	v_mul_lo_u32 v7, s28, v7
	v_mul_lo_u32 v12, s29, v14
	v_cmp_neq_f64_e64 s[0:1], s[24:25], 0
	v_add3_u32 v11, v11, v7, v12
	v_cmp_le_i32_e32 vcc, v14, v6
	s_waitcnt lgkmcnt(0)
	v_cmp_gt_i32_e64 s[2:3], s33, v6
	v_cndmask_b32_e64 v12, 0, 1, s[0:1]
	v_lshl_add_u64 v[10:11], v[10:11], 3, s[6:7]
	s_and_b64 s[8:9], vcc, s[2:3]
	v_ashrrev_i32_e32 v7, 31, v6
	v_cmp_ne_u32_e64 s[0:1], 1, v12
	s_and_saveexec_b64 s[4:5], s[8:9]
	s_cbranch_execz .LBB207_16
; %bb.13:
	v_mul_f64 v[8:9], s[10:11], v[8:9]
	s_and_b64 vcc, exec, s[0:1]
	v_lshl_add_u64 v[12:13], v[6:7], 3, v[10:11]
	s_cbranch_vccnz .LBB207_15
; %bb.14:
	global_load_dwordx2 v[16:17], v[12:13], off
	s_waitcnt vmcnt(0)
	v_fmac_f64_e32 v[8:9], s[24:25], v[16:17]
.LBB207_15:
	global_store_dwordx2 v[12:13], v[8:9], off
.LBB207_16:
	s_or_b64 exec, exec, s[4:5]
	v_add_u32_e32 v8, 16, v6
	v_cmp_le_i32_e32 vcc, v14, v8
	v_cmp_gt_i32_e64 s[4:5], s33, v8
	s_and_b64 s[12:13], vcc, s[4:5]
	v_ashrrev_i32_e32 v9, 31, v8
	s_and_saveexec_b64 s[8:9], s[12:13]
	s_cbranch_execz .LBB207_20
; %bb.17:
	v_mul_f64 v[4:5], s[10:11], v[4:5]
	s_and_b64 vcc, exec, s[0:1]
	v_lshl_add_u64 v[10:11], v[8:9], 3, v[10:11]
	s_cbranch_vccnz .LBB207_19
; %bb.18:
	global_load_dwordx2 v[12:13], v[10:11], off
	s_waitcnt vmcnt(0)
	v_fmac_f64_e32 v[4:5], s[24:25], v[12:13]
.LBB207_19:
	global_store_dwordx2 v[10:11], v[4:5], off
.LBB207_20:
	s_or_b64 exec, exec, s[8:9]
	v_add_u32_e32 v10, 16, v14
	v_ashrrev_i32_e32 v4, 31, v10
	v_mul_lo_u32 v11, s28, v4
	v_mul_lo_u32 v12, s29, v10
	v_mad_u64_u32 v[4:5], s[8:9], s28, v10, 0
	v_add3_u32 v5, v5, v11, v12
	v_cmp_le_i32_e32 vcc, v10, v6
	v_lshl_add_u64 v[4:5], v[4:5], 3, s[6:7]
	s_and_b64 s[6:7], vcc, s[2:3]
	s_and_saveexec_b64 s[2:3], s[6:7]
	s_cbranch_execz .LBB207_24
; %bb.21:
	v_mul_f64 v[2:3], s[10:11], v[2:3]
	s_and_b64 vcc, exec, s[0:1]
	v_lshl_add_u64 v[6:7], v[6:7], 3, v[4:5]
	s_cbranch_vccnz .LBB207_23
; %bb.22:
	global_load_dwordx2 v[12:13], v[6:7], off
	s_waitcnt vmcnt(0)
	v_fmac_f64_e32 v[2:3], s[24:25], v[12:13]
.LBB207_23:
	global_store_dwordx2 v[6:7], v[2:3], off
.LBB207_24:
	s_or_b64 exec, exec, s[2:3]
	v_cmp_le_i32_e32 vcc, v10, v8
	s_and_b64 s[2:3], vcc, s[4:5]
	s_and_saveexec_b64 s[4:5], s[2:3]
	s_cbranch_execz .LBB207_28
; %bb.25:
	v_mul_f64 v[0:1], s[10:11], v[0:1]
	s_and_b64 vcc, exec, s[0:1]
	v_lshl_add_u64 v[2:3], v[8:9], 3, v[4:5]
	s_cbranch_vccnz .LBB207_27
; %bb.26:
	global_load_dwordx2 v[4:5], v[2:3], off
	s_waitcnt vmcnt(0)
	v_fmac_f64_e32 v[0:1], s[24:25], v[4:5]
.LBB207_27:
	global_store_dwordx2 v[2:3], v[0:1], off
.LBB207_28:
	s_endpgm
	.section	.rodata,"a",@progbits
	.p2align	6, 0x0
	.amdhsa_kernel _ZL29rocblas_internal_gemmt_kernelIlLi16ELi32ELi8ELc78ELc78ELc76ELb0ELb0EddPKdPdEviT_T9_T10_S3_lS5_S3_lS4_T11_S3_li
		.amdhsa_group_segment_fixed_size 4096
		.amdhsa_private_segment_fixed_size 0
		.amdhsa_kernarg_size 108
		.amdhsa_user_sgpr_count 2
		.amdhsa_user_sgpr_dispatch_ptr 0
		.amdhsa_user_sgpr_queue_ptr 0
		.amdhsa_user_sgpr_kernarg_segment_ptr 1
		.amdhsa_user_sgpr_dispatch_id 0
		.amdhsa_user_sgpr_kernarg_preload_length 0
		.amdhsa_user_sgpr_kernarg_preload_offset 0
		.amdhsa_user_sgpr_private_segment_size 0
		.amdhsa_uses_dynamic_stack 0
		.amdhsa_enable_private_segment 0
		.amdhsa_system_sgpr_workgroup_id_x 1
		.amdhsa_system_sgpr_workgroup_id_y 1
		.amdhsa_system_sgpr_workgroup_id_z 1
		.amdhsa_system_sgpr_workgroup_info 0
		.amdhsa_system_vgpr_workitem_id 1
		.amdhsa_next_free_vgpr 54
		.amdhsa_next_free_sgpr 36
		.amdhsa_accum_offset 56
		.amdhsa_reserve_vcc 1
		.amdhsa_float_round_mode_32 0
		.amdhsa_float_round_mode_16_64 0
		.amdhsa_float_denorm_mode_32 3
		.amdhsa_float_denorm_mode_16_64 3
		.amdhsa_dx10_clamp 1
		.amdhsa_ieee_mode 1
		.amdhsa_fp16_overflow 0
		.amdhsa_tg_split 0
		.amdhsa_exception_fp_ieee_invalid_op 0
		.amdhsa_exception_fp_denorm_src 0
		.amdhsa_exception_fp_ieee_div_zero 0
		.amdhsa_exception_fp_ieee_overflow 0
		.amdhsa_exception_fp_ieee_underflow 0
		.amdhsa_exception_fp_ieee_inexact 0
		.amdhsa_exception_int_div_zero 0
	.end_amdhsa_kernel
	.section	.text._ZL29rocblas_internal_gemmt_kernelIlLi16ELi32ELi8ELc78ELc78ELc76ELb0ELb0EddPKdPdEviT_T9_T10_S3_lS5_S3_lS4_T11_S3_li,"axG",@progbits,_ZL29rocblas_internal_gemmt_kernelIlLi16ELi32ELi8ELc78ELc78ELc76ELb0ELb0EddPKdPdEviT_T9_T10_S3_lS5_S3_lS4_T11_S3_li,comdat
.Lfunc_end207:
	.size	_ZL29rocblas_internal_gemmt_kernelIlLi16ELi32ELi8ELc78ELc78ELc76ELb0ELb0EddPKdPdEviT_T9_T10_S3_lS5_S3_lS4_T11_S3_li, .Lfunc_end207-_ZL29rocblas_internal_gemmt_kernelIlLi16ELi32ELi8ELc78ELc78ELc76ELb0ELb0EddPKdPdEviT_T9_T10_S3_lS5_S3_lS4_T11_S3_li
                                        ; -- End function
	.set _ZL29rocblas_internal_gemmt_kernelIlLi16ELi32ELi8ELc78ELc78ELc76ELb0ELb0EddPKdPdEviT_T9_T10_S3_lS5_S3_lS4_T11_S3_li.num_vgpr, 54
	.set _ZL29rocblas_internal_gemmt_kernelIlLi16ELi32ELi8ELc78ELc78ELc76ELb0ELb0EddPKdPdEviT_T9_T10_S3_lS5_S3_lS4_T11_S3_li.num_agpr, 0
	.set _ZL29rocblas_internal_gemmt_kernelIlLi16ELi32ELi8ELc78ELc78ELc76ELb0ELb0EddPKdPdEviT_T9_T10_S3_lS5_S3_lS4_T11_S3_li.numbered_sgpr, 36
	.set _ZL29rocblas_internal_gemmt_kernelIlLi16ELi32ELi8ELc78ELc78ELc76ELb0ELb0EddPKdPdEviT_T9_T10_S3_lS5_S3_lS4_T11_S3_li.num_named_barrier, 0
	.set _ZL29rocblas_internal_gemmt_kernelIlLi16ELi32ELi8ELc78ELc78ELc76ELb0ELb0EddPKdPdEviT_T9_T10_S3_lS5_S3_lS4_T11_S3_li.private_seg_size, 0
	.set _ZL29rocblas_internal_gemmt_kernelIlLi16ELi32ELi8ELc78ELc78ELc76ELb0ELb0EddPKdPdEviT_T9_T10_S3_lS5_S3_lS4_T11_S3_li.uses_vcc, 1
	.set _ZL29rocblas_internal_gemmt_kernelIlLi16ELi32ELi8ELc78ELc78ELc76ELb0ELb0EddPKdPdEviT_T9_T10_S3_lS5_S3_lS4_T11_S3_li.uses_flat_scratch, 0
	.set _ZL29rocblas_internal_gemmt_kernelIlLi16ELi32ELi8ELc78ELc78ELc76ELb0ELb0EddPKdPdEviT_T9_T10_S3_lS5_S3_lS4_T11_S3_li.has_dyn_sized_stack, 0
	.set _ZL29rocblas_internal_gemmt_kernelIlLi16ELi32ELi8ELc78ELc78ELc76ELb0ELb0EddPKdPdEviT_T9_T10_S3_lS5_S3_lS4_T11_S3_li.has_recursion, 0
	.set _ZL29rocblas_internal_gemmt_kernelIlLi16ELi32ELi8ELc78ELc78ELc76ELb0ELb0EddPKdPdEviT_T9_T10_S3_lS5_S3_lS4_T11_S3_li.has_indirect_call, 0
	.section	.AMDGPU.csdata,"",@progbits
; Kernel info:
; codeLenInByte = 1320
; TotalNumSgprs: 42
; NumVgprs: 54
; NumAgprs: 0
; TotalNumVgprs: 54
; ScratchSize: 0
; MemoryBound: 0
; FloatMode: 240
; IeeeMode: 1
; LDSByteSize: 4096 bytes/workgroup (compile time only)
; SGPRBlocks: 5
; VGPRBlocks: 6
; NumSGPRsForWavesPerEU: 42
; NumVGPRsForWavesPerEU: 54
; AccumOffset: 56
; Occupancy: 8
; WaveLimiterHint : 0
; COMPUTE_PGM_RSRC2:SCRATCH_EN: 0
; COMPUTE_PGM_RSRC2:USER_SGPR: 2
; COMPUTE_PGM_RSRC2:TRAP_HANDLER: 0
; COMPUTE_PGM_RSRC2:TGID_X_EN: 1
; COMPUTE_PGM_RSRC2:TGID_Y_EN: 1
; COMPUTE_PGM_RSRC2:TGID_Z_EN: 1
; COMPUTE_PGM_RSRC2:TIDIG_COMP_CNT: 1
; COMPUTE_PGM_RSRC3_GFX90A:ACCUM_OFFSET: 13
; COMPUTE_PGM_RSRC3_GFX90A:TG_SPLIT: 0
	.section	.text._ZL29rocblas_internal_gemmt_kernelIlLi16ELi32ELi8ELc78ELc84ELc76ELb0ELb0EddPKdPdEviT_T9_T10_S3_lS5_S3_lS4_T11_S3_li,"axG",@progbits,_ZL29rocblas_internal_gemmt_kernelIlLi16ELi32ELi8ELc78ELc84ELc76ELb0ELb0EddPKdPdEviT_T9_T10_S3_lS5_S3_lS4_T11_S3_li,comdat
	.globl	_ZL29rocblas_internal_gemmt_kernelIlLi16ELi32ELi8ELc78ELc84ELc76ELb0ELb0EddPKdPdEviT_T9_T10_S3_lS5_S3_lS4_T11_S3_li ; -- Begin function _ZL29rocblas_internal_gemmt_kernelIlLi16ELi32ELi8ELc78ELc84ELc76ELb0ELb0EddPKdPdEviT_T9_T10_S3_lS5_S3_lS4_T11_S3_li
	.p2align	8
	.type	_ZL29rocblas_internal_gemmt_kernelIlLi16ELi32ELi8ELc78ELc84ELc76ELb0ELb0EddPKdPdEviT_T9_T10_S3_lS5_S3_lS4_T11_S3_li,@function
_ZL29rocblas_internal_gemmt_kernelIlLi16ELi32ELi8ELc78ELc84ELc76ELb0ELb0EddPKdPdEviT_T9_T10_S3_lS5_S3_lS4_T11_S3_li: ; @_ZL29rocblas_internal_gemmt_kernelIlLi16ELi32ELi8ELc78ELc84ELc76ELb0ELb0EddPKdPdEviT_T9_T10_S3_lS5_S3_lS4_T11_S3_li
; %bb.0:
	s_load_dwordx8 s[24:31], s[0:1], 0x48
	s_load_dwordx16 s[8:23], s[0:1], 0x8
	s_waitcnt lgkmcnt(0)
	v_cmp_neq_f64_e64 s[6:7], s[24:25], 1.0
	s_and_b64 vcc, exec, s[6:7]
	s_cbranch_vccnz .LBB208_2
; %bb.1:
	s_cmp_lg_u64 s[8:9], 0
	s_cselect_b64 s[6:7], -1, 0
	v_cmp_neq_f64_e64 s[34:35], s[10:11], 0
	s_and_b64 s[6:7], s[6:7], s[34:35]
.LBB208_2:
	s_andn2_b64 vcc, exec, s[6:7]
	s_cbranch_vccnz .LBB208_28
; %bb.3:
	s_load_dword s33, s[0:1], 0x0
	s_lshl_b32 s5, s2, 5
	s_lshl_b32 s34, s3, 5
	v_cmp_eq_f64_e64 s[0:1], s[10:11], 0
	v_cmp_lt_i64_e64 s[2:3], s[8:9], 1
	s_or_b64 s[0:1], s[0:1], s[2:3]
	v_and_b32_e32 v9, 0x3ff, v0
	v_bfe_u32 v11, v0, 10, 10
	v_mov_b64_e32 v[6:7], 0
	s_and_b64 vcc, exec, s[0:1]
	v_mov_b64_e32 v[4:5], 0
	v_mov_b64_e32 v[2:3], 0
	;; [unrolled: 1-line block ×3, first 2 shown]
	s_cbranch_vccnz .LBB208_12
; %bb.4:
	s_mul_i32 s0, s23, s4
	s_mul_hi_u32 s1, s22, s4
	s_add_i32 s1, s1, s0
	s_mul_i32 s0, s22, s4
	s_lshl_b64 s[0:1], s[0:1], 3
	v_lshl_add_u32 v1, v11, 4, v9
	s_add_u32 s6, s18, s0
	v_lshrrev_b32_e32 v10, 5, v1
	v_lshrrev_b32_e32 v4, 3, v1
	v_and_b32_e32 v1, 31, v1
	s_addc_u32 s7, s19, s1
	s_mul_i32 s0, s17, s4
	s_mul_hi_u32 s1, s16, s4
	v_and_b32_e32 v8, 7, v9
	v_or_b32_e32 v2, s5, v1
	s_add_i32 s1, s1, s0
	s_mul_i32 s0, s16, s4
	v_lshlrev_b32_e32 v1, 3, v1
	s_lshl_b64 s[0:1], s[0:1], 3
	v_lshl_or_b32 v18, v10, 8, v1
	v_lshlrev_b32_e32 v1, 3, v8
	v_add_u32_e32 v0, s34, v4
	s_add_u32 s2, s12, s0
	v_lshl_or_b32 v1, v4, 6, v1
	s_addc_u32 s3, s13, s1
	v_ashrrev_i32_e32 v3, 31, v2
	v_add_u32_e32 v19, 0x800, v1
	v_ashrrev_i32_e32 v1, 31, v0
	v_lshl_add_u64 v[12:13], v[2:3], 3, s[2:3]
	s_waitcnt lgkmcnt(0)
	v_cmp_gt_i32_e64 s[2:3], s33, v0
	v_lshl_add_u64 v[14:15], v[0:1], 3, s[6:7]
	v_mov_b32_e32 v0, 0x800
	v_cmp_gt_i32_e64 s[0:1], s33, v2
	v_lshlrev_b32_e32 v20, 3, v9
	v_lshl_add_u32 v21, v11, 6, v0
	v_mov_b32_e32 v17, 0
	v_mov_b64_e32 v[0:1], 0
	s_mov_b64 s[6:7], 0
	v_mov_b64_e32 v[2:3], 0
	v_mov_b64_e32 v[4:5], 0
	;; [unrolled: 1-line block ×3, first 2 shown]
	s_branch .LBB208_6
.LBB208_5:                              ;   in Loop: Header=BB208_6 Depth=1
	s_or_b64 exec, exec, s[12:13]
	s_waitcnt vmcnt(0)
	ds_write_b64 v19, v[22:23]
	s_waitcnt lgkmcnt(0)
	s_barrier
	ds_read2_b64 v[22:25], v20 offset1:16
	ds_read_b128 v[26:29], v21
	ds_read_b128 v[30:33], v21 offset:16
	ds_read_b128 v[34:37], v21 offset:32
	;; [unrolled: 1-line block ×4, first 2 shown]
	ds_read2_b64 v[46:49], v20 offset0:32 offset1:48
	s_waitcnt lgkmcnt(5)
	v_fmac_f64_e32 v[6:7], v[22:23], v[26:27]
	v_fmac_f64_e32 v[4:5], v[24:25], v[26:27]
	ds_read_b128 v[50:53], v21 offset:1040
	s_waitcnt lgkmcnt(2)
	v_fmac_f64_e32 v[2:3], v[22:23], v[42:43]
	v_fmac_f64_e32 v[0:1], v[24:25], v[42:43]
	ds_read2_b64 v[22:25], v20 offset0:64 offset1:80
	s_waitcnt lgkmcnt(2)
	v_fmac_f64_e32 v[6:7], v[46:47], v[28:29]
	v_fmac_f64_e32 v[4:5], v[48:49], v[28:29]
	ds_read2_b64 v[26:29], v20 offset0:96 offset1:112
	v_fmac_f64_e32 v[2:3], v[46:47], v[44:45]
	v_fmac_f64_e32 v[0:1], v[48:49], v[44:45]
	s_waitcnt lgkmcnt(1)
	v_fmac_f64_e32 v[6:7], v[22:23], v[30:31]
	v_fmac_f64_e32 v[4:5], v[24:25], v[30:31]
	ds_read_b128 v[42:45], v21 offset:1072
	v_fmac_f64_e32 v[2:3], v[22:23], v[50:51]
	v_fmac_f64_e32 v[0:1], v[24:25], v[50:51]
	s_waitcnt lgkmcnt(1)
	v_fmac_f64_e32 v[6:7], v[26:27], v[32:33]
	ds_read2_b64 v[22:25], v20 offset0:128 offset1:144
	v_fmac_f64_e32 v[4:5], v[28:29], v[32:33]
	v_fmac_f64_e32 v[2:3], v[26:27], v[52:53]
	v_fmac_f64_e32 v[0:1], v[28:29], v[52:53]
	ds_read_b128 v[26:29], v21 offset:1056
	ds_read2_b64 v[30:33], v20 offset0:160 offset1:176
	s_waitcnt lgkmcnt(2)
	v_fmac_f64_e32 v[6:7], v[22:23], v[34:35]
	v_fmac_f64_e32 v[4:5], v[24:25], v[34:35]
	s_add_u32 s6, s6, 8
	s_waitcnt lgkmcnt(1)
	v_fmac_f64_e32 v[2:3], v[22:23], v[26:27]
	v_fmac_f64_e32 v[0:1], v[24:25], v[26:27]
	ds_read2_b64 v[22:25], v20 offset0:192 offset1:208
	s_waitcnt lgkmcnt(1)
	v_fmac_f64_e32 v[2:3], v[30:31], v[28:29]
	v_fmac_f64_e32 v[0:1], v[32:33], v[28:29]
	ds_read2_b64 v[26:29], v20 offset0:224 offset1:240
	v_fmac_f64_e32 v[6:7], v[30:31], v[36:37]
	s_addc_u32 s7, s7, 0
	v_fmac_f64_e32 v[4:5], v[32:33], v[36:37]
	s_waitcnt lgkmcnt(1)
	v_fmac_f64_e32 v[6:7], v[22:23], v[38:39]
	v_fmac_f64_e32 v[2:3], v[22:23], v[42:43]
	v_mov_b64_e32 v[22:23], s[6:7]
	v_fmac_f64_e32 v[4:5], v[24:25], v[38:39]
	v_fmac_f64_e32 v[0:1], v[24:25], v[42:43]
	v_cmp_gt_i64_e32 vcc, s[8:9], v[22:23]
	s_waitcnt lgkmcnt(0)
	v_fmac_f64_e32 v[6:7], v[26:27], v[40:41]
	v_fmac_f64_e32 v[4:5], v[28:29], v[40:41]
	;; [unrolled: 1-line block ×4, first 2 shown]
	s_barrier
	s_cbranch_vccz .LBB208_12
.LBB208_6:                              ; =>This Inner Loop Header: Depth=1
	v_mov_b64_e32 v[22:23], 0
	s_and_saveexec_b64 s[12:13], s[0:1]
	s_cbranch_execz .LBB208_10
; %bb.7:                                ;   in Loop: Header=BB208_6 Depth=1
	v_add_u32_e32 v16, s6, v10
	v_cmp_gt_u64_e32 vcc, s[8:9], v[16:17]
	v_mov_b64_e32 v[22:23], 0
	s_and_saveexec_b64 s[16:17], vcc
	s_cbranch_execz .LBB208_9
; %bb.8:                                ;   in Loop: Header=BB208_6 Depth=1
	v_mad_u64_u32 v[22:23], s[18:19], s14, v16, 0
	v_mov_b32_e32 v24, v23
	v_mad_u64_u32 v[24:25], s[18:19], s15, v16, v[24:25]
	v_mov_b32_e32 v23, v24
	v_lshl_add_u64 v[22:23], v[22:23], 3, v[12:13]
	global_load_dwordx2 v[22:23], v[22:23], off
.LBB208_9:                              ;   in Loop: Header=BB208_6 Depth=1
	s_or_b64 exec, exec, s[16:17]
.LBB208_10:                             ;   in Loop: Header=BB208_6 Depth=1
	s_or_b64 exec, exec, s[12:13]
	v_add_u32_e32 v16, s6, v8
	v_cmp_gt_u64_e32 vcc, s[8:9], v[16:17]
	s_waitcnt vmcnt(0)
	ds_write_b64 v18, v[22:23]
	s_and_b64 s[16:17], vcc, s[2:3]
	v_mov_b64_e32 v[22:23], 0
	s_and_saveexec_b64 s[12:13], s[16:17]
	s_cbranch_execz .LBB208_5
; %bb.11:                               ;   in Loop: Header=BB208_6 Depth=1
	v_mad_u64_u32 v[22:23], s[16:17], s20, v16, 0
	v_mov_b32_e32 v24, v23
	v_mad_u64_u32 v[24:25], s[16:17], s21, v16, v[24:25]
	v_mov_b32_e32 v23, v24
	v_lshl_add_u64 v[22:23], v[22:23], 3, v[14:15]
	global_load_dwordx2 v[22:23], v[22:23], off
	s_branch .LBB208_5
.LBB208_12:
	s_mul_i32 s0, s31, s4
	s_mul_hi_u32 s1, s30, s4
	s_add_i32 s1, s1, s0
	s_mul_i32 s0, s30, s4
	s_lshl_b64 s[0:1], s[0:1], 3
	s_add_u32 s6, s26, s0
	v_add_u32_e32 v14, s34, v11
	s_addc_u32 s7, s27, s1
	v_add_u32_e32 v8, s5, v9
	v_ashrrev_i32_e32 v9, 31, v14
	v_mad_u64_u32 v[10:11], s[0:1], s28, v14, 0
	v_mul_lo_u32 v9, s28, v9
	v_mul_lo_u32 v12, s29, v14
	v_cmp_neq_f64_e64 s[0:1], s[24:25], 0
	v_add3_u32 v11, v11, v9, v12
	v_cmp_le_i32_e32 vcc, v14, v8
	s_waitcnt lgkmcnt(0)
	v_cmp_gt_i32_e64 s[2:3], s33, v8
	v_cndmask_b32_e64 v12, 0, 1, s[0:1]
	v_lshl_add_u64 v[10:11], v[10:11], 3, s[6:7]
	s_and_b64 s[8:9], vcc, s[2:3]
	v_ashrrev_i32_e32 v9, 31, v8
	v_cmp_ne_u32_e64 s[0:1], 1, v12
	s_and_saveexec_b64 s[4:5], s[8:9]
	s_cbranch_execz .LBB208_16
; %bb.13:
	v_mul_f64 v[6:7], s[10:11], v[6:7]
	s_and_b64 vcc, exec, s[0:1]
	v_lshl_add_u64 v[12:13], v[8:9], 3, v[10:11]
	s_cbranch_vccnz .LBB208_15
; %bb.14:
	global_load_dwordx2 v[16:17], v[12:13], off
	s_waitcnt vmcnt(0)
	v_fmac_f64_e32 v[6:7], s[24:25], v[16:17]
.LBB208_15:
	global_store_dwordx2 v[12:13], v[6:7], off
.LBB208_16:
	s_or_b64 exec, exec, s[4:5]
	v_add_u32_e32 v6, 16, v8
	v_cmp_le_i32_e32 vcc, v14, v6
	v_cmp_gt_i32_e64 s[4:5], s33, v6
	s_and_b64 s[12:13], vcc, s[4:5]
	v_ashrrev_i32_e32 v7, 31, v6
	s_and_saveexec_b64 s[8:9], s[12:13]
	s_cbranch_execz .LBB208_20
; %bb.17:
	v_mul_f64 v[4:5], s[10:11], v[4:5]
	s_and_b64 vcc, exec, s[0:1]
	v_lshl_add_u64 v[10:11], v[6:7], 3, v[10:11]
	s_cbranch_vccnz .LBB208_19
; %bb.18:
	global_load_dwordx2 v[12:13], v[10:11], off
	s_waitcnt vmcnt(0)
	v_fmac_f64_e32 v[4:5], s[24:25], v[12:13]
.LBB208_19:
	global_store_dwordx2 v[10:11], v[4:5], off
.LBB208_20:
	s_or_b64 exec, exec, s[8:9]
	v_add_u32_e32 v10, 16, v14
	v_ashrrev_i32_e32 v4, 31, v10
	v_mul_lo_u32 v11, s28, v4
	v_mul_lo_u32 v12, s29, v10
	v_mad_u64_u32 v[4:5], s[8:9], s28, v10, 0
	v_add3_u32 v5, v5, v11, v12
	v_cmp_le_i32_e32 vcc, v10, v8
	v_lshl_add_u64 v[4:5], v[4:5], 3, s[6:7]
	s_and_b64 s[6:7], vcc, s[2:3]
	s_and_saveexec_b64 s[2:3], s[6:7]
	s_cbranch_execz .LBB208_24
; %bb.21:
	v_mul_f64 v[2:3], s[10:11], v[2:3]
	s_and_b64 vcc, exec, s[0:1]
	v_lshl_add_u64 v[8:9], v[8:9], 3, v[4:5]
	s_cbranch_vccnz .LBB208_23
; %bb.22:
	global_load_dwordx2 v[12:13], v[8:9], off
	s_waitcnt vmcnt(0)
	v_fmac_f64_e32 v[2:3], s[24:25], v[12:13]
.LBB208_23:
	global_store_dwordx2 v[8:9], v[2:3], off
.LBB208_24:
	s_or_b64 exec, exec, s[2:3]
	v_cmp_le_i32_e32 vcc, v10, v6
	s_and_b64 s[2:3], vcc, s[4:5]
	s_and_saveexec_b64 s[4:5], s[2:3]
	s_cbranch_execz .LBB208_28
; %bb.25:
	v_mul_f64 v[0:1], s[10:11], v[0:1]
	s_and_b64 vcc, exec, s[0:1]
	v_lshl_add_u64 v[2:3], v[6:7], 3, v[4:5]
	s_cbranch_vccnz .LBB208_27
; %bb.26:
	global_load_dwordx2 v[4:5], v[2:3], off
	s_waitcnt vmcnt(0)
	v_fmac_f64_e32 v[0:1], s[24:25], v[4:5]
.LBB208_27:
	global_store_dwordx2 v[2:3], v[0:1], off
.LBB208_28:
	s_endpgm
	.section	.rodata,"a",@progbits
	.p2align	6, 0x0
	.amdhsa_kernel _ZL29rocblas_internal_gemmt_kernelIlLi16ELi32ELi8ELc78ELc84ELc76ELb0ELb0EddPKdPdEviT_T9_T10_S3_lS5_S3_lS4_T11_S3_li
		.amdhsa_group_segment_fixed_size 4096
		.amdhsa_private_segment_fixed_size 0
		.amdhsa_kernarg_size 108
		.amdhsa_user_sgpr_count 2
		.amdhsa_user_sgpr_dispatch_ptr 0
		.amdhsa_user_sgpr_queue_ptr 0
		.amdhsa_user_sgpr_kernarg_segment_ptr 1
		.amdhsa_user_sgpr_dispatch_id 0
		.amdhsa_user_sgpr_kernarg_preload_length 0
		.amdhsa_user_sgpr_kernarg_preload_offset 0
		.amdhsa_user_sgpr_private_segment_size 0
		.amdhsa_uses_dynamic_stack 0
		.amdhsa_enable_private_segment 0
		.amdhsa_system_sgpr_workgroup_id_x 1
		.amdhsa_system_sgpr_workgroup_id_y 1
		.amdhsa_system_sgpr_workgroup_id_z 1
		.amdhsa_system_sgpr_workgroup_info 0
		.amdhsa_system_vgpr_workitem_id 1
		.amdhsa_next_free_vgpr 54
		.amdhsa_next_free_sgpr 36
		.amdhsa_accum_offset 56
		.amdhsa_reserve_vcc 1
		.amdhsa_float_round_mode_32 0
		.amdhsa_float_round_mode_16_64 0
		.amdhsa_float_denorm_mode_32 3
		.amdhsa_float_denorm_mode_16_64 3
		.amdhsa_dx10_clamp 1
		.amdhsa_ieee_mode 1
		.amdhsa_fp16_overflow 0
		.amdhsa_tg_split 0
		.amdhsa_exception_fp_ieee_invalid_op 0
		.amdhsa_exception_fp_denorm_src 0
		.amdhsa_exception_fp_ieee_div_zero 0
		.amdhsa_exception_fp_ieee_overflow 0
		.amdhsa_exception_fp_ieee_underflow 0
		.amdhsa_exception_fp_ieee_inexact 0
		.amdhsa_exception_int_div_zero 0
	.end_amdhsa_kernel
	.section	.text._ZL29rocblas_internal_gemmt_kernelIlLi16ELi32ELi8ELc78ELc84ELc76ELb0ELb0EddPKdPdEviT_T9_T10_S3_lS5_S3_lS4_T11_S3_li,"axG",@progbits,_ZL29rocblas_internal_gemmt_kernelIlLi16ELi32ELi8ELc78ELc84ELc76ELb0ELb0EddPKdPdEviT_T9_T10_S3_lS5_S3_lS4_T11_S3_li,comdat
.Lfunc_end208:
	.size	_ZL29rocblas_internal_gemmt_kernelIlLi16ELi32ELi8ELc78ELc84ELc76ELb0ELb0EddPKdPdEviT_T9_T10_S3_lS5_S3_lS4_T11_S3_li, .Lfunc_end208-_ZL29rocblas_internal_gemmt_kernelIlLi16ELi32ELi8ELc78ELc84ELc76ELb0ELb0EddPKdPdEviT_T9_T10_S3_lS5_S3_lS4_T11_S3_li
                                        ; -- End function
	.set _ZL29rocblas_internal_gemmt_kernelIlLi16ELi32ELi8ELc78ELc84ELc76ELb0ELb0EddPKdPdEviT_T9_T10_S3_lS5_S3_lS4_T11_S3_li.num_vgpr, 54
	.set _ZL29rocblas_internal_gemmt_kernelIlLi16ELi32ELi8ELc78ELc84ELc76ELb0ELb0EddPKdPdEviT_T9_T10_S3_lS5_S3_lS4_T11_S3_li.num_agpr, 0
	.set _ZL29rocblas_internal_gemmt_kernelIlLi16ELi32ELi8ELc78ELc84ELc76ELb0ELb0EddPKdPdEviT_T9_T10_S3_lS5_S3_lS4_T11_S3_li.numbered_sgpr, 36
	.set _ZL29rocblas_internal_gemmt_kernelIlLi16ELi32ELi8ELc78ELc84ELc76ELb0ELb0EddPKdPdEviT_T9_T10_S3_lS5_S3_lS4_T11_S3_li.num_named_barrier, 0
	.set _ZL29rocblas_internal_gemmt_kernelIlLi16ELi32ELi8ELc78ELc84ELc76ELb0ELb0EddPKdPdEviT_T9_T10_S3_lS5_S3_lS4_T11_S3_li.private_seg_size, 0
	.set _ZL29rocblas_internal_gemmt_kernelIlLi16ELi32ELi8ELc78ELc84ELc76ELb0ELb0EddPKdPdEviT_T9_T10_S3_lS5_S3_lS4_T11_S3_li.uses_vcc, 1
	.set _ZL29rocblas_internal_gemmt_kernelIlLi16ELi32ELi8ELc78ELc84ELc76ELb0ELb0EddPKdPdEviT_T9_T10_S3_lS5_S3_lS4_T11_S3_li.uses_flat_scratch, 0
	.set _ZL29rocblas_internal_gemmt_kernelIlLi16ELi32ELi8ELc78ELc84ELc76ELb0ELb0EddPKdPdEviT_T9_T10_S3_lS5_S3_lS4_T11_S3_li.has_dyn_sized_stack, 0
	.set _ZL29rocblas_internal_gemmt_kernelIlLi16ELi32ELi8ELc78ELc84ELc76ELb0ELb0EddPKdPdEviT_T9_T10_S3_lS5_S3_lS4_T11_S3_li.has_recursion, 0
	.set _ZL29rocblas_internal_gemmt_kernelIlLi16ELi32ELi8ELc78ELc84ELc76ELb0ELb0EddPKdPdEviT_T9_T10_S3_lS5_S3_lS4_T11_S3_li.has_indirect_call, 0
	.section	.AMDGPU.csdata,"",@progbits
; Kernel info:
; codeLenInByte = 1312
; TotalNumSgprs: 42
; NumVgprs: 54
; NumAgprs: 0
; TotalNumVgprs: 54
; ScratchSize: 0
; MemoryBound: 0
; FloatMode: 240
; IeeeMode: 1
; LDSByteSize: 4096 bytes/workgroup (compile time only)
; SGPRBlocks: 5
; VGPRBlocks: 6
; NumSGPRsForWavesPerEU: 42
; NumVGPRsForWavesPerEU: 54
; AccumOffset: 56
; Occupancy: 8
; WaveLimiterHint : 0
; COMPUTE_PGM_RSRC2:SCRATCH_EN: 0
; COMPUTE_PGM_RSRC2:USER_SGPR: 2
; COMPUTE_PGM_RSRC2:TRAP_HANDLER: 0
; COMPUTE_PGM_RSRC2:TGID_X_EN: 1
; COMPUTE_PGM_RSRC2:TGID_Y_EN: 1
; COMPUTE_PGM_RSRC2:TGID_Z_EN: 1
; COMPUTE_PGM_RSRC2:TIDIG_COMP_CNT: 1
; COMPUTE_PGM_RSRC3_GFX90A:ACCUM_OFFSET: 13
; COMPUTE_PGM_RSRC3_GFX90A:TG_SPLIT: 0
	.section	.text._ZL29rocblas_internal_gemmt_kernelIlLi16ELi32ELi8ELc78ELc67ELc76ELb0ELb0EddPKdPdEviT_T9_T10_S3_lS5_S3_lS4_T11_S3_li,"axG",@progbits,_ZL29rocblas_internal_gemmt_kernelIlLi16ELi32ELi8ELc78ELc67ELc76ELb0ELb0EddPKdPdEviT_T9_T10_S3_lS5_S3_lS4_T11_S3_li,comdat
	.globl	_ZL29rocblas_internal_gemmt_kernelIlLi16ELi32ELi8ELc78ELc67ELc76ELb0ELb0EddPKdPdEviT_T9_T10_S3_lS5_S3_lS4_T11_S3_li ; -- Begin function _ZL29rocblas_internal_gemmt_kernelIlLi16ELi32ELi8ELc78ELc67ELc76ELb0ELb0EddPKdPdEviT_T9_T10_S3_lS5_S3_lS4_T11_S3_li
	.p2align	8
	.type	_ZL29rocblas_internal_gemmt_kernelIlLi16ELi32ELi8ELc78ELc67ELc76ELb0ELb0EddPKdPdEviT_T9_T10_S3_lS5_S3_lS4_T11_S3_li,@function
_ZL29rocblas_internal_gemmt_kernelIlLi16ELi32ELi8ELc78ELc67ELc76ELb0ELb0EddPKdPdEviT_T9_T10_S3_lS5_S3_lS4_T11_S3_li: ; @_ZL29rocblas_internal_gemmt_kernelIlLi16ELi32ELi8ELc78ELc67ELc76ELb0ELb0EddPKdPdEviT_T9_T10_S3_lS5_S3_lS4_T11_S3_li
; %bb.0:
	s_load_dwordx8 s[24:31], s[0:1], 0x48
	s_load_dwordx16 s[8:23], s[0:1], 0x8
	s_waitcnt lgkmcnt(0)
	v_cmp_neq_f64_e64 s[6:7], s[24:25], 1.0
	s_and_b64 vcc, exec, s[6:7]
	s_cbranch_vccnz .LBB209_2
; %bb.1:
	s_cmp_lg_u64 s[8:9], 0
	s_cselect_b64 s[6:7], -1, 0
	v_cmp_neq_f64_e64 s[34:35], s[10:11], 0
	s_and_b64 s[6:7], s[6:7], s[34:35]
.LBB209_2:
	s_andn2_b64 vcc, exec, s[6:7]
	s_cbranch_vccnz .LBB209_28
; %bb.3:
	s_load_dword s33, s[0:1], 0x0
	s_lshl_b32 s5, s2, 5
	s_lshl_b32 s34, s3, 5
	v_cmp_eq_f64_e64 s[0:1], s[10:11], 0
	v_cmp_lt_i64_e64 s[2:3], s[8:9], 1
	s_or_b64 s[0:1], s[0:1], s[2:3]
	v_and_b32_e32 v9, 0x3ff, v0
	v_bfe_u32 v11, v0, 10, 10
	v_mov_b64_e32 v[6:7], 0
	s_and_b64 vcc, exec, s[0:1]
	v_mov_b64_e32 v[4:5], 0
	v_mov_b64_e32 v[2:3], 0
	;; [unrolled: 1-line block ×3, first 2 shown]
	s_cbranch_vccnz .LBB209_12
; %bb.4:
	s_mul_i32 s0, s23, s4
	s_mul_hi_u32 s1, s22, s4
	s_add_i32 s1, s1, s0
	s_mul_i32 s0, s22, s4
	s_lshl_b64 s[0:1], s[0:1], 3
	v_lshl_add_u32 v1, v11, 4, v9
	s_add_u32 s6, s18, s0
	v_lshrrev_b32_e32 v10, 5, v1
	v_lshrrev_b32_e32 v4, 3, v1
	v_and_b32_e32 v1, 31, v1
	s_addc_u32 s7, s19, s1
	s_mul_i32 s0, s17, s4
	s_mul_hi_u32 s1, s16, s4
	v_and_b32_e32 v8, 7, v9
	v_or_b32_e32 v2, s5, v1
	s_add_i32 s1, s1, s0
	s_mul_i32 s0, s16, s4
	v_lshlrev_b32_e32 v1, 3, v1
	s_lshl_b64 s[0:1], s[0:1], 3
	v_lshl_or_b32 v18, v10, 8, v1
	v_lshlrev_b32_e32 v1, 3, v8
	v_add_u32_e32 v0, s34, v4
	s_add_u32 s2, s12, s0
	v_lshl_or_b32 v1, v4, 6, v1
	s_addc_u32 s3, s13, s1
	v_ashrrev_i32_e32 v3, 31, v2
	v_add_u32_e32 v19, 0x800, v1
	v_ashrrev_i32_e32 v1, 31, v0
	v_lshl_add_u64 v[12:13], v[2:3], 3, s[2:3]
	s_waitcnt lgkmcnt(0)
	v_cmp_gt_i32_e64 s[2:3], s33, v0
	v_lshl_add_u64 v[14:15], v[0:1], 3, s[6:7]
	v_mov_b32_e32 v0, 0x800
	v_cmp_gt_i32_e64 s[0:1], s33, v2
	v_lshlrev_b32_e32 v20, 3, v9
	v_lshl_add_u32 v21, v11, 6, v0
	v_mov_b32_e32 v17, 0
	v_mov_b64_e32 v[0:1], 0
	s_mov_b64 s[6:7], 0
	v_mov_b64_e32 v[2:3], 0
	v_mov_b64_e32 v[4:5], 0
	;; [unrolled: 1-line block ×3, first 2 shown]
	s_branch .LBB209_6
.LBB209_5:                              ;   in Loop: Header=BB209_6 Depth=1
	s_or_b64 exec, exec, s[12:13]
	s_waitcnt vmcnt(0)
	ds_write_b64 v19, v[22:23]
	s_waitcnt lgkmcnt(0)
	s_barrier
	ds_read2_b64 v[22:25], v20 offset1:16
	ds_read_b128 v[26:29], v21
	ds_read_b128 v[30:33], v21 offset:16
	ds_read_b128 v[34:37], v21 offset:32
	;; [unrolled: 1-line block ×4, first 2 shown]
	ds_read2_b64 v[46:49], v20 offset0:32 offset1:48
	s_waitcnt lgkmcnt(5)
	v_fmac_f64_e32 v[6:7], v[22:23], v[26:27]
	v_fmac_f64_e32 v[4:5], v[24:25], v[26:27]
	ds_read_b128 v[50:53], v21 offset:1040
	s_waitcnt lgkmcnt(2)
	v_fmac_f64_e32 v[2:3], v[22:23], v[42:43]
	v_fmac_f64_e32 v[0:1], v[24:25], v[42:43]
	ds_read2_b64 v[22:25], v20 offset0:64 offset1:80
	s_waitcnt lgkmcnt(2)
	v_fmac_f64_e32 v[6:7], v[46:47], v[28:29]
	v_fmac_f64_e32 v[4:5], v[48:49], v[28:29]
	ds_read2_b64 v[26:29], v20 offset0:96 offset1:112
	v_fmac_f64_e32 v[2:3], v[46:47], v[44:45]
	v_fmac_f64_e32 v[0:1], v[48:49], v[44:45]
	s_waitcnt lgkmcnt(1)
	v_fmac_f64_e32 v[6:7], v[22:23], v[30:31]
	v_fmac_f64_e32 v[4:5], v[24:25], v[30:31]
	ds_read_b128 v[42:45], v21 offset:1072
	v_fmac_f64_e32 v[2:3], v[22:23], v[50:51]
	v_fmac_f64_e32 v[0:1], v[24:25], v[50:51]
	s_waitcnt lgkmcnt(1)
	v_fmac_f64_e32 v[6:7], v[26:27], v[32:33]
	ds_read2_b64 v[22:25], v20 offset0:128 offset1:144
	v_fmac_f64_e32 v[4:5], v[28:29], v[32:33]
	v_fmac_f64_e32 v[2:3], v[26:27], v[52:53]
	v_fmac_f64_e32 v[0:1], v[28:29], v[52:53]
	ds_read_b128 v[26:29], v21 offset:1056
	ds_read2_b64 v[30:33], v20 offset0:160 offset1:176
	s_waitcnt lgkmcnt(2)
	v_fmac_f64_e32 v[6:7], v[22:23], v[34:35]
	v_fmac_f64_e32 v[4:5], v[24:25], v[34:35]
	s_add_u32 s6, s6, 8
	s_waitcnt lgkmcnt(1)
	v_fmac_f64_e32 v[2:3], v[22:23], v[26:27]
	v_fmac_f64_e32 v[0:1], v[24:25], v[26:27]
	ds_read2_b64 v[22:25], v20 offset0:192 offset1:208
	s_waitcnt lgkmcnt(1)
	v_fmac_f64_e32 v[2:3], v[30:31], v[28:29]
	v_fmac_f64_e32 v[0:1], v[32:33], v[28:29]
	ds_read2_b64 v[26:29], v20 offset0:224 offset1:240
	v_fmac_f64_e32 v[6:7], v[30:31], v[36:37]
	s_addc_u32 s7, s7, 0
	v_fmac_f64_e32 v[4:5], v[32:33], v[36:37]
	s_waitcnt lgkmcnt(1)
	v_fmac_f64_e32 v[6:7], v[22:23], v[38:39]
	v_fmac_f64_e32 v[2:3], v[22:23], v[42:43]
	v_mov_b64_e32 v[22:23], s[6:7]
	v_fmac_f64_e32 v[4:5], v[24:25], v[38:39]
	v_fmac_f64_e32 v[0:1], v[24:25], v[42:43]
	v_cmp_gt_i64_e32 vcc, s[8:9], v[22:23]
	s_waitcnt lgkmcnt(0)
	v_fmac_f64_e32 v[6:7], v[26:27], v[40:41]
	v_fmac_f64_e32 v[4:5], v[28:29], v[40:41]
	v_fmac_f64_e32 v[2:3], v[26:27], v[44:45]
	v_fmac_f64_e32 v[0:1], v[28:29], v[44:45]
	s_barrier
	s_cbranch_vccz .LBB209_12
.LBB209_6:                              ; =>This Inner Loop Header: Depth=1
	v_mov_b64_e32 v[22:23], 0
	s_and_saveexec_b64 s[12:13], s[0:1]
	s_cbranch_execz .LBB209_10
; %bb.7:                                ;   in Loop: Header=BB209_6 Depth=1
	v_add_u32_e32 v16, s6, v10
	v_cmp_gt_u64_e32 vcc, s[8:9], v[16:17]
	v_mov_b64_e32 v[22:23], 0
	s_and_saveexec_b64 s[16:17], vcc
	s_cbranch_execz .LBB209_9
; %bb.8:                                ;   in Loop: Header=BB209_6 Depth=1
	v_mad_u64_u32 v[22:23], s[18:19], s14, v16, 0
	v_mov_b32_e32 v24, v23
	v_mad_u64_u32 v[24:25], s[18:19], s15, v16, v[24:25]
	v_mov_b32_e32 v23, v24
	v_lshl_add_u64 v[22:23], v[22:23], 3, v[12:13]
	global_load_dwordx2 v[22:23], v[22:23], off
.LBB209_9:                              ;   in Loop: Header=BB209_6 Depth=1
	s_or_b64 exec, exec, s[16:17]
.LBB209_10:                             ;   in Loop: Header=BB209_6 Depth=1
	s_or_b64 exec, exec, s[12:13]
	v_add_u32_e32 v16, s6, v8
	v_cmp_gt_u64_e32 vcc, s[8:9], v[16:17]
	s_waitcnt vmcnt(0)
	ds_write_b64 v18, v[22:23]
	s_and_b64 s[16:17], vcc, s[2:3]
	v_mov_b64_e32 v[22:23], 0
	s_and_saveexec_b64 s[12:13], s[16:17]
	s_cbranch_execz .LBB209_5
; %bb.11:                               ;   in Loop: Header=BB209_6 Depth=1
	v_mad_u64_u32 v[22:23], s[16:17], s20, v16, 0
	v_mov_b32_e32 v24, v23
	v_mad_u64_u32 v[24:25], s[16:17], s21, v16, v[24:25]
	v_mov_b32_e32 v23, v24
	v_lshl_add_u64 v[22:23], v[22:23], 3, v[14:15]
	global_load_dwordx2 v[22:23], v[22:23], off
	s_branch .LBB209_5
.LBB209_12:
	s_mul_i32 s0, s31, s4
	s_mul_hi_u32 s1, s30, s4
	s_add_i32 s1, s1, s0
	s_mul_i32 s0, s30, s4
	s_lshl_b64 s[0:1], s[0:1], 3
	s_add_u32 s6, s26, s0
	v_add_u32_e32 v14, s34, v11
	s_addc_u32 s7, s27, s1
	v_add_u32_e32 v8, s5, v9
	v_ashrrev_i32_e32 v9, 31, v14
	v_mad_u64_u32 v[10:11], s[0:1], s28, v14, 0
	v_mul_lo_u32 v9, s28, v9
	v_mul_lo_u32 v12, s29, v14
	v_cmp_neq_f64_e64 s[0:1], s[24:25], 0
	v_add3_u32 v11, v11, v9, v12
	v_cmp_le_i32_e32 vcc, v14, v8
	s_waitcnt lgkmcnt(0)
	v_cmp_gt_i32_e64 s[2:3], s33, v8
	v_cndmask_b32_e64 v12, 0, 1, s[0:1]
	v_lshl_add_u64 v[10:11], v[10:11], 3, s[6:7]
	s_and_b64 s[8:9], vcc, s[2:3]
	v_ashrrev_i32_e32 v9, 31, v8
	v_cmp_ne_u32_e64 s[0:1], 1, v12
	s_and_saveexec_b64 s[4:5], s[8:9]
	s_cbranch_execz .LBB209_16
; %bb.13:
	v_mul_f64 v[6:7], s[10:11], v[6:7]
	s_and_b64 vcc, exec, s[0:1]
	v_lshl_add_u64 v[12:13], v[8:9], 3, v[10:11]
	s_cbranch_vccnz .LBB209_15
; %bb.14:
	global_load_dwordx2 v[16:17], v[12:13], off
	s_waitcnt vmcnt(0)
	v_fmac_f64_e32 v[6:7], s[24:25], v[16:17]
.LBB209_15:
	global_store_dwordx2 v[12:13], v[6:7], off
.LBB209_16:
	s_or_b64 exec, exec, s[4:5]
	v_add_u32_e32 v6, 16, v8
	v_cmp_le_i32_e32 vcc, v14, v6
	v_cmp_gt_i32_e64 s[4:5], s33, v6
	s_and_b64 s[12:13], vcc, s[4:5]
	v_ashrrev_i32_e32 v7, 31, v6
	s_and_saveexec_b64 s[8:9], s[12:13]
	s_cbranch_execz .LBB209_20
; %bb.17:
	v_mul_f64 v[4:5], s[10:11], v[4:5]
	s_and_b64 vcc, exec, s[0:1]
	v_lshl_add_u64 v[10:11], v[6:7], 3, v[10:11]
	s_cbranch_vccnz .LBB209_19
; %bb.18:
	global_load_dwordx2 v[12:13], v[10:11], off
	s_waitcnt vmcnt(0)
	v_fmac_f64_e32 v[4:5], s[24:25], v[12:13]
.LBB209_19:
	global_store_dwordx2 v[10:11], v[4:5], off
.LBB209_20:
	s_or_b64 exec, exec, s[8:9]
	v_add_u32_e32 v10, 16, v14
	v_ashrrev_i32_e32 v4, 31, v10
	v_mul_lo_u32 v11, s28, v4
	v_mul_lo_u32 v12, s29, v10
	v_mad_u64_u32 v[4:5], s[8:9], s28, v10, 0
	v_add3_u32 v5, v5, v11, v12
	v_cmp_le_i32_e32 vcc, v10, v8
	v_lshl_add_u64 v[4:5], v[4:5], 3, s[6:7]
	s_and_b64 s[6:7], vcc, s[2:3]
	s_and_saveexec_b64 s[2:3], s[6:7]
	s_cbranch_execz .LBB209_24
; %bb.21:
	v_mul_f64 v[2:3], s[10:11], v[2:3]
	s_and_b64 vcc, exec, s[0:1]
	v_lshl_add_u64 v[8:9], v[8:9], 3, v[4:5]
	s_cbranch_vccnz .LBB209_23
; %bb.22:
	global_load_dwordx2 v[12:13], v[8:9], off
	s_waitcnt vmcnt(0)
	v_fmac_f64_e32 v[2:3], s[24:25], v[12:13]
.LBB209_23:
	global_store_dwordx2 v[8:9], v[2:3], off
.LBB209_24:
	s_or_b64 exec, exec, s[2:3]
	v_cmp_le_i32_e32 vcc, v10, v6
	s_and_b64 s[2:3], vcc, s[4:5]
	s_and_saveexec_b64 s[4:5], s[2:3]
	s_cbranch_execz .LBB209_28
; %bb.25:
	v_mul_f64 v[0:1], s[10:11], v[0:1]
	s_and_b64 vcc, exec, s[0:1]
	v_lshl_add_u64 v[2:3], v[6:7], 3, v[4:5]
	s_cbranch_vccnz .LBB209_27
; %bb.26:
	global_load_dwordx2 v[4:5], v[2:3], off
	s_waitcnt vmcnt(0)
	v_fmac_f64_e32 v[0:1], s[24:25], v[4:5]
.LBB209_27:
	global_store_dwordx2 v[2:3], v[0:1], off
.LBB209_28:
	s_endpgm
	.section	.rodata,"a",@progbits
	.p2align	6, 0x0
	.amdhsa_kernel _ZL29rocblas_internal_gemmt_kernelIlLi16ELi32ELi8ELc78ELc67ELc76ELb0ELb0EddPKdPdEviT_T9_T10_S3_lS5_S3_lS4_T11_S3_li
		.amdhsa_group_segment_fixed_size 4096
		.amdhsa_private_segment_fixed_size 0
		.amdhsa_kernarg_size 108
		.amdhsa_user_sgpr_count 2
		.amdhsa_user_sgpr_dispatch_ptr 0
		.amdhsa_user_sgpr_queue_ptr 0
		.amdhsa_user_sgpr_kernarg_segment_ptr 1
		.amdhsa_user_sgpr_dispatch_id 0
		.amdhsa_user_sgpr_kernarg_preload_length 0
		.amdhsa_user_sgpr_kernarg_preload_offset 0
		.amdhsa_user_sgpr_private_segment_size 0
		.amdhsa_uses_dynamic_stack 0
		.amdhsa_enable_private_segment 0
		.amdhsa_system_sgpr_workgroup_id_x 1
		.amdhsa_system_sgpr_workgroup_id_y 1
		.amdhsa_system_sgpr_workgroup_id_z 1
		.amdhsa_system_sgpr_workgroup_info 0
		.amdhsa_system_vgpr_workitem_id 1
		.amdhsa_next_free_vgpr 54
		.amdhsa_next_free_sgpr 36
		.amdhsa_accum_offset 56
		.amdhsa_reserve_vcc 1
		.amdhsa_float_round_mode_32 0
		.amdhsa_float_round_mode_16_64 0
		.amdhsa_float_denorm_mode_32 3
		.amdhsa_float_denorm_mode_16_64 3
		.amdhsa_dx10_clamp 1
		.amdhsa_ieee_mode 1
		.amdhsa_fp16_overflow 0
		.amdhsa_tg_split 0
		.amdhsa_exception_fp_ieee_invalid_op 0
		.amdhsa_exception_fp_denorm_src 0
		.amdhsa_exception_fp_ieee_div_zero 0
		.amdhsa_exception_fp_ieee_overflow 0
		.amdhsa_exception_fp_ieee_underflow 0
		.amdhsa_exception_fp_ieee_inexact 0
		.amdhsa_exception_int_div_zero 0
	.end_amdhsa_kernel
	.section	.text._ZL29rocblas_internal_gemmt_kernelIlLi16ELi32ELi8ELc78ELc67ELc76ELb0ELb0EddPKdPdEviT_T9_T10_S3_lS5_S3_lS4_T11_S3_li,"axG",@progbits,_ZL29rocblas_internal_gemmt_kernelIlLi16ELi32ELi8ELc78ELc67ELc76ELb0ELb0EddPKdPdEviT_T9_T10_S3_lS5_S3_lS4_T11_S3_li,comdat
.Lfunc_end209:
	.size	_ZL29rocblas_internal_gemmt_kernelIlLi16ELi32ELi8ELc78ELc67ELc76ELb0ELb0EddPKdPdEviT_T9_T10_S3_lS5_S3_lS4_T11_S3_li, .Lfunc_end209-_ZL29rocblas_internal_gemmt_kernelIlLi16ELi32ELi8ELc78ELc67ELc76ELb0ELb0EddPKdPdEviT_T9_T10_S3_lS5_S3_lS4_T11_S3_li
                                        ; -- End function
	.set _ZL29rocblas_internal_gemmt_kernelIlLi16ELi32ELi8ELc78ELc67ELc76ELb0ELb0EddPKdPdEviT_T9_T10_S3_lS5_S3_lS4_T11_S3_li.num_vgpr, 54
	.set _ZL29rocblas_internal_gemmt_kernelIlLi16ELi32ELi8ELc78ELc67ELc76ELb0ELb0EddPKdPdEviT_T9_T10_S3_lS5_S3_lS4_T11_S3_li.num_agpr, 0
	.set _ZL29rocblas_internal_gemmt_kernelIlLi16ELi32ELi8ELc78ELc67ELc76ELb0ELb0EddPKdPdEviT_T9_T10_S3_lS5_S3_lS4_T11_S3_li.numbered_sgpr, 36
	.set _ZL29rocblas_internal_gemmt_kernelIlLi16ELi32ELi8ELc78ELc67ELc76ELb0ELb0EddPKdPdEviT_T9_T10_S3_lS5_S3_lS4_T11_S3_li.num_named_barrier, 0
	.set _ZL29rocblas_internal_gemmt_kernelIlLi16ELi32ELi8ELc78ELc67ELc76ELb0ELb0EddPKdPdEviT_T9_T10_S3_lS5_S3_lS4_T11_S3_li.private_seg_size, 0
	.set _ZL29rocblas_internal_gemmt_kernelIlLi16ELi32ELi8ELc78ELc67ELc76ELb0ELb0EddPKdPdEviT_T9_T10_S3_lS5_S3_lS4_T11_S3_li.uses_vcc, 1
	.set _ZL29rocblas_internal_gemmt_kernelIlLi16ELi32ELi8ELc78ELc67ELc76ELb0ELb0EddPKdPdEviT_T9_T10_S3_lS5_S3_lS4_T11_S3_li.uses_flat_scratch, 0
	.set _ZL29rocblas_internal_gemmt_kernelIlLi16ELi32ELi8ELc78ELc67ELc76ELb0ELb0EddPKdPdEviT_T9_T10_S3_lS5_S3_lS4_T11_S3_li.has_dyn_sized_stack, 0
	.set _ZL29rocblas_internal_gemmt_kernelIlLi16ELi32ELi8ELc78ELc67ELc76ELb0ELb0EddPKdPdEviT_T9_T10_S3_lS5_S3_lS4_T11_S3_li.has_recursion, 0
	.set _ZL29rocblas_internal_gemmt_kernelIlLi16ELi32ELi8ELc78ELc67ELc76ELb0ELb0EddPKdPdEviT_T9_T10_S3_lS5_S3_lS4_T11_S3_li.has_indirect_call, 0
	.section	.AMDGPU.csdata,"",@progbits
; Kernel info:
; codeLenInByte = 1312
; TotalNumSgprs: 42
; NumVgprs: 54
; NumAgprs: 0
; TotalNumVgprs: 54
; ScratchSize: 0
; MemoryBound: 0
; FloatMode: 240
; IeeeMode: 1
; LDSByteSize: 4096 bytes/workgroup (compile time only)
; SGPRBlocks: 5
; VGPRBlocks: 6
; NumSGPRsForWavesPerEU: 42
; NumVGPRsForWavesPerEU: 54
; AccumOffset: 56
; Occupancy: 8
; WaveLimiterHint : 0
; COMPUTE_PGM_RSRC2:SCRATCH_EN: 0
; COMPUTE_PGM_RSRC2:USER_SGPR: 2
; COMPUTE_PGM_RSRC2:TRAP_HANDLER: 0
; COMPUTE_PGM_RSRC2:TGID_X_EN: 1
; COMPUTE_PGM_RSRC2:TGID_Y_EN: 1
; COMPUTE_PGM_RSRC2:TGID_Z_EN: 1
; COMPUTE_PGM_RSRC2:TIDIG_COMP_CNT: 1
; COMPUTE_PGM_RSRC3_GFX90A:ACCUM_OFFSET: 13
; COMPUTE_PGM_RSRC3_GFX90A:TG_SPLIT: 0
	.section	.text._ZL29rocblas_internal_gemmt_kernelIlLi16ELi32ELi8ELc84ELc78ELc76ELb0ELb0EddPKdPdEviT_T9_T10_S3_lS5_S3_lS4_T11_S3_li,"axG",@progbits,_ZL29rocblas_internal_gemmt_kernelIlLi16ELi32ELi8ELc84ELc78ELc76ELb0ELb0EddPKdPdEviT_T9_T10_S3_lS5_S3_lS4_T11_S3_li,comdat
	.globl	_ZL29rocblas_internal_gemmt_kernelIlLi16ELi32ELi8ELc84ELc78ELc76ELb0ELb0EddPKdPdEviT_T9_T10_S3_lS5_S3_lS4_T11_S3_li ; -- Begin function _ZL29rocblas_internal_gemmt_kernelIlLi16ELi32ELi8ELc84ELc78ELc76ELb0ELb0EddPKdPdEviT_T9_T10_S3_lS5_S3_lS4_T11_S3_li
	.p2align	8
	.type	_ZL29rocblas_internal_gemmt_kernelIlLi16ELi32ELi8ELc84ELc78ELc76ELb0ELb0EddPKdPdEviT_T9_T10_S3_lS5_S3_lS4_T11_S3_li,@function
_ZL29rocblas_internal_gemmt_kernelIlLi16ELi32ELi8ELc84ELc78ELc76ELb0ELb0EddPKdPdEviT_T9_T10_S3_lS5_S3_lS4_T11_S3_li: ; @_ZL29rocblas_internal_gemmt_kernelIlLi16ELi32ELi8ELc84ELc78ELc76ELb0ELb0EddPKdPdEviT_T9_T10_S3_lS5_S3_lS4_T11_S3_li
; %bb.0:
	s_load_dwordx8 s[24:31], s[0:1], 0x48
	s_load_dwordx16 s[8:23], s[0:1], 0x8
	s_waitcnt lgkmcnt(0)
	v_cmp_neq_f64_e64 s[6:7], s[24:25], 1.0
	s_and_b64 vcc, exec, s[6:7]
	s_cbranch_vccnz .LBB210_2
; %bb.1:
	s_cmp_lg_u64 s[8:9], 0
	s_cselect_b64 s[6:7], -1, 0
	v_cmp_neq_f64_e64 s[34:35], s[10:11], 0
	s_and_b64 s[6:7], s[6:7], s[34:35]
.LBB210_2:
	s_andn2_b64 vcc, exec, s[6:7]
	s_cbranch_vccnz .LBB210_28
; %bb.3:
	s_load_dword s33, s[0:1], 0x0
	s_lshl_b32 s5, s2, 5
	s_lshl_b32 s34, s3, 5
	v_cmp_eq_f64_e64 s[0:1], s[10:11], 0
	v_cmp_lt_i64_e64 s[2:3], s[8:9], 1
	s_or_b64 s[0:1], s[0:1], s[2:3]
	v_and_b32_e32 v7, 0x3ff, v0
	v_bfe_u32 v9, v0, 10, 10
	v_mov_b64_e32 v[10:11], 0
	s_and_b64 vcc, exec, s[0:1]
	v_mov_b64_e32 v[4:5], 0
	v_mov_b64_e32 v[2:3], 0
	;; [unrolled: 1-line block ×3, first 2 shown]
	s_cbranch_vccnz .LBB210_12
; %bb.4:
	s_mul_i32 s0, s23, s4
	s_mul_hi_u32 s1, s22, s4
	s_add_i32 s1, s1, s0
	s_mul_i32 s0, s22, s4
	s_lshl_b64 s[0:1], s[0:1], 3
	s_add_u32 s6, s18, s0
	s_addc_u32 s7, s19, s1
	s_mul_i32 s0, s17, s4
	s_mul_hi_u32 s1, s16, s4
	v_lshl_add_u32 v0, v9, 4, v7
	s_add_i32 s1, s1, s0
	s_mul_i32 s0, s16, s4
	v_lshrrev_b32_e32 v8, 5, v0
	v_lshrrev_b32_e32 v2, 3, v0
	v_and_b32_e32 v0, 31, v0
	s_lshl_b64 s[0:1], s[0:1], 3
	v_or_b32_e32 v1, s5, v0
	s_add_u32 s2, s12, s0
	v_lshlrev_b32_e32 v0, 3, v0
	s_addc_u32 s3, s13, s1
	s_waitcnt lgkmcnt(0)
	v_cmp_gt_i32_e64 s[0:1], s33, v1
	v_lshl_or_b32 v18, v8, 8, v0
	s_ashr_i32 s16, s5, 31
	v_mul_lo_u32 v4, s15, v1
	v_mad_u64_u32 v[0:1], s[12:13], s14, v1, 0
	s_mul_i32 s12, s14, s16
	v_and_b32_e32 v6, 7, v7
	v_add3_u32 v1, v1, s12, v4
	v_lshl_add_u64 v[12:13], v[0:1], 3, s[2:3]
	v_lshlrev_b32_e32 v0, 3, v6
	v_add_u32_e32 v3, s34, v2
	v_lshl_or_b32 v0, v2, 6, v0
	v_add_u32_e32 v19, 0x800, v0
	v_ashrrev_i32_e32 v0, 31, v3
	v_mul_lo_u32 v2, s20, v0
	v_mul_lo_u32 v4, s21, v3
	v_mad_u64_u32 v[0:1], s[12:13], s20, v3, 0
	v_add3_u32 v1, v1, v2, v4
	v_lshl_add_u64 v[14:15], v[0:1], 3, s[6:7]
	v_mov_b32_e32 v0, 0x800
	v_cmp_gt_i32_e64 s[2:3], s33, v3
	v_lshlrev_b32_e32 v20, 3, v7
	v_lshl_add_u32 v21, v9, 6, v0
	v_mov_b32_e32 v17, 0
	v_mov_b64_e32 v[0:1], 0
	s_mov_b64 s[6:7], 0
	v_mov_b64_e32 v[2:3], 0
	v_mov_b64_e32 v[4:5], 0
	v_mov_b64_e32 v[10:11], 0
	s_branch .LBB210_6
.LBB210_5:                              ;   in Loop: Header=BB210_6 Depth=1
	s_or_b64 exec, exec, s[12:13]
	s_waitcnt vmcnt(0)
	ds_write_b64 v19, v[22:23]
	s_waitcnt lgkmcnt(0)
	s_barrier
	ds_read2_b64 v[22:25], v20 offset1:16
	ds_read_b128 v[26:29], v21
	ds_read_b128 v[30:33], v21 offset:16
	ds_read_b128 v[34:37], v21 offset:32
	ds_read_b128 v[38:41], v21 offset:48
	ds_read_b128 v[42:45], v21 offset:1024
	ds_read2_b64 v[46:49], v20 offset0:32 offset1:48
	s_waitcnt lgkmcnt(5)
	v_fmac_f64_e32 v[10:11], v[22:23], v[26:27]
	v_fmac_f64_e32 v[4:5], v[24:25], v[26:27]
	ds_read_b128 v[50:53], v21 offset:1040
	s_waitcnt lgkmcnt(2)
	v_fmac_f64_e32 v[2:3], v[22:23], v[42:43]
	v_fmac_f64_e32 v[0:1], v[24:25], v[42:43]
	ds_read2_b64 v[22:25], v20 offset0:64 offset1:80
	s_waitcnt lgkmcnt(2)
	v_fmac_f64_e32 v[10:11], v[46:47], v[28:29]
	v_fmac_f64_e32 v[4:5], v[48:49], v[28:29]
	ds_read2_b64 v[26:29], v20 offset0:96 offset1:112
	v_fmac_f64_e32 v[2:3], v[46:47], v[44:45]
	v_fmac_f64_e32 v[0:1], v[48:49], v[44:45]
	s_waitcnt lgkmcnt(1)
	v_fmac_f64_e32 v[10:11], v[22:23], v[30:31]
	v_fmac_f64_e32 v[4:5], v[24:25], v[30:31]
	ds_read_b128 v[42:45], v21 offset:1072
	v_fmac_f64_e32 v[2:3], v[22:23], v[50:51]
	v_fmac_f64_e32 v[0:1], v[24:25], v[50:51]
	s_waitcnt lgkmcnt(1)
	v_fmac_f64_e32 v[10:11], v[26:27], v[32:33]
	ds_read2_b64 v[22:25], v20 offset0:128 offset1:144
	v_fmac_f64_e32 v[4:5], v[28:29], v[32:33]
	v_fmac_f64_e32 v[2:3], v[26:27], v[52:53]
	;; [unrolled: 1-line block ×3, first 2 shown]
	ds_read_b128 v[26:29], v21 offset:1056
	ds_read2_b64 v[30:33], v20 offset0:160 offset1:176
	s_waitcnt lgkmcnt(2)
	v_fmac_f64_e32 v[10:11], v[22:23], v[34:35]
	v_fmac_f64_e32 v[4:5], v[24:25], v[34:35]
	s_add_u32 s6, s6, 8
	s_waitcnt lgkmcnt(1)
	v_fmac_f64_e32 v[2:3], v[22:23], v[26:27]
	v_fmac_f64_e32 v[0:1], v[24:25], v[26:27]
	ds_read2_b64 v[22:25], v20 offset0:192 offset1:208
	s_waitcnt lgkmcnt(1)
	v_fmac_f64_e32 v[2:3], v[30:31], v[28:29]
	v_fmac_f64_e32 v[0:1], v[32:33], v[28:29]
	ds_read2_b64 v[26:29], v20 offset0:224 offset1:240
	v_fmac_f64_e32 v[10:11], v[30:31], v[36:37]
	s_addc_u32 s7, s7, 0
	v_fmac_f64_e32 v[4:5], v[32:33], v[36:37]
	s_waitcnt lgkmcnt(1)
	v_fmac_f64_e32 v[10:11], v[22:23], v[38:39]
	v_fmac_f64_e32 v[2:3], v[22:23], v[42:43]
	v_mov_b64_e32 v[22:23], s[6:7]
	v_fmac_f64_e32 v[4:5], v[24:25], v[38:39]
	v_fmac_f64_e32 v[0:1], v[24:25], v[42:43]
	v_cmp_gt_i64_e32 vcc, s[8:9], v[22:23]
	s_waitcnt lgkmcnt(0)
	v_fmac_f64_e32 v[10:11], v[26:27], v[40:41]
	v_fmac_f64_e32 v[4:5], v[28:29], v[40:41]
	v_fmac_f64_e32 v[2:3], v[26:27], v[44:45]
	v_fmac_f64_e32 v[0:1], v[28:29], v[44:45]
	s_barrier
	s_cbranch_vccz .LBB210_12
.LBB210_6:                              ; =>This Inner Loop Header: Depth=1
	v_mov_b64_e32 v[22:23], 0
	s_and_saveexec_b64 s[12:13], s[0:1]
	s_cbranch_execz .LBB210_10
; %bb.7:                                ;   in Loop: Header=BB210_6 Depth=1
	v_add_u32_e32 v16, s6, v8
	v_cmp_gt_u64_e32 vcc, s[8:9], v[16:17]
	v_mov_b64_e32 v[22:23], 0
	s_and_saveexec_b64 s[14:15], vcc
	s_cbranch_execz .LBB210_9
; %bb.8:                                ;   in Loop: Header=BB210_6 Depth=1
	v_lshl_add_u64 v[22:23], v[16:17], 3, v[12:13]
	global_load_dwordx2 v[22:23], v[22:23], off
.LBB210_9:                              ;   in Loop: Header=BB210_6 Depth=1
	s_or_b64 exec, exec, s[14:15]
.LBB210_10:                             ;   in Loop: Header=BB210_6 Depth=1
	s_or_b64 exec, exec, s[12:13]
	v_add_u32_e32 v16, s6, v6
	v_cmp_gt_u64_e32 vcc, s[8:9], v[16:17]
	s_waitcnt vmcnt(0)
	ds_write_b64 v18, v[22:23]
	s_and_b64 s[14:15], vcc, s[2:3]
	v_mov_b64_e32 v[22:23], 0
	s_and_saveexec_b64 s[12:13], s[14:15]
	s_cbranch_execz .LBB210_5
; %bb.11:                               ;   in Loop: Header=BB210_6 Depth=1
	v_lshl_add_u64 v[22:23], v[16:17], 3, v[14:15]
	global_load_dwordx2 v[22:23], v[22:23], off
	s_branch .LBB210_5
.LBB210_12:
	s_mul_i32 s0, s31, s4
	s_mul_hi_u32 s1, s30, s4
	s_add_i32 s1, s1, s0
	s_mul_i32 s0, s30, s4
	s_lshl_b64 s[0:1], s[0:1], 3
	v_add_u32_e32 v14, s34, v9
	s_add_u32 s6, s26, s0
	v_add_u32_e32 v6, s5, v7
	v_ashrrev_i32_e32 v7, 31, v14
	s_addc_u32 s7, s27, s1
	v_mul_lo_u32 v7, s28, v7
	v_mul_lo_u32 v12, s29, v14
	v_mad_u64_u32 v[8:9], s[0:1], s28, v14, 0
	v_add3_u32 v9, v9, v7, v12
	v_cmp_neq_f64_e64 s[0:1], s[24:25], 0
	v_lshl_add_u64 v[12:13], v[8:9], 3, s[6:7]
	v_cmp_le_i32_e32 vcc, v14, v6
	s_waitcnt lgkmcnt(0)
	v_cmp_gt_i32_e64 s[2:3], s33, v6
	v_cndmask_b32_e64 v8, 0, 1, s[0:1]
	s_and_b64 s[8:9], vcc, s[2:3]
	v_ashrrev_i32_e32 v7, 31, v6
	v_cmp_ne_u32_e64 s[0:1], 1, v8
	s_and_saveexec_b64 s[4:5], s[8:9]
	s_cbranch_execz .LBB210_16
; %bb.13:
	v_mul_f64 v[8:9], s[10:11], v[10:11]
	s_and_b64 vcc, exec, s[0:1]
	v_lshl_add_u64 v[10:11], v[6:7], 3, v[12:13]
	s_cbranch_vccnz .LBB210_15
; %bb.14:
	global_load_dwordx2 v[16:17], v[10:11], off
	s_waitcnt vmcnt(0)
	v_fmac_f64_e32 v[8:9], s[24:25], v[16:17]
.LBB210_15:
	global_store_dwordx2 v[10:11], v[8:9], off
.LBB210_16:
	s_or_b64 exec, exec, s[4:5]
	v_add_u32_e32 v8, 16, v6
	v_cmp_le_i32_e32 vcc, v14, v8
	v_cmp_gt_i32_e64 s[4:5], s33, v8
	s_and_b64 s[12:13], vcc, s[4:5]
	v_ashrrev_i32_e32 v9, 31, v8
	s_and_saveexec_b64 s[8:9], s[12:13]
	s_cbranch_execz .LBB210_20
; %bb.17:
	v_mul_f64 v[4:5], s[10:11], v[4:5]
	s_and_b64 vcc, exec, s[0:1]
	v_lshl_add_u64 v[10:11], v[8:9], 3, v[12:13]
	s_cbranch_vccnz .LBB210_19
; %bb.18:
	global_load_dwordx2 v[12:13], v[10:11], off
	s_waitcnt vmcnt(0)
	v_fmac_f64_e32 v[4:5], s[24:25], v[12:13]
.LBB210_19:
	global_store_dwordx2 v[10:11], v[4:5], off
.LBB210_20:
	s_or_b64 exec, exec, s[8:9]
	v_add_u32_e32 v10, 16, v14
	v_ashrrev_i32_e32 v4, 31, v10
	v_mul_lo_u32 v11, s28, v4
	v_mul_lo_u32 v12, s29, v10
	v_mad_u64_u32 v[4:5], s[8:9], s28, v10, 0
	v_add3_u32 v5, v5, v11, v12
	v_cmp_le_i32_e32 vcc, v10, v6
	v_lshl_add_u64 v[4:5], v[4:5], 3, s[6:7]
	s_and_b64 s[6:7], vcc, s[2:3]
	s_and_saveexec_b64 s[2:3], s[6:7]
	s_cbranch_execz .LBB210_24
; %bb.21:
	v_mul_f64 v[2:3], s[10:11], v[2:3]
	s_and_b64 vcc, exec, s[0:1]
	v_lshl_add_u64 v[6:7], v[6:7], 3, v[4:5]
	s_cbranch_vccnz .LBB210_23
; %bb.22:
	global_load_dwordx2 v[12:13], v[6:7], off
	s_waitcnt vmcnt(0)
	v_fmac_f64_e32 v[2:3], s[24:25], v[12:13]
.LBB210_23:
	global_store_dwordx2 v[6:7], v[2:3], off
.LBB210_24:
	s_or_b64 exec, exec, s[2:3]
	v_cmp_le_i32_e32 vcc, v10, v8
	s_and_b64 s[2:3], vcc, s[4:5]
	s_and_saveexec_b64 s[4:5], s[2:3]
	s_cbranch_execz .LBB210_28
; %bb.25:
	v_mul_f64 v[0:1], s[10:11], v[0:1]
	s_and_b64 vcc, exec, s[0:1]
	v_lshl_add_u64 v[2:3], v[8:9], 3, v[4:5]
	s_cbranch_vccnz .LBB210_27
; %bb.26:
	global_load_dwordx2 v[4:5], v[2:3], off
	s_waitcnt vmcnt(0)
	v_fmac_f64_e32 v[0:1], s[24:25], v[4:5]
.LBB210_27:
	global_store_dwordx2 v[2:3], v[0:1], off
.LBB210_28:
	s_endpgm
	.section	.rodata,"a",@progbits
	.p2align	6, 0x0
	.amdhsa_kernel _ZL29rocblas_internal_gemmt_kernelIlLi16ELi32ELi8ELc84ELc78ELc76ELb0ELb0EddPKdPdEviT_T9_T10_S3_lS5_S3_lS4_T11_S3_li
		.amdhsa_group_segment_fixed_size 4096
		.amdhsa_private_segment_fixed_size 0
		.amdhsa_kernarg_size 108
		.amdhsa_user_sgpr_count 2
		.amdhsa_user_sgpr_dispatch_ptr 0
		.amdhsa_user_sgpr_queue_ptr 0
		.amdhsa_user_sgpr_kernarg_segment_ptr 1
		.amdhsa_user_sgpr_dispatch_id 0
		.amdhsa_user_sgpr_kernarg_preload_length 0
		.amdhsa_user_sgpr_kernarg_preload_offset 0
		.amdhsa_user_sgpr_private_segment_size 0
		.amdhsa_uses_dynamic_stack 0
		.amdhsa_enable_private_segment 0
		.amdhsa_system_sgpr_workgroup_id_x 1
		.amdhsa_system_sgpr_workgroup_id_y 1
		.amdhsa_system_sgpr_workgroup_id_z 1
		.amdhsa_system_sgpr_workgroup_info 0
		.amdhsa_system_vgpr_workitem_id 1
		.amdhsa_next_free_vgpr 54
		.amdhsa_next_free_sgpr 36
		.amdhsa_accum_offset 56
		.amdhsa_reserve_vcc 1
		.amdhsa_float_round_mode_32 0
		.amdhsa_float_round_mode_16_64 0
		.amdhsa_float_denorm_mode_32 3
		.amdhsa_float_denorm_mode_16_64 3
		.amdhsa_dx10_clamp 1
		.amdhsa_ieee_mode 1
		.amdhsa_fp16_overflow 0
		.amdhsa_tg_split 0
		.amdhsa_exception_fp_ieee_invalid_op 0
		.amdhsa_exception_fp_denorm_src 0
		.amdhsa_exception_fp_ieee_div_zero 0
		.amdhsa_exception_fp_ieee_overflow 0
		.amdhsa_exception_fp_ieee_underflow 0
		.amdhsa_exception_fp_ieee_inexact 0
		.amdhsa_exception_int_div_zero 0
	.end_amdhsa_kernel
	.section	.text._ZL29rocblas_internal_gemmt_kernelIlLi16ELi32ELi8ELc84ELc78ELc76ELb0ELb0EddPKdPdEviT_T9_T10_S3_lS5_S3_lS4_T11_S3_li,"axG",@progbits,_ZL29rocblas_internal_gemmt_kernelIlLi16ELi32ELi8ELc84ELc78ELc76ELb0ELb0EddPKdPdEviT_T9_T10_S3_lS5_S3_lS4_T11_S3_li,comdat
.Lfunc_end210:
	.size	_ZL29rocblas_internal_gemmt_kernelIlLi16ELi32ELi8ELc84ELc78ELc76ELb0ELb0EddPKdPdEviT_T9_T10_S3_lS5_S3_lS4_T11_S3_li, .Lfunc_end210-_ZL29rocblas_internal_gemmt_kernelIlLi16ELi32ELi8ELc84ELc78ELc76ELb0ELb0EddPKdPdEviT_T9_T10_S3_lS5_S3_lS4_T11_S3_li
                                        ; -- End function
	.set _ZL29rocblas_internal_gemmt_kernelIlLi16ELi32ELi8ELc84ELc78ELc76ELb0ELb0EddPKdPdEviT_T9_T10_S3_lS5_S3_lS4_T11_S3_li.num_vgpr, 54
	.set _ZL29rocblas_internal_gemmt_kernelIlLi16ELi32ELi8ELc84ELc78ELc76ELb0ELb0EddPKdPdEviT_T9_T10_S3_lS5_S3_lS4_T11_S3_li.num_agpr, 0
	.set _ZL29rocblas_internal_gemmt_kernelIlLi16ELi32ELi8ELc84ELc78ELc76ELb0ELb0EddPKdPdEviT_T9_T10_S3_lS5_S3_lS4_T11_S3_li.numbered_sgpr, 36
	.set _ZL29rocblas_internal_gemmt_kernelIlLi16ELi32ELi8ELc84ELc78ELc76ELb0ELb0EddPKdPdEviT_T9_T10_S3_lS5_S3_lS4_T11_S3_li.num_named_barrier, 0
	.set _ZL29rocblas_internal_gemmt_kernelIlLi16ELi32ELi8ELc84ELc78ELc76ELb0ELb0EddPKdPdEviT_T9_T10_S3_lS5_S3_lS4_T11_S3_li.private_seg_size, 0
	.set _ZL29rocblas_internal_gemmt_kernelIlLi16ELi32ELi8ELc84ELc78ELc76ELb0ELb0EddPKdPdEviT_T9_T10_S3_lS5_S3_lS4_T11_S3_li.uses_vcc, 1
	.set _ZL29rocblas_internal_gemmt_kernelIlLi16ELi32ELi8ELc84ELc78ELc76ELb0ELb0EddPKdPdEviT_T9_T10_S3_lS5_S3_lS4_T11_S3_li.uses_flat_scratch, 0
	.set _ZL29rocblas_internal_gemmt_kernelIlLi16ELi32ELi8ELc84ELc78ELc76ELb0ELb0EddPKdPdEviT_T9_T10_S3_lS5_S3_lS4_T11_S3_li.has_dyn_sized_stack, 0
	.set _ZL29rocblas_internal_gemmt_kernelIlLi16ELi32ELi8ELc84ELc78ELc76ELb0ELb0EddPKdPdEviT_T9_T10_S3_lS5_S3_lS4_T11_S3_li.has_recursion, 0
	.set _ZL29rocblas_internal_gemmt_kernelIlLi16ELi32ELi8ELc84ELc78ELc76ELb0ELb0EddPKdPdEviT_T9_T10_S3_lS5_S3_lS4_T11_S3_li.has_indirect_call, 0
	.section	.AMDGPU.csdata,"",@progbits
; Kernel info:
; codeLenInByte = 1324
; TotalNumSgprs: 42
; NumVgprs: 54
; NumAgprs: 0
; TotalNumVgprs: 54
; ScratchSize: 0
; MemoryBound: 0
; FloatMode: 240
; IeeeMode: 1
; LDSByteSize: 4096 bytes/workgroup (compile time only)
; SGPRBlocks: 5
; VGPRBlocks: 6
; NumSGPRsForWavesPerEU: 42
; NumVGPRsForWavesPerEU: 54
; AccumOffset: 56
; Occupancy: 8
; WaveLimiterHint : 0
; COMPUTE_PGM_RSRC2:SCRATCH_EN: 0
; COMPUTE_PGM_RSRC2:USER_SGPR: 2
; COMPUTE_PGM_RSRC2:TRAP_HANDLER: 0
; COMPUTE_PGM_RSRC2:TGID_X_EN: 1
; COMPUTE_PGM_RSRC2:TGID_Y_EN: 1
; COMPUTE_PGM_RSRC2:TGID_Z_EN: 1
; COMPUTE_PGM_RSRC2:TIDIG_COMP_CNT: 1
; COMPUTE_PGM_RSRC3_GFX90A:ACCUM_OFFSET: 13
; COMPUTE_PGM_RSRC3_GFX90A:TG_SPLIT: 0
	.section	.text._ZL29rocblas_internal_gemmt_kernelIlLi16ELi32ELi8ELc84ELc84ELc76ELb0ELb0EddPKdPdEviT_T9_T10_S3_lS5_S3_lS4_T11_S3_li,"axG",@progbits,_ZL29rocblas_internal_gemmt_kernelIlLi16ELi32ELi8ELc84ELc84ELc76ELb0ELb0EddPKdPdEviT_T9_T10_S3_lS5_S3_lS4_T11_S3_li,comdat
	.globl	_ZL29rocblas_internal_gemmt_kernelIlLi16ELi32ELi8ELc84ELc84ELc76ELb0ELb0EddPKdPdEviT_T9_T10_S3_lS5_S3_lS4_T11_S3_li ; -- Begin function _ZL29rocblas_internal_gemmt_kernelIlLi16ELi32ELi8ELc84ELc84ELc76ELb0ELb0EddPKdPdEviT_T9_T10_S3_lS5_S3_lS4_T11_S3_li
	.p2align	8
	.type	_ZL29rocblas_internal_gemmt_kernelIlLi16ELi32ELi8ELc84ELc84ELc76ELb0ELb0EddPKdPdEviT_T9_T10_S3_lS5_S3_lS4_T11_S3_li,@function
_ZL29rocblas_internal_gemmt_kernelIlLi16ELi32ELi8ELc84ELc84ELc76ELb0ELb0EddPKdPdEviT_T9_T10_S3_lS5_S3_lS4_T11_S3_li: ; @_ZL29rocblas_internal_gemmt_kernelIlLi16ELi32ELi8ELc84ELc84ELc76ELb0ELb0EddPKdPdEviT_T9_T10_S3_lS5_S3_lS4_T11_S3_li
; %bb.0:
	s_load_dwordx8 s[24:31], s[0:1], 0x48
	s_load_dwordx16 s[8:23], s[0:1], 0x8
	s_waitcnt lgkmcnt(0)
	v_cmp_neq_f64_e64 s[6:7], s[24:25], 1.0
	s_and_b64 vcc, exec, s[6:7]
	s_cbranch_vccnz .LBB211_2
; %bb.1:
	s_cmp_lg_u64 s[8:9], 0
	s_cselect_b64 s[6:7], -1, 0
	v_cmp_neq_f64_e64 s[34:35], s[10:11], 0
	s_and_b64 s[6:7], s[6:7], s[34:35]
.LBB211_2:
	s_andn2_b64 vcc, exec, s[6:7]
	s_cbranch_vccnz .LBB211_28
; %bb.3:
	s_load_dword s33, s[0:1], 0x0
	s_lshl_b32 s5, s2, 5
	s_lshl_b32 s34, s3, 5
	v_cmp_eq_f64_e64 s[0:1], s[10:11], 0
	v_cmp_lt_i64_e64 s[2:3], s[8:9], 1
	s_or_b64 s[0:1], s[0:1], s[2:3]
	v_and_b32_e32 v7, 0x3ff, v0
	v_bfe_u32 v11, v0, 10, 10
	v_mov_b64_e32 v[8:9], 0
	s_and_b64 vcc, exec, s[0:1]
	v_mov_b64_e32 v[4:5], 0
	v_mov_b64_e32 v[2:3], 0
	;; [unrolled: 1-line block ×3, first 2 shown]
	s_cbranch_vccnz .LBB211_12
; %bb.4:
	s_mul_i32 s0, s23, s4
	s_mul_hi_u32 s1, s22, s4
	s_add_i32 s1, s1, s0
	s_mul_i32 s0, s22, s4
	s_lshl_b64 s[0:1], s[0:1], 3
	s_add_u32 s6, s18, s0
	s_addc_u32 s7, s19, s1
	s_mul_i32 s0, s17, s4
	s_mul_hi_u32 s1, s16, s4
	v_lshl_add_u32 v1, v11, 4, v7
	s_add_i32 s1, s1, s0
	s_mul_i32 s0, s16, s4
	v_lshrrev_b32_e32 v10, 5, v1
	v_lshrrev_b32_e32 v4, 3, v1
	v_and_b32_e32 v1, 31, v1
	s_lshl_b64 s[0:1], s[0:1], 3
	v_or_b32_e32 v2, s5, v1
	s_add_u32 s2, s12, s0
	v_lshlrev_b32_e32 v1, 3, v1
	s_addc_u32 s3, s13, s1
	s_waitcnt lgkmcnt(0)
	v_cmp_gt_i32_e64 s[0:1], s33, v2
	v_lshl_or_b32 v18, v10, 8, v1
	s_ashr_i32 s16, s5, 31
	v_mul_lo_u32 v1, s15, v2
	v_mad_u64_u32 v[2:3], s[12:13], s14, v2, 0
	v_and_b32_e32 v6, 7, v7
	s_mul_i32 s12, s14, s16
	v_add3_u32 v3, v3, s12, v1
	v_lshlrev_b32_e32 v1, 3, v6
	v_add_u32_e32 v0, s34, v4
	v_lshl_or_b32 v1, v4, 6, v1
	v_add_u32_e32 v19, 0x800, v1
	v_ashrrev_i32_e32 v1, 31, v0
	v_lshl_add_u64 v[12:13], v[2:3], 3, s[2:3]
	v_cmp_gt_i32_e64 s[2:3], s33, v0
	v_lshl_add_u64 v[14:15], v[0:1], 3, s[6:7]
	v_mov_b32_e32 v0, 0x800
	v_lshlrev_b32_e32 v20, 3, v7
	v_lshl_add_u32 v21, v11, 6, v0
	v_mov_b32_e32 v17, 0
	v_mov_b64_e32 v[0:1], 0
	s_mov_b64 s[6:7], 0
	v_mov_b64_e32 v[2:3], 0
	v_mov_b64_e32 v[4:5], 0
	;; [unrolled: 1-line block ×3, first 2 shown]
	s_branch .LBB211_6
.LBB211_5:                              ;   in Loop: Header=BB211_6 Depth=1
	s_or_b64 exec, exec, s[12:13]
	s_waitcnt vmcnt(0)
	ds_write_b64 v19, v[22:23]
	s_waitcnt lgkmcnt(0)
	s_barrier
	ds_read2_b64 v[22:25], v20 offset1:16
	ds_read_b128 v[26:29], v21
	ds_read_b128 v[30:33], v21 offset:16
	ds_read_b128 v[34:37], v21 offset:32
	;; [unrolled: 1-line block ×4, first 2 shown]
	ds_read2_b64 v[46:49], v20 offset0:32 offset1:48
	s_waitcnt lgkmcnt(5)
	v_fmac_f64_e32 v[8:9], v[22:23], v[26:27]
	v_fmac_f64_e32 v[4:5], v[24:25], v[26:27]
	ds_read_b128 v[50:53], v21 offset:1040
	s_waitcnt lgkmcnt(2)
	v_fmac_f64_e32 v[2:3], v[22:23], v[42:43]
	v_fmac_f64_e32 v[0:1], v[24:25], v[42:43]
	ds_read2_b64 v[22:25], v20 offset0:64 offset1:80
	s_waitcnt lgkmcnt(2)
	v_fmac_f64_e32 v[8:9], v[46:47], v[28:29]
	v_fmac_f64_e32 v[4:5], v[48:49], v[28:29]
	ds_read2_b64 v[26:29], v20 offset0:96 offset1:112
	v_fmac_f64_e32 v[2:3], v[46:47], v[44:45]
	v_fmac_f64_e32 v[0:1], v[48:49], v[44:45]
	s_waitcnt lgkmcnt(1)
	v_fmac_f64_e32 v[8:9], v[22:23], v[30:31]
	v_fmac_f64_e32 v[4:5], v[24:25], v[30:31]
	ds_read_b128 v[42:45], v21 offset:1072
	v_fmac_f64_e32 v[2:3], v[22:23], v[50:51]
	v_fmac_f64_e32 v[0:1], v[24:25], v[50:51]
	s_waitcnt lgkmcnt(1)
	v_fmac_f64_e32 v[8:9], v[26:27], v[32:33]
	ds_read2_b64 v[22:25], v20 offset0:128 offset1:144
	v_fmac_f64_e32 v[4:5], v[28:29], v[32:33]
	v_fmac_f64_e32 v[2:3], v[26:27], v[52:53]
	v_fmac_f64_e32 v[0:1], v[28:29], v[52:53]
	ds_read_b128 v[26:29], v21 offset:1056
	ds_read2_b64 v[30:33], v20 offset0:160 offset1:176
	s_waitcnt lgkmcnt(2)
	v_fmac_f64_e32 v[8:9], v[22:23], v[34:35]
	v_fmac_f64_e32 v[4:5], v[24:25], v[34:35]
	s_add_u32 s6, s6, 8
	s_waitcnt lgkmcnt(1)
	v_fmac_f64_e32 v[2:3], v[22:23], v[26:27]
	v_fmac_f64_e32 v[0:1], v[24:25], v[26:27]
	ds_read2_b64 v[22:25], v20 offset0:192 offset1:208
	s_waitcnt lgkmcnt(1)
	v_fmac_f64_e32 v[2:3], v[30:31], v[28:29]
	v_fmac_f64_e32 v[0:1], v[32:33], v[28:29]
	ds_read2_b64 v[26:29], v20 offset0:224 offset1:240
	v_fmac_f64_e32 v[8:9], v[30:31], v[36:37]
	s_addc_u32 s7, s7, 0
	v_fmac_f64_e32 v[4:5], v[32:33], v[36:37]
	s_waitcnt lgkmcnt(1)
	v_fmac_f64_e32 v[8:9], v[22:23], v[38:39]
	v_fmac_f64_e32 v[2:3], v[22:23], v[42:43]
	v_mov_b64_e32 v[22:23], s[6:7]
	v_fmac_f64_e32 v[4:5], v[24:25], v[38:39]
	v_fmac_f64_e32 v[0:1], v[24:25], v[42:43]
	v_cmp_gt_i64_e32 vcc, s[8:9], v[22:23]
	s_waitcnt lgkmcnt(0)
	v_fmac_f64_e32 v[8:9], v[26:27], v[40:41]
	v_fmac_f64_e32 v[4:5], v[28:29], v[40:41]
	;; [unrolled: 1-line block ×4, first 2 shown]
	s_barrier
	s_cbranch_vccz .LBB211_12
.LBB211_6:                              ; =>This Inner Loop Header: Depth=1
	v_mov_b64_e32 v[22:23], 0
	s_and_saveexec_b64 s[12:13], s[0:1]
	s_cbranch_execz .LBB211_10
; %bb.7:                                ;   in Loop: Header=BB211_6 Depth=1
	v_add_u32_e32 v16, s6, v10
	v_cmp_gt_u64_e32 vcc, s[8:9], v[16:17]
	v_mov_b64_e32 v[22:23], 0
	s_and_saveexec_b64 s[14:15], vcc
	s_cbranch_execz .LBB211_9
; %bb.8:                                ;   in Loop: Header=BB211_6 Depth=1
	v_lshl_add_u64 v[22:23], v[16:17], 3, v[12:13]
	global_load_dwordx2 v[22:23], v[22:23], off
.LBB211_9:                              ;   in Loop: Header=BB211_6 Depth=1
	s_or_b64 exec, exec, s[14:15]
.LBB211_10:                             ;   in Loop: Header=BB211_6 Depth=1
	s_or_b64 exec, exec, s[12:13]
	v_add_u32_e32 v16, s6, v6
	v_cmp_gt_u64_e32 vcc, s[8:9], v[16:17]
	s_waitcnt vmcnt(0)
	ds_write_b64 v18, v[22:23]
	s_and_b64 s[14:15], vcc, s[2:3]
	v_mov_b64_e32 v[22:23], 0
	s_and_saveexec_b64 s[12:13], s[14:15]
	s_cbranch_execz .LBB211_5
; %bb.11:                               ;   in Loop: Header=BB211_6 Depth=1
	v_mad_u64_u32 v[22:23], s[14:15], s20, v16, 0
	v_mov_b32_e32 v24, v23
	v_mad_u64_u32 v[24:25], s[14:15], s21, v16, v[24:25]
	v_mov_b32_e32 v23, v24
	v_lshl_add_u64 v[22:23], v[22:23], 3, v[14:15]
	global_load_dwordx2 v[22:23], v[22:23], off
	s_branch .LBB211_5
.LBB211_12:
	s_mul_i32 s0, s31, s4
	s_mul_hi_u32 s1, s30, s4
	s_add_i32 s1, s1, s0
	s_mul_i32 s0, s30, s4
	s_lshl_b64 s[0:1], s[0:1], 3
	s_add_u32 s6, s26, s0
	v_add_u32_e32 v14, s34, v11
	s_addc_u32 s7, s27, s1
	v_add_u32_e32 v6, s5, v7
	v_ashrrev_i32_e32 v7, 31, v14
	v_mad_u64_u32 v[10:11], s[0:1], s28, v14, 0
	v_mul_lo_u32 v7, s28, v7
	v_mul_lo_u32 v12, s29, v14
	v_cmp_neq_f64_e64 s[0:1], s[24:25], 0
	v_add3_u32 v11, v11, v7, v12
	v_cmp_le_i32_e32 vcc, v14, v6
	s_waitcnt lgkmcnt(0)
	v_cmp_gt_i32_e64 s[2:3], s33, v6
	v_cndmask_b32_e64 v12, 0, 1, s[0:1]
	v_lshl_add_u64 v[10:11], v[10:11], 3, s[6:7]
	s_and_b64 s[8:9], vcc, s[2:3]
	v_ashrrev_i32_e32 v7, 31, v6
	v_cmp_ne_u32_e64 s[0:1], 1, v12
	s_and_saveexec_b64 s[4:5], s[8:9]
	s_cbranch_execz .LBB211_16
; %bb.13:
	v_mul_f64 v[8:9], s[10:11], v[8:9]
	s_and_b64 vcc, exec, s[0:1]
	v_lshl_add_u64 v[12:13], v[6:7], 3, v[10:11]
	s_cbranch_vccnz .LBB211_15
; %bb.14:
	global_load_dwordx2 v[16:17], v[12:13], off
	s_waitcnt vmcnt(0)
	v_fmac_f64_e32 v[8:9], s[24:25], v[16:17]
.LBB211_15:
	global_store_dwordx2 v[12:13], v[8:9], off
.LBB211_16:
	s_or_b64 exec, exec, s[4:5]
	v_add_u32_e32 v8, 16, v6
	v_cmp_le_i32_e32 vcc, v14, v8
	v_cmp_gt_i32_e64 s[4:5], s33, v8
	s_and_b64 s[12:13], vcc, s[4:5]
	v_ashrrev_i32_e32 v9, 31, v8
	s_and_saveexec_b64 s[8:9], s[12:13]
	s_cbranch_execz .LBB211_20
; %bb.17:
	v_mul_f64 v[4:5], s[10:11], v[4:5]
	s_and_b64 vcc, exec, s[0:1]
	v_lshl_add_u64 v[10:11], v[8:9], 3, v[10:11]
	s_cbranch_vccnz .LBB211_19
; %bb.18:
	global_load_dwordx2 v[12:13], v[10:11], off
	s_waitcnt vmcnt(0)
	v_fmac_f64_e32 v[4:5], s[24:25], v[12:13]
.LBB211_19:
	global_store_dwordx2 v[10:11], v[4:5], off
.LBB211_20:
	s_or_b64 exec, exec, s[8:9]
	v_add_u32_e32 v10, 16, v14
	v_ashrrev_i32_e32 v4, 31, v10
	v_mul_lo_u32 v11, s28, v4
	v_mul_lo_u32 v12, s29, v10
	v_mad_u64_u32 v[4:5], s[8:9], s28, v10, 0
	v_add3_u32 v5, v5, v11, v12
	v_cmp_le_i32_e32 vcc, v10, v6
	v_lshl_add_u64 v[4:5], v[4:5], 3, s[6:7]
	s_and_b64 s[6:7], vcc, s[2:3]
	s_and_saveexec_b64 s[2:3], s[6:7]
	s_cbranch_execz .LBB211_24
; %bb.21:
	v_mul_f64 v[2:3], s[10:11], v[2:3]
	s_and_b64 vcc, exec, s[0:1]
	v_lshl_add_u64 v[6:7], v[6:7], 3, v[4:5]
	s_cbranch_vccnz .LBB211_23
; %bb.22:
	global_load_dwordx2 v[12:13], v[6:7], off
	s_waitcnt vmcnt(0)
	v_fmac_f64_e32 v[2:3], s[24:25], v[12:13]
.LBB211_23:
	global_store_dwordx2 v[6:7], v[2:3], off
.LBB211_24:
	s_or_b64 exec, exec, s[2:3]
	v_cmp_le_i32_e32 vcc, v10, v8
	s_and_b64 s[2:3], vcc, s[4:5]
	s_and_saveexec_b64 s[4:5], s[2:3]
	s_cbranch_execz .LBB211_28
; %bb.25:
	v_mul_f64 v[0:1], s[10:11], v[0:1]
	s_and_b64 vcc, exec, s[0:1]
	v_lshl_add_u64 v[2:3], v[8:9], 3, v[4:5]
	s_cbranch_vccnz .LBB211_27
; %bb.26:
	global_load_dwordx2 v[4:5], v[2:3], off
	s_waitcnt vmcnt(0)
	v_fmac_f64_e32 v[0:1], s[24:25], v[4:5]
.LBB211_27:
	global_store_dwordx2 v[2:3], v[0:1], off
.LBB211_28:
	s_endpgm
	.section	.rodata,"a",@progbits
	.p2align	6, 0x0
	.amdhsa_kernel _ZL29rocblas_internal_gemmt_kernelIlLi16ELi32ELi8ELc84ELc84ELc76ELb0ELb0EddPKdPdEviT_T9_T10_S3_lS5_S3_lS4_T11_S3_li
		.amdhsa_group_segment_fixed_size 4096
		.amdhsa_private_segment_fixed_size 0
		.amdhsa_kernarg_size 108
		.amdhsa_user_sgpr_count 2
		.amdhsa_user_sgpr_dispatch_ptr 0
		.amdhsa_user_sgpr_queue_ptr 0
		.amdhsa_user_sgpr_kernarg_segment_ptr 1
		.amdhsa_user_sgpr_dispatch_id 0
		.amdhsa_user_sgpr_kernarg_preload_length 0
		.amdhsa_user_sgpr_kernarg_preload_offset 0
		.amdhsa_user_sgpr_private_segment_size 0
		.amdhsa_uses_dynamic_stack 0
		.amdhsa_enable_private_segment 0
		.amdhsa_system_sgpr_workgroup_id_x 1
		.amdhsa_system_sgpr_workgroup_id_y 1
		.amdhsa_system_sgpr_workgroup_id_z 1
		.amdhsa_system_sgpr_workgroup_info 0
		.amdhsa_system_vgpr_workitem_id 1
		.amdhsa_next_free_vgpr 54
		.amdhsa_next_free_sgpr 36
		.amdhsa_accum_offset 56
		.amdhsa_reserve_vcc 1
		.amdhsa_float_round_mode_32 0
		.amdhsa_float_round_mode_16_64 0
		.amdhsa_float_denorm_mode_32 3
		.amdhsa_float_denorm_mode_16_64 3
		.amdhsa_dx10_clamp 1
		.amdhsa_ieee_mode 1
		.amdhsa_fp16_overflow 0
		.amdhsa_tg_split 0
		.amdhsa_exception_fp_ieee_invalid_op 0
		.amdhsa_exception_fp_denorm_src 0
		.amdhsa_exception_fp_ieee_div_zero 0
		.amdhsa_exception_fp_ieee_overflow 0
		.amdhsa_exception_fp_ieee_underflow 0
		.amdhsa_exception_fp_ieee_inexact 0
		.amdhsa_exception_int_div_zero 0
	.end_amdhsa_kernel
	.section	.text._ZL29rocblas_internal_gemmt_kernelIlLi16ELi32ELi8ELc84ELc84ELc76ELb0ELb0EddPKdPdEviT_T9_T10_S3_lS5_S3_lS4_T11_S3_li,"axG",@progbits,_ZL29rocblas_internal_gemmt_kernelIlLi16ELi32ELi8ELc84ELc84ELc76ELb0ELb0EddPKdPdEviT_T9_T10_S3_lS5_S3_lS4_T11_S3_li,comdat
.Lfunc_end211:
	.size	_ZL29rocblas_internal_gemmt_kernelIlLi16ELi32ELi8ELc84ELc84ELc76ELb0ELb0EddPKdPdEviT_T9_T10_S3_lS5_S3_lS4_T11_S3_li, .Lfunc_end211-_ZL29rocblas_internal_gemmt_kernelIlLi16ELi32ELi8ELc84ELc84ELc76ELb0ELb0EddPKdPdEviT_T9_T10_S3_lS5_S3_lS4_T11_S3_li
                                        ; -- End function
	.set _ZL29rocblas_internal_gemmt_kernelIlLi16ELi32ELi8ELc84ELc84ELc76ELb0ELb0EddPKdPdEviT_T9_T10_S3_lS5_S3_lS4_T11_S3_li.num_vgpr, 54
	.set _ZL29rocblas_internal_gemmt_kernelIlLi16ELi32ELi8ELc84ELc84ELc76ELb0ELb0EddPKdPdEviT_T9_T10_S3_lS5_S3_lS4_T11_S3_li.num_agpr, 0
	.set _ZL29rocblas_internal_gemmt_kernelIlLi16ELi32ELi8ELc84ELc84ELc76ELb0ELb0EddPKdPdEviT_T9_T10_S3_lS5_S3_lS4_T11_S3_li.numbered_sgpr, 36
	.set _ZL29rocblas_internal_gemmt_kernelIlLi16ELi32ELi8ELc84ELc84ELc76ELb0ELb0EddPKdPdEviT_T9_T10_S3_lS5_S3_lS4_T11_S3_li.num_named_barrier, 0
	.set _ZL29rocblas_internal_gemmt_kernelIlLi16ELi32ELi8ELc84ELc84ELc76ELb0ELb0EddPKdPdEviT_T9_T10_S3_lS5_S3_lS4_T11_S3_li.private_seg_size, 0
	.set _ZL29rocblas_internal_gemmt_kernelIlLi16ELi32ELi8ELc84ELc84ELc76ELb0ELb0EddPKdPdEviT_T9_T10_S3_lS5_S3_lS4_T11_S3_li.uses_vcc, 1
	.set _ZL29rocblas_internal_gemmt_kernelIlLi16ELi32ELi8ELc84ELc84ELc76ELb0ELb0EddPKdPdEviT_T9_T10_S3_lS5_S3_lS4_T11_S3_li.uses_flat_scratch, 0
	.set _ZL29rocblas_internal_gemmt_kernelIlLi16ELi32ELi8ELc84ELc84ELc76ELb0ELb0EddPKdPdEviT_T9_T10_S3_lS5_S3_lS4_T11_S3_li.has_dyn_sized_stack, 0
	.set _ZL29rocblas_internal_gemmt_kernelIlLi16ELi32ELi8ELc84ELc84ELc76ELb0ELb0EddPKdPdEviT_T9_T10_S3_lS5_S3_lS4_T11_S3_li.has_recursion, 0
	.set _ZL29rocblas_internal_gemmt_kernelIlLi16ELi32ELi8ELc84ELc84ELc76ELb0ELb0EddPKdPdEviT_T9_T10_S3_lS5_S3_lS4_T11_S3_li.has_indirect_call, 0
	.section	.AMDGPU.csdata,"",@progbits
; Kernel info:
; codeLenInByte = 1316
; TotalNumSgprs: 42
; NumVgprs: 54
; NumAgprs: 0
; TotalNumVgprs: 54
; ScratchSize: 0
; MemoryBound: 0
; FloatMode: 240
; IeeeMode: 1
; LDSByteSize: 4096 bytes/workgroup (compile time only)
; SGPRBlocks: 5
; VGPRBlocks: 6
; NumSGPRsForWavesPerEU: 42
; NumVGPRsForWavesPerEU: 54
; AccumOffset: 56
; Occupancy: 8
; WaveLimiterHint : 0
; COMPUTE_PGM_RSRC2:SCRATCH_EN: 0
; COMPUTE_PGM_RSRC2:USER_SGPR: 2
; COMPUTE_PGM_RSRC2:TRAP_HANDLER: 0
; COMPUTE_PGM_RSRC2:TGID_X_EN: 1
; COMPUTE_PGM_RSRC2:TGID_Y_EN: 1
; COMPUTE_PGM_RSRC2:TGID_Z_EN: 1
; COMPUTE_PGM_RSRC2:TIDIG_COMP_CNT: 1
; COMPUTE_PGM_RSRC3_GFX90A:ACCUM_OFFSET: 13
; COMPUTE_PGM_RSRC3_GFX90A:TG_SPLIT: 0
	.section	.text._ZL29rocblas_internal_gemmt_kernelIlLi16ELi32ELi8ELc84ELc67ELc76ELb0ELb0EddPKdPdEviT_T9_T10_S3_lS5_S3_lS4_T11_S3_li,"axG",@progbits,_ZL29rocblas_internal_gemmt_kernelIlLi16ELi32ELi8ELc84ELc67ELc76ELb0ELb0EddPKdPdEviT_T9_T10_S3_lS5_S3_lS4_T11_S3_li,comdat
	.globl	_ZL29rocblas_internal_gemmt_kernelIlLi16ELi32ELi8ELc84ELc67ELc76ELb0ELb0EddPKdPdEviT_T9_T10_S3_lS5_S3_lS4_T11_S3_li ; -- Begin function _ZL29rocblas_internal_gemmt_kernelIlLi16ELi32ELi8ELc84ELc67ELc76ELb0ELb0EddPKdPdEviT_T9_T10_S3_lS5_S3_lS4_T11_S3_li
	.p2align	8
	.type	_ZL29rocblas_internal_gemmt_kernelIlLi16ELi32ELi8ELc84ELc67ELc76ELb0ELb0EddPKdPdEviT_T9_T10_S3_lS5_S3_lS4_T11_S3_li,@function
_ZL29rocblas_internal_gemmt_kernelIlLi16ELi32ELi8ELc84ELc67ELc76ELb0ELb0EddPKdPdEviT_T9_T10_S3_lS5_S3_lS4_T11_S3_li: ; @_ZL29rocblas_internal_gemmt_kernelIlLi16ELi32ELi8ELc84ELc67ELc76ELb0ELb0EddPKdPdEviT_T9_T10_S3_lS5_S3_lS4_T11_S3_li
; %bb.0:
	s_load_dwordx8 s[24:31], s[0:1], 0x48
	s_load_dwordx16 s[8:23], s[0:1], 0x8
	s_waitcnt lgkmcnt(0)
	v_cmp_neq_f64_e64 s[6:7], s[24:25], 1.0
	s_and_b64 vcc, exec, s[6:7]
	s_cbranch_vccnz .LBB212_2
; %bb.1:
	s_cmp_lg_u64 s[8:9], 0
	s_cselect_b64 s[6:7], -1, 0
	v_cmp_neq_f64_e64 s[34:35], s[10:11], 0
	s_and_b64 s[6:7], s[6:7], s[34:35]
.LBB212_2:
	s_andn2_b64 vcc, exec, s[6:7]
	s_cbranch_vccnz .LBB212_28
; %bb.3:
	s_load_dword s33, s[0:1], 0x0
	s_lshl_b32 s5, s2, 5
	s_lshl_b32 s34, s3, 5
	v_cmp_eq_f64_e64 s[0:1], s[10:11], 0
	v_cmp_lt_i64_e64 s[2:3], s[8:9], 1
	s_or_b64 s[0:1], s[0:1], s[2:3]
	v_and_b32_e32 v7, 0x3ff, v0
	v_bfe_u32 v11, v0, 10, 10
	v_mov_b64_e32 v[8:9], 0
	s_and_b64 vcc, exec, s[0:1]
	v_mov_b64_e32 v[4:5], 0
	v_mov_b64_e32 v[2:3], 0
	;; [unrolled: 1-line block ×3, first 2 shown]
	s_cbranch_vccnz .LBB212_12
; %bb.4:
	s_mul_i32 s0, s23, s4
	s_mul_hi_u32 s1, s22, s4
	s_add_i32 s1, s1, s0
	s_mul_i32 s0, s22, s4
	s_lshl_b64 s[0:1], s[0:1], 3
	s_add_u32 s6, s18, s0
	s_addc_u32 s7, s19, s1
	s_mul_i32 s0, s17, s4
	s_mul_hi_u32 s1, s16, s4
	v_lshl_add_u32 v1, v11, 4, v7
	s_add_i32 s1, s1, s0
	s_mul_i32 s0, s16, s4
	v_lshrrev_b32_e32 v10, 5, v1
	v_lshrrev_b32_e32 v4, 3, v1
	v_and_b32_e32 v1, 31, v1
	s_lshl_b64 s[0:1], s[0:1], 3
	v_or_b32_e32 v2, s5, v1
	s_add_u32 s2, s12, s0
	v_lshlrev_b32_e32 v1, 3, v1
	s_addc_u32 s3, s13, s1
	s_waitcnt lgkmcnt(0)
	v_cmp_gt_i32_e64 s[0:1], s33, v2
	v_lshl_or_b32 v18, v10, 8, v1
	s_ashr_i32 s16, s5, 31
	v_mul_lo_u32 v1, s15, v2
	v_mad_u64_u32 v[2:3], s[12:13], s14, v2, 0
	v_and_b32_e32 v6, 7, v7
	s_mul_i32 s12, s14, s16
	v_add3_u32 v3, v3, s12, v1
	v_lshlrev_b32_e32 v1, 3, v6
	v_add_u32_e32 v0, s34, v4
	v_lshl_or_b32 v1, v4, 6, v1
	v_add_u32_e32 v19, 0x800, v1
	v_ashrrev_i32_e32 v1, 31, v0
	v_lshl_add_u64 v[12:13], v[2:3], 3, s[2:3]
	v_cmp_gt_i32_e64 s[2:3], s33, v0
	v_lshl_add_u64 v[14:15], v[0:1], 3, s[6:7]
	v_mov_b32_e32 v0, 0x800
	v_lshlrev_b32_e32 v20, 3, v7
	v_lshl_add_u32 v21, v11, 6, v0
	v_mov_b32_e32 v17, 0
	v_mov_b64_e32 v[0:1], 0
	s_mov_b64 s[6:7], 0
	v_mov_b64_e32 v[2:3], 0
	v_mov_b64_e32 v[4:5], 0
	;; [unrolled: 1-line block ×3, first 2 shown]
	s_branch .LBB212_6
.LBB212_5:                              ;   in Loop: Header=BB212_6 Depth=1
	s_or_b64 exec, exec, s[12:13]
	s_waitcnt vmcnt(0)
	ds_write_b64 v19, v[22:23]
	s_waitcnt lgkmcnt(0)
	s_barrier
	ds_read2_b64 v[22:25], v20 offset1:16
	ds_read_b128 v[26:29], v21
	ds_read_b128 v[30:33], v21 offset:16
	ds_read_b128 v[34:37], v21 offset:32
	;; [unrolled: 1-line block ×4, first 2 shown]
	ds_read2_b64 v[46:49], v20 offset0:32 offset1:48
	s_waitcnt lgkmcnt(5)
	v_fmac_f64_e32 v[8:9], v[22:23], v[26:27]
	v_fmac_f64_e32 v[4:5], v[24:25], v[26:27]
	ds_read_b128 v[50:53], v21 offset:1040
	s_waitcnt lgkmcnt(2)
	v_fmac_f64_e32 v[2:3], v[22:23], v[42:43]
	v_fmac_f64_e32 v[0:1], v[24:25], v[42:43]
	ds_read2_b64 v[22:25], v20 offset0:64 offset1:80
	s_waitcnt lgkmcnt(2)
	v_fmac_f64_e32 v[8:9], v[46:47], v[28:29]
	v_fmac_f64_e32 v[4:5], v[48:49], v[28:29]
	ds_read2_b64 v[26:29], v20 offset0:96 offset1:112
	v_fmac_f64_e32 v[2:3], v[46:47], v[44:45]
	v_fmac_f64_e32 v[0:1], v[48:49], v[44:45]
	s_waitcnt lgkmcnt(1)
	v_fmac_f64_e32 v[8:9], v[22:23], v[30:31]
	v_fmac_f64_e32 v[4:5], v[24:25], v[30:31]
	ds_read_b128 v[42:45], v21 offset:1072
	v_fmac_f64_e32 v[2:3], v[22:23], v[50:51]
	v_fmac_f64_e32 v[0:1], v[24:25], v[50:51]
	s_waitcnt lgkmcnt(1)
	v_fmac_f64_e32 v[8:9], v[26:27], v[32:33]
	ds_read2_b64 v[22:25], v20 offset0:128 offset1:144
	v_fmac_f64_e32 v[4:5], v[28:29], v[32:33]
	v_fmac_f64_e32 v[2:3], v[26:27], v[52:53]
	;; [unrolled: 1-line block ×3, first 2 shown]
	ds_read_b128 v[26:29], v21 offset:1056
	ds_read2_b64 v[30:33], v20 offset0:160 offset1:176
	s_waitcnt lgkmcnt(2)
	v_fmac_f64_e32 v[8:9], v[22:23], v[34:35]
	v_fmac_f64_e32 v[4:5], v[24:25], v[34:35]
	s_add_u32 s6, s6, 8
	s_waitcnt lgkmcnt(1)
	v_fmac_f64_e32 v[2:3], v[22:23], v[26:27]
	v_fmac_f64_e32 v[0:1], v[24:25], v[26:27]
	ds_read2_b64 v[22:25], v20 offset0:192 offset1:208
	s_waitcnt lgkmcnt(1)
	v_fmac_f64_e32 v[2:3], v[30:31], v[28:29]
	v_fmac_f64_e32 v[0:1], v[32:33], v[28:29]
	ds_read2_b64 v[26:29], v20 offset0:224 offset1:240
	v_fmac_f64_e32 v[8:9], v[30:31], v[36:37]
	s_addc_u32 s7, s7, 0
	v_fmac_f64_e32 v[4:5], v[32:33], v[36:37]
	s_waitcnt lgkmcnt(1)
	v_fmac_f64_e32 v[8:9], v[22:23], v[38:39]
	v_fmac_f64_e32 v[2:3], v[22:23], v[42:43]
	v_mov_b64_e32 v[22:23], s[6:7]
	v_fmac_f64_e32 v[4:5], v[24:25], v[38:39]
	v_fmac_f64_e32 v[0:1], v[24:25], v[42:43]
	v_cmp_gt_i64_e32 vcc, s[8:9], v[22:23]
	s_waitcnt lgkmcnt(0)
	v_fmac_f64_e32 v[8:9], v[26:27], v[40:41]
	v_fmac_f64_e32 v[4:5], v[28:29], v[40:41]
	;; [unrolled: 1-line block ×4, first 2 shown]
	s_barrier
	s_cbranch_vccz .LBB212_12
.LBB212_6:                              ; =>This Inner Loop Header: Depth=1
	v_mov_b64_e32 v[22:23], 0
	s_and_saveexec_b64 s[12:13], s[0:1]
	s_cbranch_execz .LBB212_10
; %bb.7:                                ;   in Loop: Header=BB212_6 Depth=1
	v_add_u32_e32 v16, s6, v10
	v_cmp_gt_u64_e32 vcc, s[8:9], v[16:17]
	v_mov_b64_e32 v[22:23], 0
	s_and_saveexec_b64 s[14:15], vcc
	s_cbranch_execz .LBB212_9
; %bb.8:                                ;   in Loop: Header=BB212_6 Depth=1
	v_lshl_add_u64 v[22:23], v[16:17], 3, v[12:13]
	global_load_dwordx2 v[22:23], v[22:23], off
.LBB212_9:                              ;   in Loop: Header=BB212_6 Depth=1
	s_or_b64 exec, exec, s[14:15]
.LBB212_10:                             ;   in Loop: Header=BB212_6 Depth=1
	s_or_b64 exec, exec, s[12:13]
	v_add_u32_e32 v16, s6, v6
	v_cmp_gt_u64_e32 vcc, s[8:9], v[16:17]
	s_waitcnt vmcnt(0)
	ds_write_b64 v18, v[22:23]
	s_and_b64 s[14:15], vcc, s[2:3]
	v_mov_b64_e32 v[22:23], 0
	s_and_saveexec_b64 s[12:13], s[14:15]
	s_cbranch_execz .LBB212_5
; %bb.11:                               ;   in Loop: Header=BB212_6 Depth=1
	v_mad_u64_u32 v[22:23], s[14:15], s20, v16, 0
	v_mov_b32_e32 v24, v23
	v_mad_u64_u32 v[24:25], s[14:15], s21, v16, v[24:25]
	v_mov_b32_e32 v23, v24
	v_lshl_add_u64 v[22:23], v[22:23], 3, v[14:15]
	global_load_dwordx2 v[22:23], v[22:23], off
	s_branch .LBB212_5
.LBB212_12:
	s_mul_i32 s0, s31, s4
	s_mul_hi_u32 s1, s30, s4
	s_add_i32 s1, s1, s0
	s_mul_i32 s0, s30, s4
	s_lshl_b64 s[0:1], s[0:1], 3
	s_add_u32 s6, s26, s0
	v_add_u32_e32 v14, s34, v11
	s_addc_u32 s7, s27, s1
	v_add_u32_e32 v6, s5, v7
	v_ashrrev_i32_e32 v7, 31, v14
	v_mad_u64_u32 v[10:11], s[0:1], s28, v14, 0
	v_mul_lo_u32 v7, s28, v7
	v_mul_lo_u32 v12, s29, v14
	v_cmp_neq_f64_e64 s[0:1], s[24:25], 0
	v_add3_u32 v11, v11, v7, v12
	v_cmp_le_i32_e32 vcc, v14, v6
	s_waitcnt lgkmcnt(0)
	v_cmp_gt_i32_e64 s[2:3], s33, v6
	v_cndmask_b32_e64 v12, 0, 1, s[0:1]
	v_lshl_add_u64 v[10:11], v[10:11], 3, s[6:7]
	s_and_b64 s[8:9], vcc, s[2:3]
	v_ashrrev_i32_e32 v7, 31, v6
	v_cmp_ne_u32_e64 s[0:1], 1, v12
	s_and_saveexec_b64 s[4:5], s[8:9]
	s_cbranch_execz .LBB212_16
; %bb.13:
	v_mul_f64 v[8:9], s[10:11], v[8:9]
	s_and_b64 vcc, exec, s[0:1]
	v_lshl_add_u64 v[12:13], v[6:7], 3, v[10:11]
	s_cbranch_vccnz .LBB212_15
; %bb.14:
	global_load_dwordx2 v[16:17], v[12:13], off
	s_waitcnt vmcnt(0)
	v_fmac_f64_e32 v[8:9], s[24:25], v[16:17]
.LBB212_15:
	global_store_dwordx2 v[12:13], v[8:9], off
.LBB212_16:
	s_or_b64 exec, exec, s[4:5]
	v_add_u32_e32 v8, 16, v6
	v_cmp_le_i32_e32 vcc, v14, v8
	v_cmp_gt_i32_e64 s[4:5], s33, v8
	s_and_b64 s[12:13], vcc, s[4:5]
	v_ashrrev_i32_e32 v9, 31, v8
	s_and_saveexec_b64 s[8:9], s[12:13]
	s_cbranch_execz .LBB212_20
; %bb.17:
	v_mul_f64 v[4:5], s[10:11], v[4:5]
	s_and_b64 vcc, exec, s[0:1]
	v_lshl_add_u64 v[10:11], v[8:9], 3, v[10:11]
	s_cbranch_vccnz .LBB212_19
; %bb.18:
	global_load_dwordx2 v[12:13], v[10:11], off
	s_waitcnt vmcnt(0)
	v_fmac_f64_e32 v[4:5], s[24:25], v[12:13]
.LBB212_19:
	global_store_dwordx2 v[10:11], v[4:5], off
.LBB212_20:
	s_or_b64 exec, exec, s[8:9]
	v_add_u32_e32 v10, 16, v14
	v_ashrrev_i32_e32 v4, 31, v10
	v_mul_lo_u32 v11, s28, v4
	v_mul_lo_u32 v12, s29, v10
	v_mad_u64_u32 v[4:5], s[8:9], s28, v10, 0
	v_add3_u32 v5, v5, v11, v12
	v_cmp_le_i32_e32 vcc, v10, v6
	v_lshl_add_u64 v[4:5], v[4:5], 3, s[6:7]
	s_and_b64 s[6:7], vcc, s[2:3]
	s_and_saveexec_b64 s[2:3], s[6:7]
	s_cbranch_execz .LBB212_24
; %bb.21:
	v_mul_f64 v[2:3], s[10:11], v[2:3]
	s_and_b64 vcc, exec, s[0:1]
	v_lshl_add_u64 v[6:7], v[6:7], 3, v[4:5]
	s_cbranch_vccnz .LBB212_23
; %bb.22:
	global_load_dwordx2 v[12:13], v[6:7], off
	s_waitcnt vmcnt(0)
	v_fmac_f64_e32 v[2:3], s[24:25], v[12:13]
.LBB212_23:
	global_store_dwordx2 v[6:7], v[2:3], off
.LBB212_24:
	s_or_b64 exec, exec, s[2:3]
	v_cmp_le_i32_e32 vcc, v10, v8
	s_and_b64 s[2:3], vcc, s[4:5]
	s_and_saveexec_b64 s[4:5], s[2:3]
	s_cbranch_execz .LBB212_28
; %bb.25:
	v_mul_f64 v[0:1], s[10:11], v[0:1]
	s_and_b64 vcc, exec, s[0:1]
	v_lshl_add_u64 v[2:3], v[8:9], 3, v[4:5]
	s_cbranch_vccnz .LBB212_27
; %bb.26:
	global_load_dwordx2 v[4:5], v[2:3], off
	s_waitcnt vmcnt(0)
	v_fmac_f64_e32 v[0:1], s[24:25], v[4:5]
.LBB212_27:
	global_store_dwordx2 v[2:3], v[0:1], off
.LBB212_28:
	s_endpgm
	.section	.rodata,"a",@progbits
	.p2align	6, 0x0
	.amdhsa_kernel _ZL29rocblas_internal_gemmt_kernelIlLi16ELi32ELi8ELc84ELc67ELc76ELb0ELb0EddPKdPdEviT_T9_T10_S3_lS5_S3_lS4_T11_S3_li
		.amdhsa_group_segment_fixed_size 4096
		.amdhsa_private_segment_fixed_size 0
		.amdhsa_kernarg_size 108
		.amdhsa_user_sgpr_count 2
		.amdhsa_user_sgpr_dispatch_ptr 0
		.amdhsa_user_sgpr_queue_ptr 0
		.amdhsa_user_sgpr_kernarg_segment_ptr 1
		.amdhsa_user_sgpr_dispatch_id 0
		.amdhsa_user_sgpr_kernarg_preload_length 0
		.amdhsa_user_sgpr_kernarg_preload_offset 0
		.amdhsa_user_sgpr_private_segment_size 0
		.amdhsa_uses_dynamic_stack 0
		.amdhsa_enable_private_segment 0
		.amdhsa_system_sgpr_workgroup_id_x 1
		.amdhsa_system_sgpr_workgroup_id_y 1
		.amdhsa_system_sgpr_workgroup_id_z 1
		.amdhsa_system_sgpr_workgroup_info 0
		.amdhsa_system_vgpr_workitem_id 1
		.amdhsa_next_free_vgpr 54
		.amdhsa_next_free_sgpr 36
		.amdhsa_accum_offset 56
		.amdhsa_reserve_vcc 1
		.amdhsa_float_round_mode_32 0
		.amdhsa_float_round_mode_16_64 0
		.amdhsa_float_denorm_mode_32 3
		.amdhsa_float_denorm_mode_16_64 3
		.amdhsa_dx10_clamp 1
		.amdhsa_ieee_mode 1
		.amdhsa_fp16_overflow 0
		.amdhsa_tg_split 0
		.amdhsa_exception_fp_ieee_invalid_op 0
		.amdhsa_exception_fp_denorm_src 0
		.amdhsa_exception_fp_ieee_div_zero 0
		.amdhsa_exception_fp_ieee_overflow 0
		.amdhsa_exception_fp_ieee_underflow 0
		.amdhsa_exception_fp_ieee_inexact 0
		.amdhsa_exception_int_div_zero 0
	.end_amdhsa_kernel
	.section	.text._ZL29rocblas_internal_gemmt_kernelIlLi16ELi32ELi8ELc84ELc67ELc76ELb0ELb0EddPKdPdEviT_T9_T10_S3_lS5_S3_lS4_T11_S3_li,"axG",@progbits,_ZL29rocblas_internal_gemmt_kernelIlLi16ELi32ELi8ELc84ELc67ELc76ELb0ELb0EddPKdPdEviT_T9_T10_S3_lS5_S3_lS4_T11_S3_li,comdat
.Lfunc_end212:
	.size	_ZL29rocblas_internal_gemmt_kernelIlLi16ELi32ELi8ELc84ELc67ELc76ELb0ELb0EddPKdPdEviT_T9_T10_S3_lS5_S3_lS4_T11_S3_li, .Lfunc_end212-_ZL29rocblas_internal_gemmt_kernelIlLi16ELi32ELi8ELc84ELc67ELc76ELb0ELb0EddPKdPdEviT_T9_T10_S3_lS5_S3_lS4_T11_S3_li
                                        ; -- End function
	.set _ZL29rocblas_internal_gemmt_kernelIlLi16ELi32ELi8ELc84ELc67ELc76ELb0ELb0EddPKdPdEviT_T9_T10_S3_lS5_S3_lS4_T11_S3_li.num_vgpr, 54
	.set _ZL29rocblas_internal_gemmt_kernelIlLi16ELi32ELi8ELc84ELc67ELc76ELb0ELb0EddPKdPdEviT_T9_T10_S3_lS5_S3_lS4_T11_S3_li.num_agpr, 0
	.set _ZL29rocblas_internal_gemmt_kernelIlLi16ELi32ELi8ELc84ELc67ELc76ELb0ELb0EddPKdPdEviT_T9_T10_S3_lS5_S3_lS4_T11_S3_li.numbered_sgpr, 36
	.set _ZL29rocblas_internal_gemmt_kernelIlLi16ELi32ELi8ELc84ELc67ELc76ELb0ELb0EddPKdPdEviT_T9_T10_S3_lS5_S3_lS4_T11_S3_li.num_named_barrier, 0
	.set _ZL29rocblas_internal_gemmt_kernelIlLi16ELi32ELi8ELc84ELc67ELc76ELb0ELb0EddPKdPdEviT_T9_T10_S3_lS5_S3_lS4_T11_S3_li.private_seg_size, 0
	.set _ZL29rocblas_internal_gemmt_kernelIlLi16ELi32ELi8ELc84ELc67ELc76ELb0ELb0EddPKdPdEviT_T9_T10_S3_lS5_S3_lS4_T11_S3_li.uses_vcc, 1
	.set _ZL29rocblas_internal_gemmt_kernelIlLi16ELi32ELi8ELc84ELc67ELc76ELb0ELb0EddPKdPdEviT_T9_T10_S3_lS5_S3_lS4_T11_S3_li.uses_flat_scratch, 0
	.set _ZL29rocblas_internal_gemmt_kernelIlLi16ELi32ELi8ELc84ELc67ELc76ELb0ELb0EddPKdPdEviT_T9_T10_S3_lS5_S3_lS4_T11_S3_li.has_dyn_sized_stack, 0
	.set _ZL29rocblas_internal_gemmt_kernelIlLi16ELi32ELi8ELc84ELc67ELc76ELb0ELb0EddPKdPdEviT_T9_T10_S3_lS5_S3_lS4_T11_S3_li.has_recursion, 0
	.set _ZL29rocblas_internal_gemmt_kernelIlLi16ELi32ELi8ELc84ELc67ELc76ELb0ELb0EddPKdPdEviT_T9_T10_S3_lS5_S3_lS4_T11_S3_li.has_indirect_call, 0
	.section	.AMDGPU.csdata,"",@progbits
; Kernel info:
; codeLenInByte = 1316
; TotalNumSgprs: 42
; NumVgprs: 54
; NumAgprs: 0
; TotalNumVgprs: 54
; ScratchSize: 0
; MemoryBound: 0
; FloatMode: 240
; IeeeMode: 1
; LDSByteSize: 4096 bytes/workgroup (compile time only)
; SGPRBlocks: 5
; VGPRBlocks: 6
; NumSGPRsForWavesPerEU: 42
; NumVGPRsForWavesPerEU: 54
; AccumOffset: 56
; Occupancy: 8
; WaveLimiterHint : 0
; COMPUTE_PGM_RSRC2:SCRATCH_EN: 0
; COMPUTE_PGM_RSRC2:USER_SGPR: 2
; COMPUTE_PGM_RSRC2:TRAP_HANDLER: 0
; COMPUTE_PGM_RSRC2:TGID_X_EN: 1
; COMPUTE_PGM_RSRC2:TGID_Y_EN: 1
; COMPUTE_PGM_RSRC2:TGID_Z_EN: 1
; COMPUTE_PGM_RSRC2:TIDIG_COMP_CNT: 1
; COMPUTE_PGM_RSRC3_GFX90A:ACCUM_OFFSET: 13
; COMPUTE_PGM_RSRC3_GFX90A:TG_SPLIT: 0
	.section	.text._ZL29rocblas_internal_gemmt_kernelIlLi16ELi32ELi8ELc67ELc78ELc76ELb0ELb0EddPKdPdEviT_T9_T10_S3_lS5_S3_lS4_T11_S3_li,"axG",@progbits,_ZL29rocblas_internal_gemmt_kernelIlLi16ELi32ELi8ELc67ELc78ELc76ELb0ELb0EddPKdPdEviT_T9_T10_S3_lS5_S3_lS4_T11_S3_li,comdat
	.globl	_ZL29rocblas_internal_gemmt_kernelIlLi16ELi32ELi8ELc67ELc78ELc76ELb0ELb0EddPKdPdEviT_T9_T10_S3_lS5_S3_lS4_T11_S3_li ; -- Begin function _ZL29rocblas_internal_gemmt_kernelIlLi16ELi32ELi8ELc67ELc78ELc76ELb0ELb0EddPKdPdEviT_T9_T10_S3_lS5_S3_lS4_T11_S3_li
	.p2align	8
	.type	_ZL29rocblas_internal_gemmt_kernelIlLi16ELi32ELi8ELc67ELc78ELc76ELb0ELb0EddPKdPdEviT_T9_T10_S3_lS5_S3_lS4_T11_S3_li,@function
_ZL29rocblas_internal_gemmt_kernelIlLi16ELi32ELi8ELc67ELc78ELc76ELb0ELb0EddPKdPdEviT_T9_T10_S3_lS5_S3_lS4_T11_S3_li: ; @_ZL29rocblas_internal_gemmt_kernelIlLi16ELi32ELi8ELc67ELc78ELc76ELb0ELb0EddPKdPdEviT_T9_T10_S3_lS5_S3_lS4_T11_S3_li
; %bb.0:
	s_load_dwordx8 s[24:31], s[0:1], 0x48
	s_load_dwordx16 s[8:23], s[0:1], 0x8
	s_waitcnt lgkmcnt(0)
	v_cmp_neq_f64_e64 s[6:7], s[24:25], 1.0
	s_and_b64 vcc, exec, s[6:7]
	s_cbranch_vccnz .LBB213_2
; %bb.1:
	s_cmp_lg_u64 s[8:9], 0
	s_cselect_b64 s[6:7], -1, 0
	v_cmp_neq_f64_e64 s[34:35], s[10:11], 0
	s_and_b64 s[6:7], s[6:7], s[34:35]
.LBB213_2:
	s_andn2_b64 vcc, exec, s[6:7]
	s_cbranch_vccnz .LBB213_28
; %bb.3:
	s_load_dword s33, s[0:1], 0x0
	s_lshl_b32 s5, s2, 5
	s_lshl_b32 s34, s3, 5
	v_cmp_eq_f64_e64 s[0:1], s[10:11], 0
	v_cmp_lt_i64_e64 s[2:3], s[8:9], 1
	s_or_b64 s[0:1], s[0:1], s[2:3]
	v_and_b32_e32 v7, 0x3ff, v0
	v_bfe_u32 v9, v0, 10, 10
	v_mov_b64_e32 v[10:11], 0
	s_and_b64 vcc, exec, s[0:1]
	v_mov_b64_e32 v[4:5], 0
	v_mov_b64_e32 v[2:3], 0
	;; [unrolled: 1-line block ×3, first 2 shown]
	s_cbranch_vccnz .LBB213_12
; %bb.4:
	s_mul_i32 s0, s23, s4
	s_mul_hi_u32 s1, s22, s4
	s_add_i32 s1, s1, s0
	s_mul_i32 s0, s22, s4
	s_lshl_b64 s[0:1], s[0:1], 3
	s_add_u32 s6, s18, s0
	s_addc_u32 s7, s19, s1
	s_mul_i32 s0, s17, s4
	s_mul_hi_u32 s1, s16, s4
	v_lshl_add_u32 v0, v9, 4, v7
	s_add_i32 s1, s1, s0
	s_mul_i32 s0, s16, s4
	v_lshrrev_b32_e32 v8, 5, v0
	v_lshrrev_b32_e32 v2, 3, v0
	v_and_b32_e32 v0, 31, v0
	s_lshl_b64 s[0:1], s[0:1], 3
	v_or_b32_e32 v1, s5, v0
	s_add_u32 s2, s12, s0
	v_lshlrev_b32_e32 v0, 3, v0
	s_addc_u32 s3, s13, s1
	s_waitcnt lgkmcnt(0)
	v_cmp_gt_i32_e64 s[0:1], s33, v1
	v_lshl_or_b32 v18, v8, 8, v0
	s_ashr_i32 s16, s5, 31
	v_mul_lo_u32 v4, s15, v1
	v_mad_u64_u32 v[0:1], s[12:13], s14, v1, 0
	s_mul_i32 s12, s14, s16
	v_and_b32_e32 v6, 7, v7
	v_add3_u32 v1, v1, s12, v4
	v_lshl_add_u64 v[12:13], v[0:1], 3, s[2:3]
	v_lshlrev_b32_e32 v0, 3, v6
	v_add_u32_e32 v3, s34, v2
	v_lshl_or_b32 v0, v2, 6, v0
	v_add_u32_e32 v19, 0x800, v0
	v_ashrrev_i32_e32 v0, 31, v3
	v_mul_lo_u32 v2, s20, v0
	v_mul_lo_u32 v4, s21, v3
	v_mad_u64_u32 v[0:1], s[12:13], s20, v3, 0
	v_add3_u32 v1, v1, v2, v4
	v_lshl_add_u64 v[14:15], v[0:1], 3, s[6:7]
	v_mov_b32_e32 v0, 0x800
	v_cmp_gt_i32_e64 s[2:3], s33, v3
	v_lshlrev_b32_e32 v20, 3, v7
	v_lshl_add_u32 v21, v9, 6, v0
	v_mov_b32_e32 v17, 0
	v_mov_b64_e32 v[0:1], 0
	s_mov_b64 s[6:7], 0
	v_mov_b64_e32 v[2:3], 0
	v_mov_b64_e32 v[4:5], 0
	;; [unrolled: 1-line block ×3, first 2 shown]
	s_branch .LBB213_6
.LBB213_5:                              ;   in Loop: Header=BB213_6 Depth=1
	s_or_b64 exec, exec, s[12:13]
	s_waitcnt vmcnt(0)
	ds_write_b64 v19, v[22:23]
	s_waitcnt lgkmcnt(0)
	s_barrier
	ds_read2_b64 v[22:25], v20 offset1:16
	ds_read_b128 v[26:29], v21
	ds_read_b128 v[30:33], v21 offset:16
	ds_read_b128 v[34:37], v21 offset:32
	ds_read_b128 v[38:41], v21 offset:48
	ds_read_b128 v[42:45], v21 offset:1024
	ds_read2_b64 v[46:49], v20 offset0:32 offset1:48
	s_waitcnt lgkmcnt(5)
	v_fmac_f64_e32 v[10:11], v[22:23], v[26:27]
	v_fmac_f64_e32 v[4:5], v[24:25], v[26:27]
	ds_read_b128 v[50:53], v21 offset:1040
	s_waitcnt lgkmcnt(2)
	v_fmac_f64_e32 v[2:3], v[22:23], v[42:43]
	v_fmac_f64_e32 v[0:1], v[24:25], v[42:43]
	ds_read2_b64 v[22:25], v20 offset0:64 offset1:80
	s_waitcnt lgkmcnt(2)
	v_fmac_f64_e32 v[10:11], v[46:47], v[28:29]
	v_fmac_f64_e32 v[4:5], v[48:49], v[28:29]
	ds_read2_b64 v[26:29], v20 offset0:96 offset1:112
	v_fmac_f64_e32 v[2:3], v[46:47], v[44:45]
	v_fmac_f64_e32 v[0:1], v[48:49], v[44:45]
	s_waitcnt lgkmcnt(1)
	v_fmac_f64_e32 v[10:11], v[22:23], v[30:31]
	v_fmac_f64_e32 v[4:5], v[24:25], v[30:31]
	ds_read_b128 v[42:45], v21 offset:1072
	v_fmac_f64_e32 v[2:3], v[22:23], v[50:51]
	v_fmac_f64_e32 v[0:1], v[24:25], v[50:51]
	s_waitcnt lgkmcnt(1)
	v_fmac_f64_e32 v[10:11], v[26:27], v[32:33]
	ds_read2_b64 v[22:25], v20 offset0:128 offset1:144
	v_fmac_f64_e32 v[4:5], v[28:29], v[32:33]
	v_fmac_f64_e32 v[2:3], v[26:27], v[52:53]
	;; [unrolled: 1-line block ×3, first 2 shown]
	ds_read_b128 v[26:29], v21 offset:1056
	ds_read2_b64 v[30:33], v20 offset0:160 offset1:176
	s_waitcnt lgkmcnt(2)
	v_fmac_f64_e32 v[10:11], v[22:23], v[34:35]
	v_fmac_f64_e32 v[4:5], v[24:25], v[34:35]
	s_add_u32 s6, s6, 8
	s_waitcnt lgkmcnt(1)
	v_fmac_f64_e32 v[2:3], v[22:23], v[26:27]
	v_fmac_f64_e32 v[0:1], v[24:25], v[26:27]
	ds_read2_b64 v[22:25], v20 offset0:192 offset1:208
	s_waitcnt lgkmcnt(1)
	v_fmac_f64_e32 v[2:3], v[30:31], v[28:29]
	v_fmac_f64_e32 v[0:1], v[32:33], v[28:29]
	ds_read2_b64 v[26:29], v20 offset0:224 offset1:240
	v_fmac_f64_e32 v[10:11], v[30:31], v[36:37]
	s_addc_u32 s7, s7, 0
	v_fmac_f64_e32 v[4:5], v[32:33], v[36:37]
	s_waitcnt lgkmcnt(1)
	v_fmac_f64_e32 v[10:11], v[22:23], v[38:39]
	v_fmac_f64_e32 v[2:3], v[22:23], v[42:43]
	v_mov_b64_e32 v[22:23], s[6:7]
	v_fmac_f64_e32 v[4:5], v[24:25], v[38:39]
	v_fmac_f64_e32 v[0:1], v[24:25], v[42:43]
	v_cmp_gt_i64_e32 vcc, s[8:9], v[22:23]
	s_waitcnt lgkmcnt(0)
	v_fmac_f64_e32 v[10:11], v[26:27], v[40:41]
	v_fmac_f64_e32 v[4:5], v[28:29], v[40:41]
	;; [unrolled: 1-line block ×4, first 2 shown]
	s_barrier
	s_cbranch_vccz .LBB213_12
.LBB213_6:                              ; =>This Inner Loop Header: Depth=1
	v_mov_b64_e32 v[22:23], 0
	s_and_saveexec_b64 s[12:13], s[0:1]
	s_cbranch_execz .LBB213_10
; %bb.7:                                ;   in Loop: Header=BB213_6 Depth=1
	v_add_u32_e32 v16, s6, v8
	v_cmp_gt_u64_e32 vcc, s[8:9], v[16:17]
	v_mov_b64_e32 v[22:23], 0
	s_and_saveexec_b64 s[14:15], vcc
	s_cbranch_execz .LBB213_9
; %bb.8:                                ;   in Loop: Header=BB213_6 Depth=1
	v_lshl_add_u64 v[22:23], v[16:17], 3, v[12:13]
	global_load_dwordx2 v[22:23], v[22:23], off
.LBB213_9:                              ;   in Loop: Header=BB213_6 Depth=1
	s_or_b64 exec, exec, s[14:15]
.LBB213_10:                             ;   in Loop: Header=BB213_6 Depth=1
	s_or_b64 exec, exec, s[12:13]
	v_add_u32_e32 v16, s6, v6
	v_cmp_gt_u64_e32 vcc, s[8:9], v[16:17]
	s_waitcnt vmcnt(0)
	ds_write_b64 v18, v[22:23]
	s_and_b64 s[14:15], vcc, s[2:3]
	v_mov_b64_e32 v[22:23], 0
	s_and_saveexec_b64 s[12:13], s[14:15]
	s_cbranch_execz .LBB213_5
; %bb.11:                               ;   in Loop: Header=BB213_6 Depth=1
	v_lshl_add_u64 v[22:23], v[16:17], 3, v[14:15]
	global_load_dwordx2 v[22:23], v[22:23], off
	s_branch .LBB213_5
.LBB213_12:
	s_mul_i32 s0, s31, s4
	s_mul_hi_u32 s1, s30, s4
	s_add_i32 s1, s1, s0
	s_mul_i32 s0, s30, s4
	s_lshl_b64 s[0:1], s[0:1], 3
	v_add_u32_e32 v14, s34, v9
	s_add_u32 s6, s26, s0
	v_add_u32_e32 v6, s5, v7
	v_ashrrev_i32_e32 v7, 31, v14
	s_addc_u32 s7, s27, s1
	v_mul_lo_u32 v7, s28, v7
	v_mul_lo_u32 v12, s29, v14
	v_mad_u64_u32 v[8:9], s[0:1], s28, v14, 0
	v_add3_u32 v9, v9, v7, v12
	v_cmp_neq_f64_e64 s[0:1], s[24:25], 0
	v_lshl_add_u64 v[12:13], v[8:9], 3, s[6:7]
	v_cmp_le_i32_e32 vcc, v14, v6
	s_waitcnt lgkmcnt(0)
	v_cmp_gt_i32_e64 s[2:3], s33, v6
	v_cndmask_b32_e64 v8, 0, 1, s[0:1]
	s_and_b64 s[8:9], vcc, s[2:3]
	v_ashrrev_i32_e32 v7, 31, v6
	v_cmp_ne_u32_e64 s[0:1], 1, v8
	s_and_saveexec_b64 s[4:5], s[8:9]
	s_cbranch_execz .LBB213_16
; %bb.13:
	v_mul_f64 v[8:9], s[10:11], v[10:11]
	s_and_b64 vcc, exec, s[0:1]
	v_lshl_add_u64 v[10:11], v[6:7], 3, v[12:13]
	s_cbranch_vccnz .LBB213_15
; %bb.14:
	global_load_dwordx2 v[16:17], v[10:11], off
	s_waitcnt vmcnt(0)
	v_fmac_f64_e32 v[8:9], s[24:25], v[16:17]
.LBB213_15:
	global_store_dwordx2 v[10:11], v[8:9], off
.LBB213_16:
	s_or_b64 exec, exec, s[4:5]
	v_add_u32_e32 v8, 16, v6
	v_cmp_le_i32_e32 vcc, v14, v8
	v_cmp_gt_i32_e64 s[4:5], s33, v8
	s_and_b64 s[12:13], vcc, s[4:5]
	v_ashrrev_i32_e32 v9, 31, v8
	s_and_saveexec_b64 s[8:9], s[12:13]
	s_cbranch_execz .LBB213_20
; %bb.17:
	v_mul_f64 v[4:5], s[10:11], v[4:5]
	s_and_b64 vcc, exec, s[0:1]
	v_lshl_add_u64 v[10:11], v[8:9], 3, v[12:13]
	s_cbranch_vccnz .LBB213_19
; %bb.18:
	global_load_dwordx2 v[12:13], v[10:11], off
	s_waitcnt vmcnt(0)
	v_fmac_f64_e32 v[4:5], s[24:25], v[12:13]
.LBB213_19:
	global_store_dwordx2 v[10:11], v[4:5], off
.LBB213_20:
	s_or_b64 exec, exec, s[8:9]
	v_add_u32_e32 v10, 16, v14
	v_ashrrev_i32_e32 v4, 31, v10
	v_mul_lo_u32 v11, s28, v4
	v_mul_lo_u32 v12, s29, v10
	v_mad_u64_u32 v[4:5], s[8:9], s28, v10, 0
	v_add3_u32 v5, v5, v11, v12
	v_cmp_le_i32_e32 vcc, v10, v6
	v_lshl_add_u64 v[4:5], v[4:5], 3, s[6:7]
	s_and_b64 s[6:7], vcc, s[2:3]
	s_and_saveexec_b64 s[2:3], s[6:7]
	s_cbranch_execz .LBB213_24
; %bb.21:
	v_mul_f64 v[2:3], s[10:11], v[2:3]
	s_and_b64 vcc, exec, s[0:1]
	v_lshl_add_u64 v[6:7], v[6:7], 3, v[4:5]
	s_cbranch_vccnz .LBB213_23
; %bb.22:
	global_load_dwordx2 v[12:13], v[6:7], off
	s_waitcnt vmcnt(0)
	v_fmac_f64_e32 v[2:3], s[24:25], v[12:13]
.LBB213_23:
	global_store_dwordx2 v[6:7], v[2:3], off
.LBB213_24:
	s_or_b64 exec, exec, s[2:3]
	v_cmp_le_i32_e32 vcc, v10, v8
	s_and_b64 s[2:3], vcc, s[4:5]
	s_and_saveexec_b64 s[4:5], s[2:3]
	s_cbranch_execz .LBB213_28
; %bb.25:
	v_mul_f64 v[0:1], s[10:11], v[0:1]
	s_and_b64 vcc, exec, s[0:1]
	v_lshl_add_u64 v[2:3], v[8:9], 3, v[4:5]
	s_cbranch_vccnz .LBB213_27
; %bb.26:
	global_load_dwordx2 v[4:5], v[2:3], off
	s_waitcnt vmcnt(0)
	v_fmac_f64_e32 v[0:1], s[24:25], v[4:5]
.LBB213_27:
	global_store_dwordx2 v[2:3], v[0:1], off
.LBB213_28:
	s_endpgm
	.section	.rodata,"a",@progbits
	.p2align	6, 0x0
	.amdhsa_kernel _ZL29rocblas_internal_gemmt_kernelIlLi16ELi32ELi8ELc67ELc78ELc76ELb0ELb0EddPKdPdEviT_T9_T10_S3_lS5_S3_lS4_T11_S3_li
		.amdhsa_group_segment_fixed_size 4096
		.amdhsa_private_segment_fixed_size 0
		.amdhsa_kernarg_size 108
		.amdhsa_user_sgpr_count 2
		.amdhsa_user_sgpr_dispatch_ptr 0
		.amdhsa_user_sgpr_queue_ptr 0
		.amdhsa_user_sgpr_kernarg_segment_ptr 1
		.amdhsa_user_sgpr_dispatch_id 0
		.amdhsa_user_sgpr_kernarg_preload_length 0
		.amdhsa_user_sgpr_kernarg_preload_offset 0
		.amdhsa_user_sgpr_private_segment_size 0
		.amdhsa_uses_dynamic_stack 0
		.amdhsa_enable_private_segment 0
		.amdhsa_system_sgpr_workgroup_id_x 1
		.amdhsa_system_sgpr_workgroup_id_y 1
		.amdhsa_system_sgpr_workgroup_id_z 1
		.amdhsa_system_sgpr_workgroup_info 0
		.amdhsa_system_vgpr_workitem_id 1
		.amdhsa_next_free_vgpr 54
		.amdhsa_next_free_sgpr 36
		.amdhsa_accum_offset 56
		.amdhsa_reserve_vcc 1
		.amdhsa_float_round_mode_32 0
		.amdhsa_float_round_mode_16_64 0
		.amdhsa_float_denorm_mode_32 3
		.amdhsa_float_denorm_mode_16_64 3
		.amdhsa_dx10_clamp 1
		.amdhsa_ieee_mode 1
		.amdhsa_fp16_overflow 0
		.amdhsa_tg_split 0
		.amdhsa_exception_fp_ieee_invalid_op 0
		.amdhsa_exception_fp_denorm_src 0
		.amdhsa_exception_fp_ieee_div_zero 0
		.amdhsa_exception_fp_ieee_overflow 0
		.amdhsa_exception_fp_ieee_underflow 0
		.amdhsa_exception_fp_ieee_inexact 0
		.amdhsa_exception_int_div_zero 0
	.end_amdhsa_kernel
	.section	.text._ZL29rocblas_internal_gemmt_kernelIlLi16ELi32ELi8ELc67ELc78ELc76ELb0ELb0EddPKdPdEviT_T9_T10_S3_lS5_S3_lS4_T11_S3_li,"axG",@progbits,_ZL29rocblas_internal_gemmt_kernelIlLi16ELi32ELi8ELc67ELc78ELc76ELb0ELb0EddPKdPdEviT_T9_T10_S3_lS5_S3_lS4_T11_S3_li,comdat
.Lfunc_end213:
	.size	_ZL29rocblas_internal_gemmt_kernelIlLi16ELi32ELi8ELc67ELc78ELc76ELb0ELb0EddPKdPdEviT_T9_T10_S3_lS5_S3_lS4_T11_S3_li, .Lfunc_end213-_ZL29rocblas_internal_gemmt_kernelIlLi16ELi32ELi8ELc67ELc78ELc76ELb0ELb0EddPKdPdEviT_T9_T10_S3_lS5_S3_lS4_T11_S3_li
                                        ; -- End function
	.set _ZL29rocblas_internal_gemmt_kernelIlLi16ELi32ELi8ELc67ELc78ELc76ELb0ELb0EddPKdPdEviT_T9_T10_S3_lS5_S3_lS4_T11_S3_li.num_vgpr, 54
	.set _ZL29rocblas_internal_gemmt_kernelIlLi16ELi32ELi8ELc67ELc78ELc76ELb0ELb0EddPKdPdEviT_T9_T10_S3_lS5_S3_lS4_T11_S3_li.num_agpr, 0
	.set _ZL29rocblas_internal_gemmt_kernelIlLi16ELi32ELi8ELc67ELc78ELc76ELb0ELb0EddPKdPdEviT_T9_T10_S3_lS5_S3_lS4_T11_S3_li.numbered_sgpr, 36
	.set _ZL29rocblas_internal_gemmt_kernelIlLi16ELi32ELi8ELc67ELc78ELc76ELb0ELb0EddPKdPdEviT_T9_T10_S3_lS5_S3_lS4_T11_S3_li.num_named_barrier, 0
	.set _ZL29rocblas_internal_gemmt_kernelIlLi16ELi32ELi8ELc67ELc78ELc76ELb0ELb0EddPKdPdEviT_T9_T10_S3_lS5_S3_lS4_T11_S3_li.private_seg_size, 0
	.set _ZL29rocblas_internal_gemmt_kernelIlLi16ELi32ELi8ELc67ELc78ELc76ELb0ELb0EddPKdPdEviT_T9_T10_S3_lS5_S3_lS4_T11_S3_li.uses_vcc, 1
	.set _ZL29rocblas_internal_gemmt_kernelIlLi16ELi32ELi8ELc67ELc78ELc76ELb0ELb0EddPKdPdEviT_T9_T10_S3_lS5_S3_lS4_T11_S3_li.uses_flat_scratch, 0
	.set _ZL29rocblas_internal_gemmt_kernelIlLi16ELi32ELi8ELc67ELc78ELc76ELb0ELb0EddPKdPdEviT_T9_T10_S3_lS5_S3_lS4_T11_S3_li.has_dyn_sized_stack, 0
	.set _ZL29rocblas_internal_gemmt_kernelIlLi16ELi32ELi8ELc67ELc78ELc76ELb0ELb0EddPKdPdEviT_T9_T10_S3_lS5_S3_lS4_T11_S3_li.has_recursion, 0
	.set _ZL29rocblas_internal_gemmt_kernelIlLi16ELi32ELi8ELc67ELc78ELc76ELb0ELb0EddPKdPdEviT_T9_T10_S3_lS5_S3_lS4_T11_S3_li.has_indirect_call, 0
	.section	.AMDGPU.csdata,"",@progbits
; Kernel info:
; codeLenInByte = 1324
; TotalNumSgprs: 42
; NumVgprs: 54
; NumAgprs: 0
; TotalNumVgprs: 54
; ScratchSize: 0
; MemoryBound: 0
; FloatMode: 240
; IeeeMode: 1
; LDSByteSize: 4096 bytes/workgroup (compile time only)
; SGPRBlocks: 5
; VGPRBlocks: 6
; NumSGPRsForWavesPerEU: 42
; NumVGPRsForWavesPerEU: 54
; AccumOffset: 56
; Occupancy: 8
; WaveLimiterHint : 0
; COMPUTE_PGM_RSRC2:SCRATCH_EN: 0
; COMPUTE_PGM_RSRC2:USER_SGPR: 2
; COMPUTE_PGM_RSRC2:TRAP_HANDLER: 0
; COMPUTE_PGM_RSRC2:TGID_X_EN: 1
; COMPUTE_PGM_RSRC2:TGID_Y_EN: 1
; COMPUTE_PGM_RSRC2:TGID_Z_EN: 1
; COMPUTE_PGM_RSRC2:TIDIG_COMP_CNT: 1
; COMPUTE_PGM_RSRC3_GFX90A:ACCUM_OFFSET: 13
; COMPUTE_PGM_RSRC3_GFX90A:TG_SPLIT: 0
	.section	.text._ZL29rocblas_internal_gemmt_kernelIlLi16ELi32ELi8ELc67ELc84ELc76ELb0ELb0EddPKdPdEviT_T9_T10_S3_lS5_S3_lS4_T11_S3_li,"axG",@progbits,_ZL29rocblas_internal_gemmt_kernelIlLi16ELi32ELi8ELc67ELc84ELc76ELb0ELb0EddPKdPdEviT_T9_T10_S3_lS5_S3_lS4_T11_S3_li,comdat
	.globl	_ZL29rocblas_internal_gemmt_kernelIlLi16ELi32ELi8ELc67ELc84ELc76ELb0ELb0EddPKdPdEviT_T9_T10_S3_lS5_S3_lS4_T11_S3_li ; -- Begin function _ZL29rocblas_internal_gemmt_kernelIlLi16ELi32ELi8ELc67ELc84ELc76ELb0ELb0EddPKdPdEviT_T9_T10_S3_lS5_S3_lS4_T11_S3_li
	.p2align	8
	.type	_ZL29rocblas_internal_gemmt_kernelIlLi16ELi32ELi8ELc67ELc84ELc76ELb0ELb0EddPKdPdEviT_T9_T10_S3_lS5_S3_lS4_T11_S3_li,@function
_ZL29rocblas_internal_gemmt_kernelIlLi16ELi32ELi8ELc67ELc84ELc76ELb0ELb0EddPKdPdEviT_T9_T10_S3_lS5_S3_lS4_T11_S3_li: ; @_ZL29rocblas_internal_gemmt_kernelIlLi16ELi32ELi8ELc67ELc84ELc76ELb0ELb0EddPKdPdEviT_T9_T10_S3_lS5_S3_lS4_T11_S3_li
; %bb.0:
	s_load_dwordx8 s[24:31], s[0:1], 0x48
	s_load_dwordx16 s[8:23], s[0:1], 0x8
	s_waitcnt lgkmcnt(0)
	v_cmp_neq_f64_e64 s[6:7], s[24:25], 1.0
	s_and_b64 vcc, exec, s[6:7]
	s_cbranch_vccnz .LBB214_2
; %bb.1:
	s_cmp_lg_u64 s[8:9], 0
	s_cselect_b64 s[6:7], -1, 0
	v_cmp_neq_f64_e64 s[34:35], s[10:11], 0
	s_and_b64 s[6:7], s[6:7], s[34:35]
.LBB214_2:
	s_andn2_b64 vcc, exec, s[6:7]
	s_cbranch_vccnz .LBB214_28
; %bb.3:
	s_load_dword s33, s[0:1], 0x0
	s_lshl_b32 s5, s2, 5
	s_lshl_b32 s34, s3, 5
	v_cmp_eq_f64_e64 s[0:1], s[10:11], 0
	v_cmp_lt_i64_e64 s[2:3], s[8:9], 1
	s_or_b64 s[0:1], s[0:1], s[2:3]
	v_and_b32_e32 v7, 0x3ff, v0
	v_bfe_u32 v11, v0, 10, 10
	v_mov_b64_e32 v[8:9], 0
	s_and_b64 vcc, exec, s[0:1]
	v_mov_b64_e32 v[4:5], 0
	v_mov_b64_e32 v[2:3], 0
	;; [unrolled: 1-line block ×3, first 2 shown]
	s_cbranch_vccnz .LBB214_12
; %bb.4:
	s_mul_i32 s0, s23, s4
	s_mul_hi_u32 s1, s22, s4
	s_add_i32 s1, s1, s0
	s_mul_i32 s0, s22, s4
	s_lshl_b64 s[0:1], s[0:1], 3
	s_add_u32 s6, s18, s0
	s_addc_u32 s7, s19, s1
	s_mul_i32 s0, s17, s4
	s_mul_hi_u32 s1, s16, s4
	v_lshl_add_u32 v1, v11, 4, v7
	s_add_i32 s1, s1, s0
	s_mul_i32 s0, s16, s4
	v_lshrrev_b32_e32 v10, 5, v1
	v_lshrrev_b32_e32 v4, 3, v1
	v_and_b32_e32 v1, 31, v1
	s_lshl_b64 s[0:1], s[0:1], 3
	v_or_b32_e32 v2, s5, v1
	s_add_u32 s2, s12, s0
	v_lshlrev_b32_e32 v1, 3, v1
	s_addc_u32 s3, s13, s1
	s_waitcnt lgkmcnt(0)
	v_cmp_gt_i32_e64 s[0:1], s33, v2
	v_lshl_or_b32 v18, v10, 8, v1
	s_ashr_i32 s16, s5, 31
	v_mul_lo_u32 v1, s15, v2
	v_mad_u64_u32 v[2:3], s[12:13], s14, v2, 0
	v_and_b32_e32 v6, 7, v7
	s_mul_i32 s12, s14, s16
	v_add3_u32 v3, v3, s12, v1
	v_lshlrev_b32_e32 v1, 3, v6
	v_add_u32_e32 v0, s34, v4
	v_lshl_or_b32 v1, v4, 6, v1
	v_add_u32_e32 v19, 0x800, v1
	v_ashrrev_i32_e32 v1, 31, v0
	v_lshl_add_u64 v[12:13], v[2:3], 3, s[2:3]
	v_cmp_gt_i32_e64 s[2:3], s33, v0
	v_lshl_add_u64 v[14:15], v[0:1], 3, s[6:7]
	v_mov_b32_e32 v0, 0x800
	v_lshlrev_b32_e32 v20, 3, v7
	v_lshl_add_u32 v21, v11, 6, v0
	v_mov_b32_e32 v17, 0
	v_mov_b64_e32 v[0:1], 0
	s_mov_b64 s[6:7], 0
	v_mov_b64_e32 v[2:3], 0
	v_mov_b64_e32 v[4:5], 0
	;; [unrolled: 1-line block ×3, first 2 shown]
	s_branch .LBB214_6
.LBB214_5:                              ;   in Loop: Header=BB214_6 Depth=1
	s_or_b64 exec, exec, s[12:13]
	s_waitcnt vmcnt(0)
	ds_write_b64 v19, v[22:23]
	s_waitcnt lgkmcnt(0)
	s_barrier
	ds_read2_b64 v[22:25], v20 offset1:16
	ds_read_b128 v[26:29], v21
	ds_read_b128 v[30:33], v21 offset:16
	ds_read_b128 v[34:37], v21 offset:32
	;; [unrolled: 1-line block ×4, first 2 shown]
	ds_read2_b64 v[46:49], v20 offset0:32 offset1:48
	s_waitcnt lgkmcnt(5)
	v_fmac_f64_e32 v[8:9], v[22:23], v[26:27]
	v_fmac_f64_e32 v[4:5], v[24:25], v[26:27]
	ds_read_b128 v[50:53], v21 offset:1040
	s_waitcnt lgkmcnt(2)
	v_fmac_f64_e32 v[2:3], v[22:23], v[42:43]
	v_fmac_f64_e32 v[0:1], v[24:25], v[42:43]
	ds_read2_b64 v[22:25], v20 offset0:64 offset1:80
	s_waitcnt lgkmcnt(2)
	v_fmac_f64_e32 v[8:9], v[46:47], v[28:29]
	v_fmac_f64_e32 v[4:5], v[48:49], v[28:29]
	ds_read2_b64 v[26:29], v20 offset0:96 offset1:112
	v_fmac_f64_e32 v[2:3], v[46:47], v[44:45]
	v_fmac_f64_e32 v[0:1], v[48:49], v[44:45]
	s_waitcnt lgkmcnt(1)
	v_fmac_f64_e32 v[8:9], v[22:23], v[30:31]
	v_fmac_f64_e32 v[4:5], v[24:25], v[30:31]
	ds_read_b128 v[42:45], v21 offset:1072
	v_fmac_f64_e32 v[2:3], v[22:23], v[50:51]
	v_fmac_f64_e32 v[0:1], v[24:25], v[50:51]
	s_waitcnt lgkmcnt(1)
	v_fmac_f64_e32 v[8:9], v[26:27], v[32:33]
	ds_read2_b64 v[22:25], v20 offset0:128 offset1:144
	v_fmac_f64_e32 v[4:5], v[28:29], v[32:33]
	v_fmac_f64_e32 v[2:3], v[26:27], v[52:53]
	;; [unrolled: 1-line block ×3, first 2 shown]
	ds_read_b128 v[26:29], v21 offset:1056
	ds_read2_b64 v[30:33], v20 offset0:160 offset1:176
	s_waitcnt lgkmcnt(2)
	v_fmac_f64_e32 v[8:9], v[22:23], v[34:35]
	v_fmac_f64_e32 v[4:5], v[24:25], v[34:35]
	s_add_u32 s6, s6, 8
	s_waitcnt lgkmcnt(1)
	v_fmac_f64_e32 v[2:3], v[22:23], v[26:27]
	v_fmac_f64_e32 v[0:1], v[24:25], v[26:27]
	ds_read2_b64 v[22:25], v20 offset0:192 offset1:208
	s_waitcnt lgkmcnt(1)
	v_fmac_f64_e32 v[2:3], v[30:31], v[28:29]
	v_fmac_f64_e32 v[0:1], v[32:33], v[28:29]
	ds_read2_b64 v[26:29], v20 offset0:224 offset1:240
	v_fmac_f64_e32 v[8:9], v[30:31], v[36:37]
	s_addc_u32 s7, s7, 0
	v_fmac_f64_e32 v[4:5], v[32:33], v[36:37]
	s_waitcnt lgkmcnt(1)
	v_fmac_f64_e32 v[8:9], v[22:23], v[38:39]
	v_fmac_f64_e32 v[2:3], v[22:23], v[42:43]
	v_mov_b64_e32 v[22:23], s[6:7]
	v_fmac_f64_e32 v[4:5], v[24:25], v[38:39]
	v_fmac_f64_e32 v[0:1], v[24:25], v[42:43]
	v_cmp_gt_i64_e32 vcc, s[8:9], v[22:23]
	s_waitcnt lgkmcnt(0)
	v_fmac_f64_e32 v[8:9], v[26:27], v[40:41]
	v_fmac_f64_e32 v[4:5], v[28:29], v[40:41]
	;; [unrolled: 1-line block ×4, first 2 shown]
	s_barrier
	s_cbranch_vccz .LBB214_12
.LBB214_6:                              ; =>This Inner Loop Header: Depth=1
	v_mov_b64_e32 v[22:23], 0
	s_and_saveexec_b64 s[12:13], s[0:1]
	s_cbranch_execz .LBB214_10
; %bb.7:                                ;   in Loop: Header=BB214_6 Depth=1
	v_add_u32_e32 v16, s6, v10
	v_cmp_gt_u64_e32 vcc, s[8:9], v[16:17]
	v_mov_b64_e32 v[22:23], 0
	s_and_saveexec_b64 s[14:15], vcc
	s_cbranch_execz .LBB214_9
; %bb.8:                                ;   in Loop: Header=BB214_6 Depth=1
	v_lshl_add_u64 v[22:23], v[16:17], 3, v[12:13]
	global_load_dwordx2 v[22:23], v[22:23], off
.LBB214_9:                              ;   in Loop: Header=BB214_6 Depth=1
	s_or_b64 exec, exec, s[14:15]
.LBB214_10:                             ;   in Loop: Header=BB214_6 Depth=1
	s_or_b64 exec, exec, s[12:13]
	v_add_u32_e32 v16, s6, v6
	v_cmp_gt_u64_e32 vcc, s[8:9], v[16:17]
	s_waitcnt vmcnt(0)
	ds_write_b64 v18, v[22:23]
	s_and_b64 s[14:15], vcc, s[2:3]
	v_mov_b64_e32 v[22:23], 0
	s_and_saveexec_b64 s[12:13], s[14:15]
	s_cbranch_execz .LBB214_5
; %bb.11:                               ;   in Loop: Header=BB214_6 Depth=1
	v_mad_u64_u32 v[22:23], s[14:15], s20, v16, 0
	v_mov_b32_e32 v24, v23
	v_mad_u64_u32 v[24:25], s[14:15], s21, v16, v[24:25]
	v_mov_b32_e32 v23, v24
	v_lshl_add_u64 v[22:23], v[22:23], 3, v[14:15]
	global_load_dwordx2 v[22:23], v[22:23], off
	s_branch .LBB214_5
.LBB214_12:
	s_mul_i32 s0, s31, s4
	s_mul_hi_u32 s1, s30, s4
	s_add_i32 s1, s1, s0
	s_mul_i32 s0, s30, s4
	s_lshl_b64 s[0:1], s[0:1], 3
	s_add_u32 s6, s26, s0
	v_add_u32_e32 v14, s34, v11
	s_addc_u32 s7, s27, s1
	v_add_u32_e32 v6, s5, v7
	v_ashrrev_i32_e32 v7, 31, v14
	v_mad_u64_u32 v[10:11], s[0:1], s28, v14, 0
	v_mul_lo_u32 v7, s28, v7
	v_mul_lo_u32 v12, s29, v14
	v_cmp_neq_f64_e64 s[0:1], s[24:25], 0
	v_add3_u32 v11, v11, v7, v12
	v_cmp_le_i32_e32 vcc, v14, v6
	s_waitcnt lgkmcnt(0)
	v_cmp_gt_i32_e64 s[2:3], s33, v6
	v_cndmask_b32_e64 v12, 0, 1, s[0:1]
	v_lshl_add_u64 v[10:11], v[10:11], 3, s[6:7]
	s_and_b64 s[8:9], vcc, s[2:3]
	v_ashrrev_i32_e32 v7, 31, v6
	v_cmp_ne_u32_e64 s[0:1], 1, v12
	s_and_saveexec_b64 s[4:5], s[8:9]
	s_cbranch_execz .LBB214_16
; %bb.13:
	v_mul_f64 v[8:9], s[10:11], v[8:9]
	s_and_b64 vcc, exec, s[0:1]
	v_lshl_add_u64 v[12:13], v[6:7], 3, v[10:11]
	s_cbranch_vccnz .LBB214_15
; %bb.14:
	global_load_dwordx2 v[16:17], v[12:13], off
	s_waitcnt vmcnt(0)
	v_fmac_f64_e32 v[8:9], s[24:25], v[16:17]
.LBB214_15:
	global_store_dwordx2 v[12:13], v[8:9], off
.LBB214_16:
	s_or_b64 exec, exec, s[4:5]
	v_add_u32_e32 v8, 16, v6
	v_cmp_le_i32_e32 vcc, v14, v8
	v_cmp_gt_i32_e64 s[4:5], s33, v8
	s_and_b64 s[12:13], vcc, s[4:5]
	v_ashrrev_i32_e32 v9, 31, v8
	s_and_saveexec_b64 s[8:9], s[12:13]
	s_cbranch_execz .LBB214_20
; %bb.17:
	v_mul_f64 v[4:5], s[10:11], v[4:5]
	s_and_b64 vcc, exec, s[0:1]
	v_lshl_add_u64 v[10:11], v[8:9], 3, v[10:11]
	s_cbranch_vccnz .LBB214_19
; %bb.18:
	global_load_dwordx2 v[12:13], v[10:11], off
	s_waitcnt vmcnt(0)
	v_fmac_f64_e32 v[4:5], s[24:25], v[12:13]
.LBB214_19:
	global_store_dwordx2 v[10:11], v[4:5], off
.LBB214_20:
	s_or_b64 exec, exec, s[8:9]
	v_add_u32_e32 v10, 16, v14
	v_ashrrev_i32_e32 v4, 31, v10
	v_mul_lo_u32 v11, s28, v4
	v_mul_lo_u32 v12, s29, v10
	v_mad_u64_u32 v[4:5], s[8:9], s28, v10, 0
	v_add3_u32 v5, v5, v11, v12
	v_cmp_le_i32_e32 vcc, v10, v6
	v_lshl_add_u64 v[4:5], v[4:5], 3, s[6:7]
	s_and_b64 s[6:7], vcc, s[2:3]
	s_and_saveexec_b64 s[2:3], s[6:7]
	s_cbranch_execz .LBB214_24
; %bb.21:
	v_mul_f64 v[2:3], s[10:11], v[2:3]
	s_and_b64 vcc, exec, s[0:1]
	v_lshl_add_u64 v[6:7], v[6:7], 3, v[4:5]
	s_cbranch_vccnz .LBB214_23
; %bb.22:
	global_load_dwordx2 v[12:13], v[6:7], off
	s_waitcnt vmcnt(0)
	v_fmac_f64_e32 v[2:3], s[24:25], v[12:13]
.LBB214_23:
	global_store_dwordx2 v[6:7], v[2:3], off
.LBB214_24:
	s_or_b64 exec, exec, s[2:3]
	v_cmp_le_i32_e32 vcc, v10, v8
	s_and_b64 s[2:3], vcc, s[4:5]
	s_and_saveexec_b64 s[4:5], s[2:3]
	s_cbranch_execz .LBB214_28
; %bb.25:
	v_mul_f64 v[0:1], s[10:11], v[0:1]
	s_and_b64 vcc, exec, s[0:1]
	v_lshl_add_u64 v[2:3], v[8:9], 3, v[4:5]
	s_cbranch_vccnz .LBB214_27
; %bb.26:
	global_load_dwordx2 v[4:5], v[2:3], off
	s_waitcnt vmcnt(0)
	v_fmac_f64_e32 v[0:1], s[24:25], v[4:5]
.LBB214_27:
	global_store_dwordx2 v[2:3], v[0:1], off
.LBB214_28:
	s_endpgm
	.section	.rodata,"a",@progbits
	.p2align	6, 0x0
	.amdhsa_kernel _ZL29rocblas_internal_gemmt_kernelIlLi16ELi32ELi8ELc67ELc84ELc76ELb0ELb0EddPKdPdEviT_T9_T10_S3_lS5_S3_lS4_T11_S3_li
		.amdhsa_group_segment_fixed_size 4096
		.amdhsa_private_segment_fixed_size 0
		.amdhsa_kernarg_size 108
		.amdhsa_user_sgpr_count 2
		.amdhsa_user_sgpr_dispatch_ptr 0
		.amdhsa_user_sgpr_queue_ptr 0
		.amdhsa_user_sgpr_kernarg_segment_ptr 1
		.amdhsa_user_sgpr_dispatch_id 0
		.amdhsa_user_sgpr_kernarg_preload_length 0
		.amdhsa_user_sgpr_kernarg_preload_offset 0
		.amdhsa_user_sgpr_private_segment_size 0
		.amdhsa_uses_dynamic_stack 0
		.amdhsa_enable_private_segment 0
		.amdhsa_system_sgpr_workgroup_id_x 1
		.amdhsa_system_sgpr_workgroup_id_y 1
		.amdhsa_system_sgpr_workgroup_id_z 1
		.amdhsa_system_sgpr_workgroup_info 0
		.amdhsa_system_vgpr_workitem_id 1
		.amdhsa_next_free_vgpr 54
		.amdhsa_next_free_sgpr 36
		.amdhsa_accum_offset 56
		.amdhsa_reserve_vcc 1
		.amdhsa_float_round_mode_32 0
		.amdhsa_float_round_mode_16_64 0
		.amdhsa_float_denorm_mode_32 3
		.amdhsa_float_denorm_mode_16_64 3
		.amdhsa_dx10_clamp 1
		.amdhsa_ieee_mode 1
		.amdhsa_fp16_overflow 0
		.amdhsa_tg_split 0
		.amdhsa_exception_fp_ieee_invalid_op 0
		.amdhsa_exception_fp_denorm_src 0
		.amdhsa_exception_fp_ieee_div_zero 0
		.amdhsa_exception_fp_ieee_overflow 0
		.amdhsa_exception_fp_ieee_underflow 0
		.amdhsa_exception_fp_ieee_inexact 0
		.amdhsa_exception_int_div_zero 0
	.end_amdhsa_kernel
	.section	.text._ZL29rocblas_internal_gemmt_kernelIlLi16ELi32ELi8ELc67ELc84ELc76ELb0ELb0EddPKdPdEviT_T9_T10_S3_lS5_S3_lS4_T11_S3_li,"axG",@progbits,_ZL29rocblas_internal_gemmt_kernelIlLi16ELi32ELi8ELc67ELc84ELc76ELb0ELb0EddPKdPdEviT_T9_T10_S3_lS5_S3_lS4_T11_S3_li,comdat
.Lfunc_end214:
	.size	_ZL29rocblas_internal_gemmt_kernelIlLi16ELi32ELi8ELc67ELc84ELc76ELb0ELb0EddPKdPdEviT_T9_T10_S3_lS5_S3_lS4_T11_S3_li, .Lfunc_end214-_ZL29rocblas_internal_gemmt_kernelIlLi16ELi32ELi8ELc67ELc84ELc76ELb0ELb0EddPKdPdEviT_T9_T10_S3_lS5_S3_lS4_T11_S3_li
                                        ; -- End function
	.set _ZL29rocblas_internal_gemmt_kernelIlLi16ELi32ELi8ELc67ELc84ELc76ELb0ELb0EddPKdPdEviT_T9_T10_S3_lS5_S3_lS4_T11_S3_li.num_vgpr, 54
	.set _ZL29rocblas_internal_gemmt_kernelIlLi16ELi32ELi8ELc67ELc84ELc76ELb0ELb0EddPKdPdEviT_T9_T10_S3_lS5_S3_lS4_T11_S3_li.num_agpr, 0
	.set _ZL29rocblas_internal_gemmt_kernelIlLi16ELi32ELi8ELc67ELc84ELc76ELb0ELb0EddPKdPdEviT_T9_T10_S3_lS5_S3_lS4_T11_S3_li.numbered_sgpr, 36
	.set _ZL29rocblas_internal_gemmt_kernelIlLi16ELi32ELi8ELc67ELc84ELc76ELb0ELb0EddPKdPdEviT_T9_T10_S3_lS5_S3_lS4_T11_S3_li.num_named_barrier, 0
	.set _ZL29rocblas_internal_gemmt_kernelIlLi16ELi32ELi8ELc67ELc84ELc76ELb0ELb0EddPKdPdEviT_T9_T10_S3_lS5_S3_lS4_T11_S3_li.private_seg_size, 0
	.set _ZL29rocblas_internal_gemmt_kernelIlLi16ELi32ELi8ELc67ELc84ELc76ELb0ELb0EddPKdPdEviT_T9_T10_S3_lS5_S3_lS4_T11_S3_li.uses_vcc, 1
	.set _ZL29rocblas_internal_gemmt_kernelIlLi16ELi32ELi8ELc67ELc84ELc76ELb0ELb0EddPKdPdEviT_T9_T10_S3_lS5_S3_lS4_T11_S3_li.uses_flat_scratch, 0
	.set _ZL29rocblas_internal_gemmt_kernelIlLi16ELi32ELi8ELc67ELc84ELc76ELb0ELb0EddPKdPdEviT_T9_T10_S3_lS5_S3_lS4_T11_S3_li.has_dyn_sized_stack, 0
	.set _ZL29rocblas_internal_gemmt_kernelIlLi16ELi32ELi8ELc67ELc84ELc76ELb0ELb0EddPKdPdEviT_T9_T10_S3_lS5_S3_lS4_T11_S3_li.has_recursion, 0
	.set _ZL29rocblas_internal_gemmt_kernelIlLi16ELi32ELi8ELc67ELc84ELc76ELb0ELb0EddPKdPdEviT_T9_T10_S3_lS5_S3_lS4_T11_S3_li.has_indirect_call, 0
	.section	.AMDGPU.csdata,"",@progbits
; Kernel info:
; codeLenInByte = 1316
; TotalNumSgprs: 42
; NumVgprs: 54
; NumAgprs: 0
; TotalNumVgprs: 54
; ScratchSize: 0
; MemoryBound: 0
; FloatMode: 240
; IeeeMode: 1
; LDSByteSize: 4096 bytes/workgroup (compile time only)
; SGPRBlocks: 5
; VGPRBlocks: 6
; NumSGPRsForWavesPerEU: 42
; NumVGPRsForWavesPerEU: 54
; AccumOffset: 56
; Occupancy: 8
; WaveLimiterHint : 0
; COMPUTE_PGM_RSRC2:SCRATCH_EN: 0
; COMPUTE_PGM_RSRC2:USER_SGPR: 2
; COMPUTE_PGM_RSRC2:TRAP_HANDLER: 0
; COMPUTE_PGM_RSRC2:TGID_X_EN: 1
; COMPUTE_PGM_RSRC2:TGID_Y_EN: 1
; COMPUTE_PGM_RSRC2:TGID_Z_EN: 1
; COMPUTE_PGM_RSRC2:TIDIG_COMP_CNT: 1
; COMPUTE_PGM_RSRC3_GFX90A:ACCUM_OFFSET: 13
; COMPUTE_PGM_RSRC3_GFX90A:TG_SPLIT: 0
	.section	.text._ZL29rocblas_internal_gemmt_kernelIlLi16ELi32ELi8ELc67ELc67ELc76ELb0ELb0EddPKdPdEviT_T9_T10_S3_lS5_S3_lS4_T11_S3_li,"axG",@progbits,_ZL29rocblas_internal_gemmt_kernelIlLi16ELi32ELi8ELc67ELc67ELc76ELb0ELb0EddPKdPdEviT_T9_T10_S3_lS5_S3_lS4_T11_S3_li,comdat
	.globl	_ZL29rocblas_internal_gemmt_kernelIlLi16ELi32ELi8ELc67ELc67ELc76ELb0ELb0EddPKdPdEviT_T9_T10_S3_lS5_S3_lS4_T11_S3_li ; -- Begin function _ZL29rocblas_internal_gemmt_kernelIlLi16ELi32ELi8ELc67ELc67ELc76ELb0ELb0EddPKdPdEviT_T9_T10_S3_lS5_S3_lS4_T11_S3_li
	.p2align	8
	.type	_ZL29rocblas_internal_gemmt_kernelIlLi16ELi32ELi8ELc67ELc67ELc76ELb0ELb0EddPKdPdEviT_T9_T10_S3_lS5_S3_lS4_T11_S3_li,@function
_ZL29rocblas_internal_gemmt_kernelIlLi16ELi32ELi8ELc67ELc67ELc76ELb0ELb0EddPKdPdEviT_T9_T10_S3_lS5_S3_lS4_T11_S3_li: ; @_ZL29rocblas_internal_gemmt_kernelIlLi16ELi32ELi8ELc67ELc67ELc76ELb0ELb0EddPKdPdEviT_T9_T10_S3_lS5_S3_lS4_T11_S3_li
; %bb.0:
	s_load_dwordx8 s[24:31], s[0:1], 0x48
	s_load_dwordx16 s[8:23], s[0:1], 0x8
	s_waitcnt lgkmcnt(0)
	v_cmp_neq_f64_e64 s[6:7], s[24:25], 1.0
	s_and_b64 vcc, exec, s[6:7]
	s_cbranch_vccnz .LBB215_2
; %bb.1:
	s_cmp_lg_u64 s[8:9], 0
	s_cselect_b64 s[6:7], -1, 0
	v_cmp_neq_f64_e64 s[34:35], s[10:11], 0
	s_and_b64 s[6:7], s[6:7], s[34:35]
.LBB215_2:
	s_andn2_b64 vcc, exec, s[6:7]
	s_cbranch_vccnz .LBB215_28
; %bb.3:
	s_load_dword s33, s[0:1], 0x0
	s_lshl_b32 s5, s2, 5
	s_lshl_b32 s34, s3, 5
	v_cmp_eq_f64_e64 s[0:1], s[10:11], 0
	v_cmp_lt_i64_e64 s[2:3], s[8:9], 1
	s_or_b64 s[0:1], s[0:1], s[2:3]
	v_and_b32_e32 v7, 0x3ff, v0
	v_bfe_u32 v11, v0, 10, 10
	v_mov_b64_e32 v[8:9], 0
	s_and_b64 vcc, exec, s[0:1]
	v_mov_b64_e32 v[4:5], 0
	v_mov_b64_e32 v[2:3], 0
	v_mov_b64_e32 v[0:1], 0
	s_cbranch_vccnz .LBB215_12
; %bb.4:
	s_mul_i32 s0, s23, s4
	s_mul_hi_u32 s1, s22, s4
	s_add_i32 s1, s1, s0
	s_mul_i32 s0, s22, s4
	s_lshl_b64 s[0:1], s[0:1], 3
	s_add_u32 s6, s18, s0
	s_addc_u32 s7, s19, s1
	s_mul_i32 s0, s17, s4
	s_mul_hi_u32 s1, s16, s4
	v_lshl_add_u32 v1, v11, 4, v7
	s_add_i32 s1, s1, s0
	s_mul_i32 s0, s16, s4
	v_lshrrev_b32_e32 v10, 5, v1
	v_lshrrev_b32_e32 v4, 3, v1
	v_and_b32_e32 v1, 31, v1
	s_lshl_b64 s[0:1], s[0:1], 3
	v_or_b32_e32 v2, s5, v1
	s_add_u32 s2, s12, s0
	v_lshlrev_b32_e32 v1, 3, v1
	s_addc_u32 s3, s13, s1
	s_waitcnt lgkmcnt(0)
	v_cmp_gt_i32_e64 s[0:1], s33, v2
	v_lshl_or_b32 v18, v10, 8, v1
	s_ashr_i32 s16, s5, 31
	v_mul_lo_u32 v1, s15, v2
	v_mad_u64_u32 v[2:3], s[12:13], s14, v2, 0
	v_and_b32_e32 v6, 7, v7
	s_mul_i32 s12, s14, s16
	v_add3_u32 v3, v3, s12, v1
	v_lshlrev_b32_e32 v1, 3, v6
	v_add_u32_e32 v0, s34, v4
	v_lshl_or_b32 v1, v4, 6, v1
	v_add_u32_e32 v19, 0x800, v1
	v_ashrrev_i32_e32 v1, 31, v0
	v_lshl_add_u64 v[12:13], v[2:3], 3, s[2:3]
	v_cmp_gt_i32_e64 s[2:3], s33, v0
	v_lshl_add_u64 v[14:15], v[0:1], 3, s[6:7]
	v_mov_b32_e32 v0, 0x800
	v_lshlrev_b32_e32 v20, 3, v7
	v_lshl_add_u32 v21, v11, 6, v0
	v_mov_b32_e32 v17, 0
	v_mov_b64_e32 v[0:1], 0
	s_mov_b64 s[6:7], 0
	v_mov_b64_e32 v[2:3], 0
	v_mov_b64_e32 v[4:5], 0
	;; [unrolled: 1-line block ×3, first 2 shown]
	s_branch .LBB215_6
.LBB215_5:                              ;   in Loop: Header=BB215_6 Depth=1
	s_or_b64 exec, exec, s[12:13]
	s_waitcnt vmcnt(0)
	ds_write_b64 v19, v[22:23]
	s_waitcnt lgkmcnt(0)
	s_barrier
	ds_read2_b64 v[22:25], v20 offset1:16
	ds_read_b128 v[26:29], v21
	ds_read_b128 v[30:33], v21 offset:16
	ds_read_b128 v[34:37], v21 offset:32
	;; [unrolled: 1-line block ×4, first 2 shown]
	ds_read2_b64 v[46:49], v20 offset0:32 offset1:48
	s_waitcnt lgkmcnt(5)
	v_fmac_f64_e32 v[8:9], v[22:23], v[26:27]
	v_fmac_f64_e32 v[4:5], v[24:25], v[26:27]
	ds_read_b128 v[50:53], v21 offset:1040
	s_waitcnt lgkmcnt(2)
	v_fmac_f64_e32 v[2:3], v[22:23], v[42:43]
	v_fmac_f64_e32 v[0:1], v[24:25], v[42:43]
	ds_read2_b64 v[22:25], v20 offset0:64 offset1:80
	s_waitcnt lgkmcnt(2)
	v_fmac_f64_e32 v[8:9], v[46:47], v[28:29]
	v_fmac_f64_e32 v[4:5], v[48:49], v[28:29]
	ds_read2_b64 v[26:29], v20 offset0:96 offset1:112
	v_fmac_f64_e32 v[2:3], v[46:47], v[44:45]
	v_fmac_f64_e32 v[0:1], v[48:49], v[44:45]
	s_waitcnt lgkmcnt(1)
	v_fmac_f64_e32 v[8:9], v[22:23], v[30:31]
	v_fmac_f64_e32 v[4:5], v[24:25], v[30:31]
	ds_read_b128 v[42:45], v21 offset:1072
	v_fmac_f64_e32 v[2:3], v[22:23], v[50:51]
	v_fmac_f64_e32 v[0:1], v[24:25], v[50:51]
	s_waitcnt lgkmcnt(1)
	v_fmac_f64_e32 v[8:9], v[26:27], v[32:33]
	ds_read2_b64 v[22:25], v20 offset0:128 offset1:144
	v_fmac_f64_e32 v[4:5], v[28:29], v[32:33]
	v_fmac_f64_e32 v[2:3], v[26:27], v[52:53]
	;; [unrolled: 1-line block ×3, first 2 shown]
	ds_read_b128 v[26:29], v21 offset:1056
	ds_read2_b64 v[30:33], v20 offset0:160 offset1:176
	s_waitcnt lgkmcnt(2)
	v_fmac_f64_e32 v[8:9], v[22:23], v[34:35]
	v_fmac_f64_e32 v[4:5], v[24:25], v[34:35]
	s_add_u32 s6, s6, 8
	s_waitcnt lgkmcnt(1)
	v_fmac_f64_e32 v[2:3], v[22:23], v[26:27]
	v_fmac_f64_e32 v[0:1], v[24:25], v[26:27]
	ds_read2_b64 v[22:25], v20 offset0:192 offset1:208
	s_waitcnt lgkmcnt(1)
	v_fmac_f64_e32 v[2:3], v[30:31], v[28:29]
	v_fmac_f64_e32 v[0:1], v[32:33], v[28:29]
	ds_read2_b64 v[26:29], v20 offset0:224 offset1:240
	v_fmac_f64_e32 v[8:9], v[30:31], v[36:37]
	s_addc_u32 s7, s7, 0
	v_fmac_f64_e32 v[4:5], v[32:33], v[36:37]
	s_waitcnt lgkmcnt(1)
	v_fmac_f64_e32 v[8:9], v[22:23], v[38:39]
	v_fmac_f64_e32 v[2:3], v[22:23], v[42:43]
	v_mov_b64_e32 v[22:23], s[6:7]
	v_fmac_f64_e32 v[4:5], v[24:25], v[38:39]
	v_fmac_f64_e32 v[0:1], v[24:25], v[42:43]
	v_cmp_gt_i64_e32 vcc, s[8:9], v[22:23]
	s_waitcnt lgkmcnt(0)
	v_fmac_f64_e32 v[8:9], v[26:27], v[40:41]
	v_fmac_f64_e32 v[4:5], v[28:29], v[40:41]
	;; [unrolled: 1-line block ×4, first 2 shown]
	s_barrier
	s_cbranch_vccz .LBB215_12
.LBB215_6:                              ; =>This Inner Loop Header: Depth=1
	v_mov_b64_e32 v[22:23], 0
	s_and_saveexec_b64 s[12:13], s[0:1]
	s_cbranch_execz .LBB215_10
; %bb.7:                                ;   in Loop: Header=BB215_6 Depth=1
	v_add_u32_e32 v16, s6, v10
	v_cmp_gt_u64_e32 vcc, s[8:9], v[16:17]
	v_mov_b64_e32 v[22:23], 0
	s_and_saveexec_b64 s[14:15], vcc
	s_cbranch_execz .LBB215_9
; %bb.8:                                ;   in Loop: Header=BB215_6 Depth=1
	v_lshl_add_u64 v[22:23], v[16:17], 3, v[12:13]
	global_load_dwordx2 v[22:23], v[22:23], off
.LBB215_9:                              ;   in Loop: Header=BB215_6 Depth=1
	s_or_b64 exec, exec, s[14:15]
.LBB215_10:                             ;   in Loop: Header=BB215_6 Depth=1
	s_or_b64 exec, exec, s[12:13]
	v_add_u32_e32 v16, s6, v6
	v_cmp_gt_u64_e32 vcc, s[8:9], v[16:17]
	s_waitcnt vmcnt(0)
	ds_write_b64 v18, v[22:23]
	s_and_b64 s[14:15], vcc, s[2:3]
	v_mov_b64_e32 v[22:23], 0
	s_and_saveexec_b64 s[12:13], s[14:15]
	s_cbranch_execz .LBB215_5
; %bb.11:                               ;   in Loop: Header=BB215_6 Depth=1
	v_mad_u64_u32 v[22:23], s[14:15], s20, v16, 0
	v_mov_b32_e32 v24, v23
	v_mad_u64_u32 v[24:25], s[14:15], s21, v16, v[24:25]
	v_mov_b32_e32 v23, v24
	v_lshl_add_u64 v[22:23], v[22:23], 3, v[14:15]
	global_load_dwordx2 v[22:23], v[22:23], off
	s_branch .LBB215_5
.LBB215_12:
	s_mul_i32 s0, s31, s4
	s_mul_hi_u32 s1, s30, s4
	s_add_i32 s1, s1, s0
	s_mul_i32 s0, s30, s4
	s_lshl_b64 s[0:1], s[0:1], 3
	s_add_u32 s6, s26, s0
	v_add_u32_e32 v14, s34, v11
	s_addc_u32 s7, s27, s1
	v_add_u32_e32 v6, s5, v7
	v_ashrrev_i32_e32 v7, 31, v14
	v_mad_u64_u32 v[10:11], s[0:1], s28, v14, 0
	v_mul_lo_u32 v7, s28, v7
	v_mul_lo_u32 v12, s29, v14
	v_cmp_neq_f64_e64 s[0:1], s[24:25], 0
	v_add3_u32 v11, v11, v7, v12
	v_cmp_le_i32_e32 vcc, v14, v6
	s_waitcnt lgkmcnt(0)
	v_cmp_gt_i32_e64 s[2:3], s33, v6
	v_cndmask_b32_e64 v12, 0, 1, s[0:1]
	v_lshl_add_u64 v[10:11], v[10:11], 3, s[6:7]
	s_and_b64 s[8:9], vcc, s[2:3]
	v_ashrrev_i32_e32 v7, 31, v6
	v_cmp_ne_u32_e64 s[0:1], 1, v12
	s_and_saveexec_b64 s[4:5], s[8:9]
	s_cbranch_execz .LBB215_16
; %bb.13:
	v_mul_f64 v[8:9], s[10:11], v[8:9]
	s_and_b64 vcc, exec, s[0:1]
	v_lshl_add_u64 v[12:13], v[6:7], 3, v[10:11]
	s_cbranch_vccnz .LBB215_15
; %bb.14:
	global_load_dwordx2 v[16:17], v[12:13], off
	s_waitcnt vmcnt(0)
	v_fmac_f64_e32 v[8:9], s[24:25], v[16:17]
.LBB215_15:
	global_store_dwordx2 v[12:13], v[8:9], off
.LBB215_16:
	s_or_b64 exec, exec, s[4:5]
	v_add_u32_e32 v8, 16, v6
	v_cmp_le_i32_e32 vcc, v14, v8
	v_cmp_gt_i32_e64 s[4:5], s33, v8
	s_and_b64 s[12:13], vcc, s[4:5]
	v_ashrrev_i32_e32 v9, 31, v8
	s_and_saveexec_b64 s[8:9], s[12:13]
	s_cbranch_execz .LBB215_20
; %bb.17:
	v_mul_f64 v[4:5], s[10:11], v[4:5]
	s_and_b64 vcc, exec, s[0:1]
	v_lshl_add_u64 v[10:11], v[8:9], 3, v[10:11]
	s_cbranch_vccnz .LBB215_19
; %bb.18:
	global_load_dwordx2 v[12:13], v[10:11], off
	s_waitcnt vmcnt(0)
	v_fmac_f64_e32 v[4:5], s[24:25], v[12:13]
.LBB215_19:
	global_store_dwordx2 v[10:11], v[4:5], off
.LBB215_20:
	s_or_b64 exec, exec, s[8:9]
	v_add_u32_e32 v10, 16, v14
	v_ashrrev_i32_e32 v4, 31, v10
	v_mul_lo_u32 v11, s28, v4
	v_mul_lo_u32 v12, s29, v10
	v_mad_u64_u32 v[4:5], s[8:9], s28, v10, 0
	v_add3_u32 v5, v5, v11, v12
	v_cmp_le_i32_e32 vcc, v10, v6
	v_lshl_add_u64 v[4:5], v[4:5], 3, s[6:7]
	s_and_b64 s[6:7], vcc, s[2:3]
	s_and_saveexec_b64 s[2:3], s[6:7]
	s_cbranch_execz .LBB215_24
; %bb.21:
	v_mul_f64 v[2:3], s[10:11], v[2:3]
	s_and_b64 vcc, exec, s[0:1]
	v_lshl_add_u64 v[6:7], v[6:7], 3, v[4:5]
	s_cbranch_vccnz .LBB215_23
; %bb.22:
	global_load_dwordx2 v[12:13], v[6:7], off
	s_waitcnt vmcnt(0)
	v_fmac_f64_e32 v[2:3], s[24:25], v[12:13]
.LBB215_23:
	global_store_dwordx2 v[6:7], v[2:3], off
.LBB215_24:
	s_or_b64 exec, exec, s[2:3]
	v_cmp_le_i32_e32 vcc, v10, v8
	s_and_b64 s[2:3], vcc, s[4:5]
	s_and_saveexec_b64 s[4:5], s[2:3]
	s_cbranch_execz .LBB215_28
; %bb.25:
	v_mul_f64 v[0:1], s[10:11], v[0:1]
	s_and_b64 vcc, exec, s[0:1]
	v_lshl_add_u64 v[2:3], v[8:9], 3, v[4:5]
	s_cbranch_vccnz .LBB215_27
; %bb.26:
	global_load_dwordx2 v[4:5], v[2:3], off
	s_waitcnt vmcnt(0)
	v_fmac_f64_e32 v[0:1], s[24:25], v[4:5]
.LBB215_27:
	global_store_dwordx2 v[2:3], v[0:1], off
.LBB215_28:
	s_endpgm
	.section	.rodata,"a",@progbits
	.p2align	6, 0x0
	.amdhsa_kernel _ZL29rocblas_internal_gemmt_kernelIlLi16ELi32ELi8ELc67ELc67ELc76ELb0ELb0EddPKdPdEviT_T9_T10_S3_lS5_S3_lS4_T11_S3_li
		.amdhsa_group_segment_fixed_size 4096
		.amdhsa_private_segment_fixed_size 0
		.amdhsa_kernarg_size 108
		.amdhsa_user_sgpr_count 2
		.amdhsa_user_sgpr_dispatch_ptr 0
		.amdhsa_user_sgpr_queue_ptr 0
		.amdhsa_user_sgpr_kernarg_segment_ptr 1
		.amdhsa_user_sgpr_dispatch_id 0
		.amdhsa_user_sgpr_kernarg_preload_length 0
		.amdhsa_user_sgpr_kernarg_preload_offset 0
		.amdhsa_user_sgpr_private_segment_size 0
		.amdhsa_uses_dynamic_stack 0
		.amdhsa_enable_private_segment 0
		.amdhsa_system_sgpr_workgroup_id_x 1
		.amdhsa_system_sgpr_workgroup_id_y 1
		.amdhsa_system_sgpr_workgroup_id_z 1
		.amdhsa_system_sgpr_workgroup_info 0
		.amdhsa_system_vgpr_workitem_id 1
		.amdhsa_next_free_vgpr 54
		.amdhsa_next_free_sgpr 36
		.amdhsa_accum_offset 56
		.amdhsa_reserve_vcc 1
		.amdhsa_float_round_mode_32 0
		.amdhsa_float_round_mode_16_64 0
		.amdhsa_float_denorm_mode_32 3
		.amdhsa_float_denorm_mode_16_64 3
		.amdhsa_dx10_clamp 1
		.amdhsa_ieee_mode 1
		.amdhsa_fp16_overflow 0
		.amdhsa_tg_split 0
		.amdhsa_exception_fp_ieee_invalid_op 0
		.amdhsa_exception_fp_denorm_src 0
		.amdhsa_exception_fp_ieee_div_zero 0
		.amdhsa_exception_fp_ieee_overflow 0
		.amdhsa_exception_fp_ieee_underflow 0
		.amdhsa_exception_fp_ieee_inexact 0
		.amdhsa_exception_int_div_zero 0
	.end_amdhsa_kernel
	.section	.text._ZL29rocblas_internal_gemmt_kernelIlLi16ELi32ELi8ELc67ELc67ELc76ELb0ELb0EddPKdPdEviT_T9_T10_S3_lS5_S3_lS4_T11_S3_li,"axG",@progbits,_ZL29rocblas_internal_gemmt_kernelIlLi16ELi32ELi8ELc67ELc67ELc76ELb0ELb0EddPKdPdEviT_T9_T10_S3_lS5_S3_lS4_T11_S3_li,comdat
.Lfunc_end215:
	.size	_ZL29rocblas_internal_gemmt_kernelIlLi16ELi32ELi8ELc67ELc67ELc76ELb0ELb0EddPKdPdEviT_T9_T10_S3_lS5_S3_lS4_T11_S3_li, .Lfunc_end215-_ZL29rocblas_internal_gemmt_kernelIlLi16ELi32ELi8ELc67ELc67ELc76ELb0ELb0EddPKdPdEviT_T9_T10_S3_lS5_S3_lS4_T11_S3_li
                                        ; -- End function
	.set _ZL29rocblas_internal_gemmt_kernelIlLi16ELi32ELi8ELc67ELc67ELc76ELb0ELb0EddPKdPdEviT_T9_T10_S3_lS5_S3_lS4_T11_S3_li.num_vgpr, 54
	.set _ZL29rocblas_internal_gemmt_kernelIlLi16ELi32ELi8ELc67ELc67ELc76ELb0ELb0EddPKdPdEviT_T9_T10_S3_lS5_S3_lS4_T11_S3_li.num_agpr, 0
	.set _ZL29rocblas_internal_gemmt_kernelIlLi16ELi32ELi8ELc67ELc67ELc76ELb0ELb0EddPKdPdEviT_T9_T10_S3_lS5_S3_lS4_T11_S3_li.numbered_sgpr, 36
	.set _ZL29rocblas_internal_gemmt_kernelIlLi16ELi32ELi8ELc67ELc67ELc76ELb0ELb0EddPKdPdEviT_T9_T10_S3_lS5_S3_lS4_T11_S3_li.num_named_barrier, 0
	.set _ZL29rocblas_internal_gemmt_kernelIlLi16ELi32ELi8ELc67ELc67ELc76ELb0ELb0EddPKdPdEviT_T9_T10_S3_lS5_S3_lS4_T11_S3_li.private_seg_size, 0
	.set _ZL29rocblas_internal_gemmt_kernelIlLi16ELi32ELi8ELc67ELc67ELc76ELb0ELb0EddPKdPdEviT_T9_T10_S3_lS5_S3_lS4_T11_S3_li.uses_vcc, 1
	.set _ZL29rocblas_internal_gemmt_kernelIlLi16ELi32ELi8ELc67ELc67ELc76ELb0ELb0EddPKdPdEviT_T9_T10_S3_lS5_S3_lS4_T11_S3_li.uses_flat_scratch, 0
	.set _ZL29rocblas_internal_gemmt_kernelIlLi16ELi32ELi8ELc67ELc67ELc76ELb0ELb0EddPKdPdEviT_T9_T10_S3_lS5_S3_lS4_T11_S3_li.has_dyn_sized_stack, 0
	.set _ZL29rocblas_internal_gemmt_kernelIlLi16ELi32ELi8ELc67ELc67ELc76ELb0ELb0EddPKdPdEviT_T9_T10_S3_lS5_S3_lS4_T11_S3_li.has_recursion, 0
	.set _ZL29rocblas_internal_gemmt_kernelIlLi16ELi32ELi8ELc67ELc67ELc76ELb0ELb0EddPKdPdEviT_T9_T10_S3_lS5_S3_lS4_T11_S3_li.has_indirect_call, 0
	.section	.AMDGPU.csdata,"",@progbits
; Kernel info:
; codeLenInByte = 1316
; TotalNumSgprs: 42
; NumVgprs: 54
; NumAgprs: 0
; TotalNumVgprs: 54
; ScratchSize: 0
; MemoryBound: 0
; FloatMode: 240
; IeeeMode: 1
; LDSByteSize: 4096 bytes/workgroup (compile time only)
; SGPRBlocks: 5
; VGPRBlocks: 6
; NumSGPRsForWavesPerEU: 42
; NumVGPRsForWavesPerEU: 54
; AccumOffset: 56
; Occupancy: 8
; WaveLimiterHint : 0
; COMPUTE_PGM_RSRC2:SCRATCH_EN: 0
; COMPUTE_PGM_RSRC2:USER_SGPR: 2
; COMPUTE_PGM_RSRC2:TRAP_HANDLER: 0
; COMPUTE_PGM_RSRC2:TGID_X_EN: 1
; COMPUTE_PGM_RSRC2:TGID_Y_EN: 1
; COMPUTE_PGM_RSRC2:TGID_Z_EN: 1
; COMPUTE_PGM_RSRC2:TIDIG_COMP_CNT: 1
; COMPUTE_PGM_RSRC3_GFX90A:ACCUM_OFFSET: 13
; COMPUTE_PGM_RSRC3_GFX90A:TG_SPLIT: 0
	.section	.text._ZL29rocblas_internal_gemmt_kernelIlLi16ELi32ELi8ELc78ELc78ELc85ELb0ELb0E19rocblas_complex_numIfEPKS1_S3_PS1_EviT_T9_T10_S5_lS7_S5_lS6_T11_S5_li,"axG",@progbits,_ZL29rocblas_internal_gemmt_kernelIlLi16ELi32ELi8ELc78ELc78ELc85ELb0ELb0E19rocblas_complex_numIfEPKS1_S3_PS1_EviT_T9_T10_S5_lS7_S5_lS6_T11_S5_li,comdat
	.globl	_ZL29rocblas_internal_gemmt_kernelIlLi16ELi32ELi8ELc78ELc78ELc85ELb0ELb0E19rocblas_complex_numIfEPKS1_S3_PS1_EviT_T9_T10_S5_lS7_S5_lS6_T11_S5_li ; -- Begin function _ZL29rocblas_internal_gemmt_kernelIlLi16ELi32ELi8ELc78ELc78ELc85ELb0ELb0E19rocblas_complex_numIfEPKS1_S3_PS1_EviT_T9_T10_S5_lS7_S5_lS6_T11_S5_li
	.p2align	8
	.type	_ZL29rocblas_internal_gemmt_kernelIlLi16ELi32ELi8ELc78ELc78ELc85ELb0ELb0E19rocblas_complex_numIfEPKS1_S3_PS1_EviT_T9_T10_S5_lS7_S5_lS6_T11_S5_li,@function
_ZL29rocblas_internal_gemmt_kernelIlLi16ELi32ELi8ELc78ELc78ELc85ELb0ELb0E19rocblas_complex_numIfEPKS1_S3_PS1_EviT_T9_T10_S5_lS7_S5_lS6_T11_S5_li: ; @_ZL29rocblas_internal_gemmt_kernelIlLi16ELi32ELi8ELc78ELc78ELc85ELb0ELb0E19rocblas_complex_numIfEPKS1_S3_PS1_EviT_T9_T10_S5_lS7_S5_lS6_T11_S5_li
; %bb.0:
	s_load_dwordx8 s[24:31], s[0:1], 0x48
	s_load_dwordx16 s[8:23], s[0:1], 0x8
	s_waitcnt lgkmcnt(0)
	s_load_dwordx2 s[6:7], s[24:25], 0x0
	s_load_dwordx2 s[34:35], s[10:11], 0x0
	s_waitcnt lgkmcnt(0)
	s_and_b32 s5, s7, 0x7fffffff
	s_cmp_eq_u32 s5, 0
	v_cmp_eq_f32_e64 s[24:25], s6, 1.0
	s_cselect_b64 s[10:11], -1, 0
	s_and_b64 s[24:25], s[24:25], s[10:11]
	s_and_b64 vcc, exec, s[24:25]
	s_cbranch_vccnz .LBB216_2
; %bb.1:
	s_mov_b64 s[24:25], -1
	s_cbranch_execz .LBB216_3
	s_branch .LBB216_4
.LBB216_2:
	s_mov_b64 s[24:25], 0
.LBB216_3:
	s_cmp_lg_u64 s[8:9], 0
	v_cmp_neq_f32_e64 s[36:37], s34, 0
	v_cmp_neq_f32_e64 s[38:39], s35, 0
	s_cselect_b64 s[24:25], -1, 0
	s_or_b64 s[36:37], s[36:37], s[38:39]
	s_and_b64 s[24:25], s[24:25], s[36:37]
.LBB216_4:
	s_andn2_b64 vcc, exec, s[24:25]
	s_cbranch_vccnz .LBB216_30
; %bb.5:
	s_load_dword s24, s[0:1], 0x0
	s_lshl_b32 s25, s2, 5
	s_lshl_b32 s33, s3, 5
	v_cmp_eq_f32_e64 s[0:1], s34, 0
	v_cmp_eq_f32_e64 s[2:3], s35, 0
	s_and_b64 s[0:1], s[0:1], s[2:3]
	v_cmp_lt_i64_e64 s[2:3], s[8:9], 1
	s_or_b64 s[0:1], s[0:1], s[2:3]
	v_and_b32_e32 v9, 0x3ff, v0
	v_bfe_u32 v11, v0, 10, 10
	v_mov_b32_e32 v30, 0
	s_and_b64 vcc, exec, s[0:1]
	v_mov_b32_e32 v32, 0
	v_mov_b32_e32 v26, 0
	;; [unrolled: 1-line block ×7, first 2 shown]
	s_cbranch_vccnz .LBB216_14
; %bb.6:
	s_mul_i32 s0, s23, s4
	s_mul_hi_u32 s1, s22, s4
	s_add_i32 s1, s1, s0
	s_mul_i32 s0, s22, s4
	s_lshl_b64 s[0:1], s[0:1], 3
	s_add_u32 s18, s18, s0
	s_addc_u32 s19, s19, s1
	s_mul_i32 s0, s17, s4
	s_mul_hi_u32 s1, s16, s4
	v_lshl_add_u32 v0, v11, 4, v9
	s_add_i32 s1, s1, s0
	s_mul_i32 s0, s16, s4
	v_and_b32_e32 v1, 31, v0
	s_lshl_b64 s[0:1], s[0:1], 3
	v_lshrrev_b32_e32 v10, 5, v0
	v_lshrrev_b32_e32 v2, 3, v0
	v_or_b32_e32 v0, s25, v1
	s_add_u32 s2, s12, s0
	v_lshlrev_b32_e32 v1, 3, v1
	v_and_b32_e32 v8, 7, v9
	s_addc_u32 s3, s13, s1
	v_lshl_or_b32 v19, v10, 8, v1
	v_ashrrev_i32_e32 v1, 31, v0
	s_waitcnt lgkmcnt(0)
	v_cmp_gt_i32_e64 s[0:1], s24, v0
	v_lshl_add_u64 v[12:13], v[0:1], 3, s[2:3]
	v_lshlrev_b32_e32 v0, 3, v8
	v_add_u32_e32 v3, s33, v2
	v_lshl_or_b32 v0, v2, 6, v0
	v_add_u32_e32 v21, 0x800, v0
	v_ashrrev_i32_e32 v0, 31, v3
	v_mul_lo_u32 v2, s20, v0
	v_mul_lo_u32 v4, s21, v3
	v_mad_u64_u32 v[0:1], s[12:13], s20, v3, 0
	v_add3_u32 v1, v1, v2, v4
	v_lshl_add_u64 v[14:15], v[0:1], 3, s[18:19]
	v_mov_b32_e32 v0, 0x800
	v_cmp_gt_i32_e64 s[2:3], s24, v3
	v_lshlrev_b32_e32 v23, 3, v9
	v_lshl_add_u32 v25, v11, 6, v0
	v_mov_b32_e32 v17, 0
	s_mov_b64 s[12:13], 0
	v_mov_b32_e32 v20, 0
	v_mov_b32_e32 v18, 0
	;; [unrolled: 1-line block ×8, first 2 shown]
	s_branch .LBB216_8
.LBB216_7:                              ;   in Loop: Header=BB216_8 Depth=1
	s_or_b64 exec, exec, s[16:17]
	s_waitcnt vmcnt(0)
	ds_write_b64 v21, v[0:1]
	s_waitcnt lgkmcnt(0)
	s_barrier
	ds_read2_b64 v[34:37], v23 offset1:16
	ds_read_b128 v[38:41], v25
	ds_read_b128 v[42:45], v25 offset:16
	ds_read_b128 v[4:7], v25 offset:32
	;; [unrolled: 1-line block ×3, first 2 shown]
	s_add_u32 s12, s12, 8
	s_waitcnt lgkmcnt(3)
	v_mul_f32_e32 v16, v39, v35
	v_mul_f32_e32 v27, v38, v35
	v_fma_f32 v16, v38, v34, -v16
	v_fmac_f32_e32 v27, v39, v34
	v_add_f32_e32 v16, v30, v16
	v_add_f32_e32 v50, v32, v27
	ds_read_b128 v[30:33], v25 offset:1024
	v_mul_f32_e32 v27, v39, v37
	v_mul_f32_e32 v29, v38, v37
	v_fma_f32 v27, v38, v36, -v27
	v_fmac_f32_e32 v29, v39, v36
	v_add_f32_e32 v38, v26, v27
	v_add_f32_e32 v39, v28, v29
	ds_read_b128 v[26:29], v25 offset:1040
	s_waitcnt lgkmcnt(1)
	v_mul_f32_e32 v46, v31, v35
	v_fma_f32 v46, v30, v34, -v46
	v_add_f32_e32 v22, v22, v46
	ds_read2_b64 v[46:49], v23 offset0:32 offset1:48
	v_mul_f32_e32 v35, v30, v35
	v_fmac_f32_e32 v35, v31, v34
	v_mul_f32_e32 v34, v31, v37
	v_fma_f32 v34, v30, v36, -v34
	v_mul_f32_e32 v30, v30, v37
	v_fmac_f32_e32 v30, v31, v36
	v_add_f32_e32 v20, v20, v30
	s_waitcnt lgkmcnt(0)
	v_mul_f32_e32 v30, v41, v47
	v_mul_f32_e32 v31, v40, v47
	v_fma_f32 v30, v40, v46, -v30
	v_fmac_f32_e32 v31, v41, v46
	v_add_f32_e32 v18, v18, v34
	v_add_f32_e32 v16, v16, v30
	;; [unrolled: 1-line block ×3, first 2 shown]
	v_mul_f32_e32 v31, v41, v49
	v_mul_f32_e32 v34, v40, v49
	v_fma_f32 v31, v40, v48, -v31
	v_fmac_f32_e32 v34, v41, v48
	v_add_f32_e32 v31, v38, v31
	v_add_f32_e32 v38, v39, v34
	v_mul_f32_e32 v34, v33, v47
	v_add_f32_e32 v24, v24, v35
	v_fma_f32 v34, v32, v46, -v34
	v_mul_f32_e32 v35, v32, v47
	v_fmac_f32_e32 v35, v33, v46
	v_add_f32_e32 v22, v22, v34
	v_mul_f32_e32 v34, v33, v49
	v_add_f32_e32 v24, v24, v35
	v_fma_f32 v39, v32, v48, -v34
	ds_read2_b64 v[34:37], v23 offset0:64 offset1:80
	v_mul_f32_e32 v32, v32, v49
	v_fmac_f32_e32 v32, v33, v48
	v_add_f32_e32 v18, v18, v39
	v_add_f32_e32 v20, v20, v32
	s_waitcnt lgkmcnt(0)
	v_mul_f32_e32 v33, v42, v35
	v_fmac_f32_e32 v33, v43, v34
	v_add_f32_e32 v39, v30, v33
	v_mul_f32_e32 v30, v43, v37
	v_mul_f32_e32 v32, v43, v35
	v_fma_f32 v30, v42, v36, -v30
	v_fma_f32 v32, v42, v34, -v32
	v_add_f32_e32 v40, v31, v30
	v_mul_f32_e32 v30, v27, v35
	v_add_f32_e32 v16, v16, v32
	v_mul_f32_e32 v32, v42, v37
	v_fma_f32 v30, v26, v34, -v30
	v_mul_f32_e32 v31, v26, v35
	v_fmac_f32_e32 v32, v43, v36
	v_fmac_f32_e32 v31, v27, v34
	v_add_f32_e32 v22, v22, v30
	v_mul_f32_e32 v30, v27, v37
	v_add_f32_e32 v38, v38, v32
	v_add_f32_e32 v24, v24, v31
	v_fma_f32 v34, v26, v36, -v30
	ds_read2_b64 v[30:33], v23 offset0:96 offset1:112
	v_mul_f32_e32 v26, v26, v37
	v_fmac_f32_e32 v26, v27, v36
	v_add_f32_e32 v20, v20, v26
	v_add_f32_e32 v18, v18, v34
	s_waitcnt lgkmcnt(0)
	v_mul_f32_e32 v26, v45, v31
	v_mul_f32_e32 v27, v44, v31
	v_fma_f32 v26, v44, v30, -v26
	v_fmac_f32_e32 v27, v45, v30
	v_add_f32_e32 v16, v16, v26
	v_add_f32_e32 v26, v39, v27
	v_mul_f32_e32 v27, v45, v33
	v_mul_f32_e32 v34, v44, v33
	v_fma_f32 v27, v44, v32, -v27
	v_fmac_f32_e32 v34, v45, v32
	v_add_f32_e32 v39, v40, v27
	v_add_f32_e32 v38, v38, v34
	v_mul_f32_e32 v27, v29, v31
	ds_read2_b64 v[34:37], v23 offset0:128 offset1:144
	v_fma_f32 v27, v28, v30, -v27
	v_add_f32_e32 v22, v22, v27
	v_mul_f32_e32 v27, v29, v33
	v_mul_f32_e32 v31, v28, v31
	v_fma_f32 v27, v28, v32, -v27
	v_mul_f32_e32 v28, v28, v33
	v_fmac_f32_e32 v28, v29, v32
	v_add_f32_e32 v20, v20, v28
	s_waitcnt lgkmcnt(0)
	v_mul_f32_e32 v28, v4, v35
	v_add_f32_e32 v18, v18, v27
	v_mul_f32_e32 v27, v5, v35
	v_fmac_f32_e32 v28, v5, v34
	v_fma_f32 v27, v4, v34, -v27
	v_add_f32_e32 v42, v26, v28
	v_mul_f32_e32 v26, v5, v37
	v_fmac_f32_e32 v31, v29, v30
	v_add_f32_e32 v16, v16, v27
	v_fma_f32 v30, v4, v36, -v26
	ds_read_b128 v[26:29], v25 offset:1056
	v_mul_f32_e32 v4, v4, v37
	v_fmac_f32_e32 v4, v5, v36
	v_add_f32_e32 v5, v39, v30
	v_add_f32_e32 v4, v38, v4
	ds_read_b128 v[38:41], v25 offset:1072
	s_waitcnt lgkmcnt(1)
	v_mul_f32_e32 v30, v27, v35
	v_add_f32_e32 v24, v24, v31
	v_fma_f32 v30, v26, v34, -v30
	v_mul_f32_e32 v31, v26, v35
	v_fmac_f32_e32 v31, v27, v34
	v_add_f32_e32 v22, v22, v30
	v_mul_f32_e32 v30, v27, v37
	v_add_f32_e32 v24, v24, v31
	v_fma_f32 v34, v26, v36, -v30
	ds_read2_b64 v[30:33], v23 offset0:160 offset1:176
	v_mul_f32_e32 v26, v26, v37
	v_fmac_f32_e32 v26, v27, v36
	v_add_f32_e32 v20, v20, v26
	v_add_f32_e32 v18, v18, v34
	s_waitcnt lgkmcnt(0)
	v_mul_f32_e32 v26, v7, v31
	v_mul_f32_e32 v27, v6, v31
	v_fma_f32 v26, v6, v30, -v26
	v_fmac_f32_e32 v27, v7, v30
	v_add_f32_e32 v16, v16, v26
	v_add_f32_e32 v26, v42, v27
	v_mul_f32_e32 v27, v7, v33
	v_fma_f32 v27, v6, v32, -v27
	v_mul_f32_e32 v6, v6, v33
	v_fmac_f32_e32 v6, v7, v32
	v_add_f32_e32 v34, v4, v6
	v_mul_f32_e32 v4, v29, v31
	v_add_f32_e32 v27, v5, v27
	v_fma_f32 v4, v28, v30, -v4
	v_mul_f32_e32 v5, v28, v31
	v_fmac_f32_e32 v5, v29, v30
	v_add_f32_e32 v22, v22, v4
	v_mul_f32_e32 v4, v29, v33
	v_add_f32_e32 v24, v24, v5
	v_fma_f32 v30, v28, v32, -v4
	ds_read2_b64 v[4:7], v23 offset0:192 offset1:208
	v_mul_f32_e32 v28, v28, v33
	v_fmac_f32_e32 v28, v29, v32
	v_add_f32_e32 v20, v20, v28
	v_add_f32_e32 v18, v18, v30
	s_waitcnt lgkmcnt(0)
	v_mul_f32_e32 v28, v1, v5
	v_fma_f32 v28, v0, v4, -v28
	v_add_f32_e32 v16, v16, v28
	v_mul_f32_e32 v28, v1, v7
	v_mul_f32_e32 v29, v0, v5
	v_fma_f32 v28, v0, v6, -v28
	v_mul_f32_e32 v0, v0, v7
	v_fmac_f32_e32 v0, v1, v6
	v_add_f32_e32 v0, v34, v0
	ds_read2_b64 v[34:37], v23 offset0:224 offset1:240
	v_fmac_f32_e32 v29, v1, v4
	v_add_f32_e32 v1, v27, v28
	v_mul_f32_e32 v27, v39, v5
	v_fma_f32 v27, v38, v4, -v27
	v_mul_f32_e32 v5, v38, v5
	v_fmac_f32_e32 v5, v39, v4
	v_add_f32_e32 v4, v22, v27
	v_mul_f32_e32 v22, v39, v7
	v_fma_f32 v22, v38, v6, -v22
	v_mul_f32_e32 v7, v38, v7
	v_fmac_f32_e32 v7, v39, v6
	v_add_f32_e32 v6, v18, v22
	s_waitcnt lgkmcnt(0)
	v_mul_f32_e32 v18, v3, v35
	v_fma_f32 v18, v2, v34, -v18
	v_add_f32_e32 v30, v16, v18
	v_mul_f32_e32 v16, v3, v37
	v_add_f32_e32 v7, v20, v7
	v_mul_f32_e32 v20, v2, v35
	v_fma_f32 v16, v2, v36, -v16
	v_mul_f32_e32 v2, v2, v37
	v_add_f32_e32 v26, v26, v29
	v_fmac_f32_e32 v20, v3, v34
	v_fmac_f32_e32 v2, v3, v36
	v_add_f32_e32 v32, v26, v20
	v_add_f32_e32 v26, v1, v16
	;; [unrolled: 1-line block ×3, first 2 shown]
	v_mul_f32_e32 v0, v41, v35
	v_mul_f32_e32 v1, v40, v35
	v_add_f32_e32 v5, v24, v5
	v_fma_f32 v0, v40, v34, -v0
	v_fmac_f32_e32 v1, v41, v34
	v_add_f32_e32 v22, v4, v0
	v_add_f32_e32 v24, v5, v1
	v_mul_f32_e32 v0, v41, v37
	v_mul_f32_e32 v1, v40, v37
	v_fma_f32 v0, v40, v36, -v0
	v_fmac_f32_e32 v1, v41, v36
	s_addc_u32 s13, s13, 0
	v_add_f32_e32 v18, v6, v0
	v_add_f32_e32 v20, v7, v1
	v_mov_b64_e32 v[0:1], s[12:13]
	v_cmp_gt_i64_e32 vcc, s[8:9], v[0:1]
	s_barrier
	s_cbranch_vccz .LBB216_14
.LBB216_8:                              ; =>This Inner Loop Header: Depth=1
	v_mov_b32_e32 v0, 0
	v_mov_b32_e32 v1, 0
	s_and_saveexec_b64 s[16:17], s[0:1]
	s_cbranch_execz .LBB216_12
; %bb.9:                                ;   in Loop: Header=BB216_8 Depth=1
	v_add_u32_e32 v16, s12, v10
	v_cmp_gt_u64_e32 vcc, s[8:9], v[16:17]
	v_mov_b32_e32 v1, 0
	v_mov_b32_e32 v0, 0
	s_and_saveexec_b64 s[18:19], vcc
	s_cbranch_execz .LBB216_11
; %bb.10:                               ;   in Loop: Header=BB216_8 Depth=1
	v_mad_u64_u32 v[0:1], s[20:21], s14, v16, 0
	v_mov_b32_e32 v2, v1
	v_mad_u64_u32 v[2:3], s[20:21], s15, v16, v[2:3]
	v_mov_b32_e32 v1, v2
	v_lshl_add_u64 v[0:1], v[0:1], 3, v[12:13]
	global_load_dwordx2 v[0:1], v[0:1], off
.LBB216_11:                             ;   in Loop: Header=BB216_8 Depth=1
	s_or_b64 exec, exec, s[18:19]
.LBB216_12:                             ;   in Loop: Header=BB216_8 Depth=1
	s_or_b64 exec, exec, s[16:17]
	v_add_u32_e32 v16, s12, v8
	v_cmp_gt_u64_e32 vcc, s[8:9], v[16:17]
	s_waitcnt vmcnt(0)
	ds_write_b64 v19, v[0:1]
	s_and_b64 s[18:19], vcc, s[2:3]
	v_mov_b32_e32 v0, 0
	v_mov_b32_e32 v1, 0
	s_and_saveexec_b64 s[16:17], s[18:19]
	s_cbranch_execz .LBB216_7
; %bb.13:                               ;   in Loop: Header=BB216_8 Depth=1
	v_lshl_add_u64 v[0:1], v[16:17], 3, v[14:15]
	global_load_dwordx2 v[0:1], v[0:1], off
	s_branch .LBB216_7
.LBB216_14:
	s_mul_i32 s0, s31, s4
	s_mul_hi_u32 s1, s30, s4
	s_add_i32 s1, s1, s0
	s_mul_i32 s0, s30, s4
	s_lshl_b64 s[0:1], s[0:1], 3
	v_add_u32_e32 v10, s33, v11
	s_add_u32 s4, s26, s0
	v_ashrrev_i32_e32 v1, 31, v10
	s_addc_u32 s5, s27, s1
	v_cmp_neq_f32_e64 s[0:1], s6, 0
	s_xor_b64 s[8:9], s[10:11], -1
	v_mul_lo_u32 v1, s28, v1
	v_mul_lo_u32 v4, s29, v10
	v_mad_u64_u32 v[2:3], s[10:11], s28, v10, 0
	v_add_u32_e32 v0, s25, v9
	v_add3_u32 v3, v3, v1, v4
	s_or_b64 s[0:1], s[0:1], s[8:9]
	s_waitcnt lgkmcnt(0)
	v_cmp_gt_i32_e64 s[2:3], s24, v10
	v_lshl_add_u64 v[4:5], v[2:3], 3, s[4:5]
	v_cmp_le_i32_e32 vcc, v0, v10
	v_cndmask_b32_e64 v2, 0, 1, s[0:1]
	s_and_b64 s[10:11], s[2:3], vcc
	v_ashrrev_i32_e32 v1, 31, v0
	v_cmp_ne_u32_e64 s[0:1], 1, v2
	s_and_saveexec_b64 s[8:9], s[10:11]
	s_cbranch_execz .LBB216_18
; %bb.15:
	v_pk_mul_f32 v[6:7], v[32:33], s[34:35] op_sel:[0,1] op_sel_hi:[0,0]
	v_pk_fma_f32 v[2:3], v[30:31], s[34:35], v[6:7] op_sel_hi:[0,1,1] neg_lo:[0,0,1] neg_hi:[0,0,1]
	v_pk_fma_f32 v[8:9], v[30:31], s[34:35], v[6:7] op_sel_hi:[0,1,1]
	s_and_b64 vcc, exec, s[0:1]
	v_lshl_add_u64 v[6:7], v[0:1], 3, v[4:5]
	s_cbranch_vccnz .LBB216_17
; %bb.16:
	global_load_dwordx2 v[12:13], v[6:7], off
	s_mov_b32 s10, s7
	v_mov_b32_e32 v3, v9
	s_waitcnt vmcnt(0)
	v_pk_mul_f32 v[8:9], v[12:13], s[10:11] op_sel:[1,0] op_sel_hi:[0,0]
	v_pk_fma_f32 v[14:15], v[12:13], s[6:7], v[8:9] neg_lo:[0,0,1] neg_hi:[0,0,1]
	v_pk_fma_f32 v[8:9], v[12:13], s[6:7], v[8:9] op_sel_hi:[1,0,1]
	s_nop 0
	v_mov_b32_e32 v15, v9
	v_pk_add_f32 v[2:3], v[2:3], v[14:15]
	s_nop 0
	v_mov_b32_e32 v9, v3
.LBB216_17:
	v_mov_b32_e32 v3, v9
	global_store_dwordx2 v[6:7], v[2:3], off
.LBB216_18:
	s_or_b64 exec, exec, s[8:9]
	v_add_u32_e32 v2, 16, v0
	v_cmp_le_i32_e32 vcc, v2, v10
	s_and_b64 s[8:9], s[2:3], vcc
	v_ashrrev_i32_e32 v3, 31, v2
	s_and_saveexec_b64 s[2:3], s[8:9]
	s_cbranch_execz .LBB216_22
; %bb.19:
	v_pk_mul_f32 v[8:9], v[28:29], s[34:35] op_sel:[0,1] op_sel_hi:[0,0]
	v_pk_fma_f32 v[6:7], v[26:27], s[34:35], v[8:9] op_sel_hi:[0,1,1] neg_lo:[0,0,1] neg_hi:[0,0,1]
	v_pk_fma_f32 v[8:9], v[26:27], s[34:35], v[8:9] op_sel_hi:[0,1,1]
	s_and_b64 vcc, exec, s[0:1]
	v_lshl_add_u64 v[4:5], v[2:3], 3, v[4:5]
	s_cbranch_vccnz .LBB216_21
; %bb.20:
	global_load_dwordx2 v[12:13], v[4:5], off
	s_mov_b32 s8, s7
	v_mov_b32_e32 v7, v9
	s_waitcnt vmcnt(0)
	v_pk_mul_f32 v[8:9], v[12:13], s[8:9] op_sel:[1,0] op_sel_hi:[0,0]
	v_pk_fma_f32 v[14:15], v[12:13], s[6:7], v[8:9] neg_lo:[0,0,1] neg_hi:[0,0,1]
	v_pk_fma_f32 v[8:9], v[12:13], s[6:7], v[8:9] op_sel_hi:[1,0,1]
	s_nop 0
	v_mov_b32_e32 v15, v9
	v_pk_add_f32 v[6:7], v[6:7], v[14:15]
	s_nop 0
	v_mov_b32_e32 v9, v7
.LBB216_21:
	v_mov_b32_e32 v7, v9
	global_store_dwordx2 v[4:5], v[6:7], off
.LBB216_22:
	s_or_b64 exec, exec, s[2:3]
	v_add_u32_e32 v10, 16, v10
	v_ashrrev_i32_e32 v4, 31, v10
	v_mul_lo_u32 v6, s28, v4
	v_mul_lo_u32 v7, s29, v10
	v_mad_u64_u32 v[4:5], s[8:9], s28, v10, 0
	v_cmp_gt_i32_e64 s[2:3], s24, v10
	v_add3_u32 v5, v5, v6, v7
	v_cmp_le_i32_e32 vcc, v0, v10
	v_lshl_add_u64 v[4:5], v[4:5], 3, s[4:5]
	s_and_b64 s[8:9], s[2:3], vcc
	s_and_saveexec_b64 s[4:5], s[8:9]
	s_cbranch_execz .LBB216_26
; %bb.23:
	v_pk_mul_f32 v[8:9], v[24:25], s[34:35] op_sel:[0,1] op_sel_hi:[0,0]
	v_pk_fma_f32 v[6:7], v[22:23], s[34:35], v[8:9] op_sel_hi:[0,1,1] neg_lo:[0,0,1] neg_hi:[0,0,1]
	v_pk_fma_f32 v[8:9], v[22:23], s[34:35], v[8:9] op_sel_hi:[0,1,1]
	s_and_b64 vcc, exec, s[0:1]
	v_lshl_add_u64 v[0:1], v[0:1], 3, v[4:5]
	s_cbranch_vccnz .LBB216_25
; %bb.24:
	global_load_dwordx2 v[12:13], v[0:1], off
	s_mov_b32 s8, s7
	v_mov_b32_e32 v7, v9
	s_waitcnt vmcnt(0)
	v_pk_mul_f32 v[8:9], v[12:13], s[8:9] op_sel:[1,0] op_sel_hi:[0,0]
	v_pk_fma_f32 v[14:15], v[12:13], s[6:7], v[8:9] neg_lo:[0,0,1] neg_hi:[0,0,1]
	v_pk_fma_f32 v[8:9], v[12:13], s[6:7], v[8:9] op_sel_hi:[1,0,1]
	s_nop 0
	v_mov_b32_e32 v15, v9
	v_pk_add_f32 v[6:7], v[6:7], v[14:15]
	s_nop 0
	v_mov_b32_e32 v9, v7
.LBB216_25:
	v_mov_b32_e32 v7, v9
	global_store_dwordx2 v[0:1], v[6:7], off
.LBB216_26:
	s_or_b64 exec, exec, s[4:5]
	v_cmp_le_i32_e32 vcc, v2, v10
	s_and_b64 s[2:3], s[2:3], vcc
	s_and_saveexec_b64 s[4:5], s[2:3]
	s_cbranch_execz .LBB216_30
; %bb.27:
	v_pk_mul_f32 v[6:7], v[20:21], s[34:35] op_sel:[0,1] op_sel_hi:[0,0]
	v_pk_fma_f32 v[0:1], v[18:19], s[34:35], v[6:7] op_sel_hi:[0,1,1] neg_lo:[0,0,1] neg_hi:[0,0,1]
	v_pk_fma_f32 v[6:7], v[18:19], s[34:35], v[6:7] op_sel_hi:[0,1,1]
	s_and_b64 vcc, exec, s[0:1]
	v_lshl_add_u64 v[2:3], v[2:3], 3, v[4:5]
	s_cbranch_vccnz .LBB216_29
; %bb.28:
	global_load_dwordx2 v[4:5], v[2:3], off
	s_mov_b32 s0, s7
	v_mov_b32_e32 v1, v7
	s_waitcnt vmcnt(0)
	v_pk_mul_f32 v[6:7], v[4:5], s[0:1] op_sel:[1,0] op_sel_hi:[0,0]
	v_pk_fma_f32 v[8:9], v[4:5], s[6:7], v[6:7] neg_lo:[0,0,1] neg_hi:[0,0,1]
	v_pk_fma_f32 v[4:5], v[4:5], s[6:7], v[6:7] op_sel_hi:[1,0,1]
	s_nop 0
	v_mov_b32_e32 v9, v5
	v_pk_add_f32 v[0:1], v[0:1], v[8:9]
	s_nop 0
	v_mov_b32_e32 v7, v1
.LBB216_29:
	v_mov_b32_e32 v1, v7
	global_store_dwordx2 v[2:3], v[0:1], off
.LBB216_30:
	s_endpgm
	.section	.rodata,"a",@progbits
	.p2align	6, 0x0
	.amdhsa_kernel _ZL29rocblas_internal_gemmt_kernelIlLi16ELi32ELi8ELc78ELc78ELc85ELb0ELb0E19rocblas_complex_numIfEPKS1_S3_PS1_EviT_T9_T10_S5_lS7_S5_lS6_T11_S5_li
		.amdhsa_group_segment_fixed_size 4096
		.amdhsa_private_segment_fixed_size 0
		.amdhsa_kernarg_size 108
		.amdhsa_user_sgpr_count 2
		.amdhsa_user_sgpr_dispatch_ptr 0
		.amdhsa_user_sgpr_queue_ptr 0
		.amdhsa_user_sgpr_kernarg_segment_ptr 1
		.amdhsa_user_sgpr_dispatch_id 0
		.amdhsa_user_sgpr_kernarg_preload_length 0
		.amdhsa_user_sgpr_kernarg_preload_offset 0
		.amdhsa_user_sgpr_private_segment_size 0
		.amdhsa_uses_dynamic_stack 0
		.amdhsa_enable_private_segment 0
		.amdhsa_system_sgpr_workgroup_id_x 1
		.amdhsa_system_sgpr_workgroup_id_y 1
		.amdhsa_system_sgpr_workgroup_id_z 1
		.amdhsa_system_sgpr_workgroup_info 0
		.amdhsa_system_vgpr_workitem_id 1
		.amdhsa_next_free_vgpr 51
		.amdhsa_next_free_sgpr 40
		.amdhsa_accum_offset 52
		.amdhsa_reserve_vcc 1
		.amdhsa_float_round_mode_32 0
		.amdhsa_float_round_mode_16_64 0
		.amdhsa_float_denorm_mode_32 3
		.amdhsa_float_denorm_mode_16_64 3
		.amdhsa_dx10_clamp 1
		.amdhsa_ieee_mode 1
		.amdhsa_fp16_overflow 0
		.amdhsa_tg_split 0
		.amdhsa_exception_fp_ieee_invalid_op 0
		.amdhsa_exception_fp_denorm_src 0
		.amdhsa_exception_fp_ieee_div_zero 0
		.amdhsa_exception_fp_ieee_overflow 0
		.amdhsa_exception_fp_ieee_underflow 0
		.amdhsa_exception_fp_ieee_inexact 0
		.amdhsa_exception_int_div_zero 0
	.end_amdhsa_kernel
	.section	.text._ZL29rocblas_internal_gemmt_kernelIlLi16ELi32ELi8ELc78ELc78ELc85ELb0ELb0E19rocblas_complex_numIfEPKS1_S3_PS1_EviT_T9_T10_S5_lS7_S5_lS6_T11_S5_li,"axG",@progbits,_ZL29rocblas_internal_gemmt_kernelIlLi16ELi32ELi8ELc78ELc78ELc85ELb0ELb0E19rocblas_complex_numIfEPKS1_S3_PS1_EviT_T9_T10_S5_lS7_S5_lS6_T11_S5_li,comdat
.Lfunc_end216:
	.size	_ZL29rocblas_internal_gemmt_kernelIlLi16ELi32ELi8ELc78ELc78ELc85ELb0ELb0E19rocblas_complex_numIfEPKS1_S3_PS1_EviT_T9_T10_S5_lS7_S5_lS6_T11_S5_li, .Lfunc_end216-_ZL29rocblas_internal_gemmt_kernelIlLi16ELi32ELi8ELc78ELc78ELc85ELb0ELb0E19rocblas_complex_numIfEPKS1_S3_PS1_EviT_T9_T10_S5_lS7_S5_lS6_T11_S5_li
                                        ; -- End function
	.set _ZL29rocblas_internal_gemmt_kernelIlLi16ELi32ELi8ELc78ELc78ELc85ELb0ELb0E19rocblas_complex_numIfEPKS1_S3_PS1_EviT_T9_T10_S5_lS7_S5_lS6_T11_S5_li.num_vgpr, 51
	.set _ZL29rocblas_internal_gemmt_kernelIlLi16ELi32ELi8ELc78ELc78ELc85ELb0ELb0E19rocblas_complex_numIfEPKS1_S3_PS1_EviT_T9_T10_S5_lS7_S5_lS6_T11_S5_li.num_agpr, 0
	.set _ZL29rocblas_internal_gemmt_kernelIlLi16ELi32ELi8ELc78ELc78ELc85ELb0ELb0E19rocblas_complex_numIfEPKS1_S3_PS1_EviT_T9_T10_S5_lS7_S5_lS6_T11_S5_li.numbered_sgpr, 40
	.set _ZL29rocblas_internal_gemmt_kernelIlLi16ELi32ELi8ELc78ELc78ELc85ELb0ELb0E19rocblas_complex_numIfEPKS1_S3_PS1_EviT_T9_T10_S5_lS7_S5_lS6_T11_S5_li.num_named_barrier, 0
	.set _ZL29rocblas_internal_gemmt_kernelIlLi16ELi32ELi8ELc78ELc78ELc85ELb0ELb0E19rocblas_complex_numIfEPKS1_S3_PS1_EviT_T9_T10_S5_lS7_S5_lS6_T11_S5_li.private_seg_size, 0
	.set _ZL29rocblas_internal_gemmt_kernelIlLi16ELi32ELi8ELc78ELc78ELc85ELb0ELb0E19rocblas_complex_numIfEPKS1_S3_PS1_EviT_T9_T10_S5_lS7_S5_lS6_T11_S5_li.uses_vcc, 1
	.set _ZL29rocblas_internal_gemmt_kernelIlLi16ELi32ELi8ELc78ELc78ELc85ELb0ELb0E19rocblas_complex_numIfEPKS1_S3_PS1_EviT_T9_T10_S5_lS7_S5_lS6_T11_S5_li.uses_flat_scratch, 0
	.set _ZL29rocblas_internal_gemmt_kernelIlLi16ELi32ELi8ELc78ELc78ELc85ELb0ELb0E19rocblas_complex_numIfEPKS1_S3_PS1_EviT_T9_T10_S5_lS7_S5_lS6_T11_S5_li.has_dyn_sized_stack, 0
	.set _ZL29rocblas_internal_gemmt_kernelIlLi16ELi32ELi8ELc78ELc78ELc85ELb0ELb0E19rocblas_complex_numIfEPKS1_S3_PS1_EviT_T9_T10_S5_lS7_S5_lS6_T11_S5_li.has_recursion, 0
	.set _ZL29rocblas_internal_gemmt_kernelIlLi16ELi32ELi8ELc78ELc78ELc85ELb0ELb0E19rocblas_complex_numIfEPKS1_S3_PS1_EviT_T9_T10_S5_lS7_S5_lS6_T11_S5_li.has_indirect_call, 0
	.section	.AMDGPU.csdata,"",@progbits
; Kernel info:
; codeLenInByte = 2508
; TotalNumSgprs: 46
; NumVgprs: 51
; NumAgprs: 0
; TotalNumVgprs: 51
; ScratchSize: 0
; MemoryBound: 0
; FloatMode: 240
; IeeeMode: 1
; LDSByteSize: 4096 bytes/workgroup (compile time only)
; SGPRBlocks: 5
; VGPRBlocks: 6
; NumSGPRsForWavesPerEU: 46
; NumVGPRsForWavesPerEU: 51
; AccumOffset: 52
; Occupancy: 8
; WaveLimiterHint : 0
; COMPUTE_PGM_RSRC2:SCRATCH_EN: 0
; COMPUTE_PGM_RSRC2:USER_SGPR: 2
; COMPUTE_PGM_RSRC2:TRAP_HANDLER: 0
; COMPUTE_PGM_RSRC2:TGID_X_EN: 1
; COMPUTE_PGM_RSRC2:TGID_Y_EN: 1
; COMPUTE_PGM_RSRC2:TGID_Z_EN: 1
; COMPUTE_PGM_RSRC2:TIDIG_COMP_CNT: 1
; COMPUTE_PGM_RSRC3_GFX90A:ACCUM_OFFSET: 12
; COMPUTE_PGM_RSRC3_GFX90A:TG_SPLIT: 0
	.section	.text._ZL29rocblas_internal_gemmt_kernelIlLi16ELi32ELi8ELc78ELc84ELc85ELb0ELb0E19rocblas_complex_numIfEPKS1_S3_PS1_EviT_T9_T10_S5_lS7_S5_lS6_T11_S5_li,"axG",@progbits,_ZL29rocblas_internal_gemmt_kernelIlLi16ELi32ELi8ELc78ELc84ELc85ELb0ELb0E19rocblas_complex_numIfEPKS1_S3_PS1_EviT_T9_T10_S5_lS7_S5_lS6_T11_S5_li,comdat
	.globl	_ZL29rocblas_internal_gemmt_kernelIlLi16ELi32ELi8ELc78ELc84ELc85ELb0ELb0E19rocblas_complex_numIfEPKS1_S3_PS1_EviT_T9_T10_S5_lS7_S5_lS6_T11_S5_li ; -- Begin function _ZL29rocblas_internal_gemmt_kernelIlLi16ELi32ELi8ELc78ELc84ELc85ELb0ELb0E19rocblas_complex_numIfEPKS1_S3_PS1_EviT_T9_T10_S5_lS7_S5_lS6_T11_S5_li
	.p2align	8
	.type	_ZL29rocblas_internal_gemmt_kernelIlLi16ELi32ELi8ELc78ELc84ELc85ELb0ELb0E19rocblas_complex_numIfEPKS1_S3_PS1_EviT_T9_T10_S5_lS7_S5_lS6_T11_S5_li,@function
_ZL29rocblas_internal_gemmt_kernelIlLi16ELi32ELi8ELc78ELc84ELc85ELb0ELb0E19rocblas_complex_numIfEPKS1_S3_PS1_EviT_T9_T10_S5_lS7_S5_lS6_T11_S5_li: ; @_ZL29rocblas_internal_gemmt_kernelIlLi16ELi32ELi8ELc78ELc84ELc85ELb0ELb0E19rocblas_complex_numIfEPKS1_S3_PS1_EviT_T9_T10_S5_lS7_S5_lS6_T11_S5_li
; %bb.0:
	s_load_dwordx8 s[24:31], s[0:1], 0x48
	s_load_dwordx16 s[8:23], s[0:1], 0x8
	s_waitcnt lgkmcnt(0)
	s_load_dwordx2 s[6:7], s[24:25], 0x0
	s_load_dwordx2 s[34:35], s[10:11], 0x0
	s_waitcnt lgkmcnt(0)
	s_and_b32 s5, s7, 0x7fffffff
	s_cmp_eq_u32 s5, 0
	v_cmp_eq_f32_e64 s[24:25], s6, 1.0
	s_cselect_b64 s[10:11], -1, 0
	s_and_b64 s[24:25], s[24:25], s[10:11]
	s_and_b64 vcc, exec, s[24:25]
	s_cbranch_vccnz .LBB217_2
; %bb.1:
	s_mov_b64 s[24:25], -1
	s_cbranch_execz .LBB217_3
	s_branch .LBB217_4
.LBB217_2:
	s_mov_b64 s[24:25], 0
.LBB217_3:
	s_cmp_lg_u64 s[8:9], 0
	v_cmp_neq_f32_e64 s[36:37], s34, 0
	v_cmp_neq_f32_e64 s[38:39], s35, 0
	s_cselect_b64 s[24:25], -1, 0
	s_or_b64 s[36:37], s[36:37], s[38:39]
	s_and_b64 s[24:25], s[24:25], s[36:37]
.LBB217_4:
	s_andn2_b64 vcc, exec, s[24:25]
	s_cbranch_vccnz .LBB217_30
; %bb.5:
	s_load_dword s24, s[0:1], 0x0
	s_lshl_b32 s25, s2, 5
	s_lshl_b32 s33, s3, 5
	v_cmp_eq_f32_e64 s[0:1], s34, 0
	v_cmp_eq_f32_e64 s[2:3], s35, 0
	s_and_b64 s[0:1], s[0:1], s[2:3]
	v_cmp_lt_i64_e64 s[2:3], s[8:9], 1
	s_or_b64 s[0:1], s[0:1], s[2:3]
	v_and_b32_e32 v9, 0x3ff, v0
	v_bfe_u32 v11, v0, 10, 10
	v_mov_b32_e32 v30, 0
	s_and_b64 vcc, exec, s[0:1]
	v_mov_b32_e32 v32, 0
	v_mov_b32_e32 v26, 0
	;; [unrolled: 1-line block ×7, first 2 shown]
	s_cbranch_vccnz .LBB217_14
; %bb.6:
	s_mul_i32 s0, s23, s4
	s_mul_hi_u32 s1, s22, s4
	s_add_i32 s1, s1, s0
	s_mul_i32 s0, s22, s4
	s_lshl_b64 s[0:1], s[0:1], 3
	v_lshl_add_u32 v1, v11, 4, v9
	s_add_u32 s18, s18, s0
	v_lshrrev_b32_e32 v10, 5, v1
	v_lshrrev_b32_e32 v4, 3, v1
	v_and_b32_e32 v1, 31, v1
	s_addc_u32 s19, s19, s1
	s_mul_i32 s0, s17, s4
	s_mul_hi_u32 s1, s16, s4
	v_and_b32_e32 v8, 7, v9
	v_or_b32_e32 v2, s25, v1
	s_add_i32 s1, s1, s0
	s_mul_i32 s0, s16, s4
	v_lshlrev_b32_e32 v1, 3, v1
	s_lshl_b64 s[0:1], s[0:1], 3
	v_lshl_or_b32 v19, v10, 8, v1
	v_lshlrev_b32_e32 v1, 3, v8
	v_add_u32_e32 v0, s33, v4
	s_add_u32 s2, s12, s0
	v_lshl_or_b32 v1, v4, 6, v1
	s_addc_u32 s3, s13, s1
	v_ashrrev_i32_e32 v3, 31, v2
	v_add_u32_e32 v21, 0x800, v1
	v_ashrrev_i32_e32 v1, 31, v0
	v_lshl_add_u64 v[12:13], v[2:3], 3, s[2:3]
	s_waitcnt lgkmcnt(0)
	v_cmp_gt_i32_e64 s[2:3], s24, v0
	v_lshl_add_u64 v[14:15], v[0:1], 3, s[18:19]
	v_mov_b32_e32 v0, 0x800
	v_cmp_gt_i32_e64 s[0:1], s24, v2
	v_lshlrev_b32_e32 v23, 3, v9
	v_lshl_add_u32 v25, v11, 6, v0
	v_mov_b32_e32 v17, 0
	s_mov_b64 s[12:13], 0
	v_mov_b32_e32 v20, 0
	v_mov_b32_e32 v18, 0
	;; [unrolled: 1-line block ×8, first 2 shown]
	s_branch .LBB217_8
.LBB217_7:                              ;   in Loop: Header=BB217_8 Depth=1
	s_or_b64 exec, exec, s[16:17]
	s_waitcnt vmcnt(0)
	ds_write_b64 v21, v[0:1]
	s_waitcnt lgkmcnt(0)
	s_barrier
	ds_read2_b64 v[34:37], v23 offset1:16
	ds_read_b128 v[38:41], v25
	ds_read_b128 v[42:45], v25 offset:16
	ds_read_b128 v[4:7], v25 offset:32
	;; [unrolled: 1-line block ×3, first 2 shown]
	s_add_u32 s12, s12, 8
	s_waitcnt lgkmcnt(3)
	v_mul_f32_e32 v16, v39, v35
	v_mul_f32_e32 v27, v38, v35
	v_fma_f32 v16, v38, v34, -v16
	v_fmac_f32_e32 v27, v39, v34
	v_add_f32_e32 v16, v30, v16
	v_add_f32_e32 v50, v32, v27
	ds_read_b128 v[30:33], v25 offset:1024
	v_mul_f32_e32 v27, v39, v37
	v_mul_f32_e32 v29, v38, v37
	v_fma_f32 v27, v38, v36, -v27
	v_fmac_f32_e32 v29, v39, v36
	v_add_f32_e32 v38, v26, v27
	v_add_f32_e32 v39, v28, v29
	ds_read_b128 v[26:29], v25 offset:1040
	s_waitcnt lgkmcnt(1)
	v_mul_f32_e32 v46, v31, v35
	v_fma_f32 v46, v30, v34, -v46
	v_add_f32_e32 v22, v22, v46
	ds_read2_b64 v[46:49], v23 offset0:32 offset1:48
	v_mul_f32_e32 v35, v30, v35
	v_fmac_f32_e32 v35, v31, v34
	v_mul_f32_e32 v34, v31, v37
	v_fma_f32 v34, v30, v36, -v34
	v_mul_f32_e32 v30, v30, v37
	v_fmac_f32_e32 v30, v31, v36
	v_add_f32_e32 v20, v20, v30
	s_waitcnt lgkmcnt(0)
	v_mul_f32_e32 v30, v41, v47
	v_mul_f32_e32 v31, v40, v47
	v_fma_f32 v30, v40, v46, -v30
	v_fmac_f32_e32 v31, v41, v46
	v_add_f32_e32 v18, v18, v34
	v_add_f32_e32 v16, v16, v30
	;; [unrolled: 1-line block ×3, first 2 shown]
	v_mul_f32_e32 v31, v41, v49
	v_mul_f32_e32 v34, v40, v49
	v_fma_f32 v31, v40, v48, -v31
	v_fmac_f32_e32 v34, v41, v48
	v_add_f32_e32 v31, v38, v31
	v_add_f32_e32 v38, v39, v34
	v_mul_f32_e32 v34, v33, v47
	v_add_f32_e32 v24, v24, v35
	v_fma_f32 v34, v32, v46, -v34
	v_mul_f32_e32 v35, v32, v47
	v_fmac_f32_e32 v35, v33, v46
	v_add_f32_e32 v22, v22, v34
	v_mul_f32_e32 v34, v33, v49
	v_add_f32_e32 v24, v24, v35
	v_fma_f32 v39, v32, v48, -v34
	ds_read2_b64 v[34:37], v23 offset0:64 offset1:80
	v_mul_f32_e32 v32, v32, v49
	v_fmac_f32_e32 v32, v33, v48
	v_add_f32_e32 v18, v18, v39
	v_add_f32_e32 v20, v20, v32
	s_waitcnt lgkmcnt(0)
	v_mul_f32_e32 v33, v42, v35
	v_fmac_f32_e32 v33, v43, v34
	v_add_f32_e32 v39, v30, v33
	v_mul_f32_e32 v30, v43, v37
	v_mul_f32_e32 v32, v43, v35
	v_fma_f32 v30, v42, v36, -v30
	v_fma_f32 v32, v42, v34, -v32
	v_add_f32_e32 v40, v31, v30
	v_mul_f32_e32 v30, v27, v35
	v_add_f32_e32 v16, v16, v32
	v_mul_f32_e32 v32, v42, v37
	v_fma_f32 v30, v26, v34, -v30
	v_mul_f32_e32 v31, v26, v35
	v_fmac_f32_e32 v32, v43, v36
	v_fmac_f32_e32 v31, v27, v34
	v_add_f32_e32 v22, v22, v30
	v_mul_f32_e32 v30, v27, v37
	v_add_f32_e32 v38, v38, v32
	v_add_f32_e32 v24, v24, v31
	v_fma_f32 v34, v26, v36, -v30
	ds_read2_b64 v[30:33], v23 offset0:96 offset1:112
	v_mul_f32_e32 v26, v26, v37
	v_fmac_f32_e32 v26, v27, v36
	v_add_f32_e32 v20, v20, v26
	v_add_f32_e32 v18, v18, v34
	s_waitcnt lgkmcnt(0)
	v_mul_f32_e32 v26, v45, v31
	v_mul_f32_e32 v27, v44, v31
	v_fma_f32 v26, v44, v30, -v26
	v_fmac_f32_e32 v27, v45, v30
	v_add_f32_e32 v16, v16, v26
	v_add_f32_e32 v26, v39, v27
	v_mul_f32_e32 v27, v45, v33
	v_mul_f32_e32 v34, v44, v33
	v_fma_f32 v27, v44, v32, -v27
	v_fmac_f32_e32 v34, v45, v32
	v_add_f32_e32 v39, v40, v27
	v_add_f32_e32 v38, v38, v34
	v_mul_f32_e32 v27, v29, v31
	ds_read2_b64 v[34:37], v23 offset0:128 offset1:144
	v_fma_f32 v27, v28, v30, -v27
	v_add_f32_e32 v22, v22, v27
	v_mul_f32_e32 v27, v29, v33
	v_mul_f32_e32 v31, v28, v31
	v_fma_f32 v27, v28, v32, -v27
	v_mul_f32_e32 v28, v28, v33
	v_fmac_f32_e32 v28, v29, v32
	v_add_f32_e32 v20, v20, v28
	s_waitcnt lgkmcnt(0)
	v_mul_f32_e32 v28, v4, v35
	v_add_f32_e32 v18, v18, v27
	v_mul_f32_e32 v27, v5, v35
	v_fmac_f32_e32 v28, v5, v34
	v_fma_f32 v27, v4, v34, -v27
	v_add_f32_e32 v42, v26, v28
	v_mul_f32_e32 v26, v5, v37
	v_fmac_f32_e32 v31, v29, v30
	v_add_f32_e32 v16, v16, v27
	v_fma_f32 v30, v4, v36, -v26
	ds_read_b128 v[26:29], v25 offset:1056
	v_mul_f32_e32 v4, v4, v37
	v_fmac_f32_e32 v4, v5, v36
	v_add_f32_e32 v5, v39, v30
	v_add_f32_e32 v4, v38, v4
	ds_read_b128 v[38:41], v25 offset:1072
	s_waitcnt lgkmcnt(1)
	v_mul_f32_e32 v30, v27, v35
	v_add_f32_e32 v24, v24, v31
	v_fma_f32 v30, v26, v34, -v30
	v_mul_f32_e32 v31, v26, v35
	v_fmac_f32_e32 v31, v27, v34
	v_add_f32_e32 v22, v22, v30
	v_mul_f32_e32 v30, v27, v37
	v_add_f32_e32 v24, v24, v31
	v_fma_f32 v34, v26, v36, -v30
	ds_read2_b64 v[30:33], v23 offset0:160 offset1:176
	v_mul_f32_e32 v26, v26, v37
	v_fmac_f32_e32 v26, v27, v36
	v_add_f32_e32 v20, v20, v26
	v_add_f32_e32 v18, v18, v34
	s_waitcnt lgkmcnt(0)
	v_mul_f32_e32 v26, v7, v31
	v_mul_f32_e32 v27, v6, v31
	v_fma_f32 v26, v6, v30, -v26
	v_fmac_f32_e32 v27, v7, v30
	v_add_f32_e32 v16, v16, v26
	v_add_f32_e32 v26, v42, v27
	v_mul_f32_e32 v27, v7, v33
	v_fma_f32 v27, v6, v32, -v27
	v_mul_f32_e32 v6, v6, v33
	v_fmac_f32_e32 v6, v7, v32
	v_add_f32_e32 v34, v4, v6
	v_mul_f32_e32 v4, v29, v31
	v_add_f32_e32 v27, v5, v27
	v_fma_f32 v4, v28, v30, -v4
	v_mul_f32_e32 v5, v28, v31
	v_fmac_f32_e32 v5, v29, v30
	v_add_f32_e32 v22, v22, v4
	v_mul_f32_e32 v4, v29, v33
	v_add_f32_e32 v24, v24, v5
	v_fma_f32 v30, v28, v32, -v4
	ds_read2_b64 v[4:7], v23 offset0:192 offset1:208
	v_mul_f32_e32 v28, v28, v33
	v_fmac_f32_e32 v28, v29, v32
	v_add_f32_e32 v20, v20, v28
	v_add_f32_e32 v18, v18, v30
	s_waitcnt lgkmcnt(0)
	v_mul_f32_e32 v28, v1, v5
	v_fma_f32 v28, v0, v4, -v28
	v_add_f32_e32 v16, v16, v28
	v_mul_f32_e32 v28, v1, v7
	v_mul_f32_e32 v29, v0, v5
	v_fma_f32 v28, v0, v6, -v28
	v_mul_f32_e32 v0, v0, v7
	v_fmac_f32_e32 v0, v1, v6
	v_add_f32_e32 v0, v34, v0
	ds_read2_b64 v[34:37], v23 offset0:224 offset1:240
	v_fmac_f32_e32 v29, v1, v4
	v_add_f32_e32 v1, v27, v28
	v_mul_f32_e32 v27, v39, v5
	v_fma_f32 v27, v38, v4, -v27
	v_mul_f32_e32 v5, v38, v5
	v_fmac_f32_e32 v5, v39, v4
	v_add_f32_e32 v4, v22, v27
	v_mul_f32_e32 v22, v39, v7
	v_fma_f32 v22, v38, v6, -v22
	v_mul_f32_e32 v7, v38, v7
	v_fmac_f32_e32 v7, v39, v6
	v_add_f32_e32 v6, v18, v22
	s_waitcnt lgkmcnt(0)
	v_mul_f32_e32 v18, v3, v35
	v_fma_f32 v18, v2, v34, -v18
	v_add_f32_e32 v30, v16, v18
	v_mul_f32_e32 v16, v3, v37
	v_add_f32_e32 v7, v20, v7
	v_mul_f32_e32 v20, v2, v35
	v_fma_f32 v16, v2, v36, -v16
	v_mul_f32_e32 v2, v2, v37
	v_add_f32_e32 v26, v26, v29
	v_fmac_f32_e32 v20, v3, v34
	v_fmac_f32_e32 v2, v3, v36
	v_add_f32_e32 v32, v26, v20
	v_add_f32_e32 v26, v1, v16
	;; [unrolled: 1-line block ×3, first 2 shown]
	v_mul_f32_e32 v0, v41, v35
	v_mul_f32_e32 v1, v40, v35
	v_add_f32_e32 v5, v24, v5
	v_fma_f32 v0, v40, v34, -v0
	v_fmac_f32_e32 v1, v41, v34
	v_add_f32_e32 v22, v4, v0
	v_add_f32_e32 v24, v5, v1
	v_mul_f32_e32 v0, v41, v37
	v_mul_f32_e32 v1, v40, v37
	v_fma_f32 v0, v40, v36, -v0
	v_fmac_f32_e32 v1, v41, v36
	s_addc_u32 s13, s13, 0
	v_add_f32_e32 v18, v6, v0
	v_add_f32_e32 v20, v7, v1
	v_mov_b64_e32 v[0:1], s[12:13]
	v_cmp_gt_i64_e32 vcc, s[8:9], v[0:1]
	s_barrier
	s_cbranch_vccz .LBB217_14
.LBB217_8:                              ; =>This Inner Loop Header: Depth=1
	v_mov_b32_e32 v0, 0
	v_mov_b32_e32 v1, 0
	s_and_saveexec_b64 s[16:17], s[0:1]
	s_cbranch_execz .LBB217_12
; %bb.9:                                ;   in Loop: Header=BB217_8 Depth=1
	v_add_u32_e32 v16, s12, v10
	v_cmp_gt_u64_e32 vcc, s[8:9], v[16:17]
	v_mov_b32_e32 v1, 0
	v_mov_b32_e32 v0, 0
	s_and_saveexec_b64 s[18:19], vcc
	s_cbranch_execz .LBB217_11
; %bb.10:                               ;   in Loop: Header=BB217_8 Depth=1
	v_mad_u64_u32 v[0:1], s[22:23], s14, v16, 0
	v_mov_b32_e32 v2, v1
	v_mad_u64_u32 v[2:3], s[22:23], s15, v16, v[2:3]
	v_mov_b32_e32 v1, v2
	v_lshl_add_u64 v[0:1], v[0:1], 3, v[12:13]
	global_load_dwordx2 v[0:1], v[0:1], off
.LBB217_11:                             ;   in Loop: Header=BB217_8 Depth=1
	s_or_b64 exec, exec, s[18:19]
.LBB217_12:                             ;   in Loop: Header=BB217_8 Depth=1
	s_or_b64 exec, exec, s[16:17]
	v_add_u32_e32 v16, s12, v8
	v_cmp_gt_u64_e32 vcc, s[8:9], v[16:17]
	s_waitcnt vmcnt(0)
	ds_write_b64 v19, v[0:1]
	s_and_b64 s[18:19], vcc, s[2:3]
	v_mov_b32_e32 v0, 0
	v_mov_b32_e32 v1, 0
	s_and_saveexec_b64 s[16:17], s[18:19]
	s_cbranch_execz .LBB217_7
; %bb.13:                               ;   in Loop: Header=BB217_8 Depth=1
	v_mad_u64_u32 v[0:1], s[18:19], s20, v16, 0
	v_mov_b32_e32 v2, v1
	v_mad_u64_u32 v[2:3], s[18:19], s21, v16, v[2:3]
	v_mov_b32_e32 v1, v2
	v_lshl_add_u64 v[0:1], v[0:1], 3, v[14:15]
	global_load_dwordx2 v[0:1], v[0:1], off
	s_branch .LBB217_7
.LBB217_14:
	s_mul_i32 s0, s31, s4
	s_mul_hi_u32 s1, s30, s4
	s_add_i32 s1, s1, s0
	s_mul_i32 s0, s30, s4
	s_lshl_b64 s[0:1], s[0:1], 3
	v_add_u32_e32 v10, s33, v11
	s_add_u32 s4, s26, s0
	v_ashrrev_i32_e32 v1, 31, v10
	s_addc_u32 s5, s27, s1
	v_cmp_neq_f32_e64 s[0:1], s6, 0
	s_xor_b64 s[8:9], s[10:11], -1
	v_mul_lo_u32 v1, s28, v1
	v_mul_lo_u32 v4, s29, v10
	v_mad_u64_u32 v[2:3], s[10:11], s28, v10, 0
	v_add_u32_e32 v0, s25, v9
	v_add3_u32 v3, v3, v1, v4
	s_or_b64 s[0:1], s[0:1], s[8:9]
	s_waitcnt lgkmcnt(0)
	v_cmp_gt_i32_e64 s[2:3], s24, v10
	v_lshl_add_u64 v[4:5], v[2:3], 3, s[4:5]
	v_cmp_le_i32_e32 vcc, v0, v10
	v_cndmask_b32_e64 v2, 0, 1, s[0:1]
	s_and_b64 s[10:11], s[2:3], vcc
	v_ashrrev_i32_e32 v1, 31, v0
	v_cmp_ne_u32_e64 s[0:1], 1, v2
	s_and_saveexec_b64 s[8:9], s[10:11]
	s_cbranch_execz .LBB217_18
; %bb.15:
	v_pk_mul_f32 v[6:7], v[32:33], s[34:35] op_sel:[0,1] op_sel_hi:[0,0]
	v_pk_fma_f32 v[2:3], v[30:31], s[34:35], v[6:7] op_sel_hi:[0,1,1] neg_lo:[0,0,1] neg_hi:[0,0,1]
	v_pk_fma_f32 v[8:9], v[30:31], s[34:35], v[6:7] op_sel_hi:[0,1,1]
	s_and_b64 vcc, exec, s[0:1]
	v_lshl_add_u64 v[6:7], v[0:1], 3, v[4:5]
	s_cbranch_vccnz .LBB217_17
; %bb.16:
	global_load_dwordx2 v[12:13], v[6:7], off
	s_mov_b32 s10, s7
	v_mov_b32_e32 v3, v9
	s_waitcnt vmcnt(0)
	v_pk_mul_f32 v[8:9], v[12:13], s[10:11] op_sel:[1,0] op_sel_hi:[0,0]
	v_pk_fma_f32 v[14:15], v[12:13], s[6:7], v[8:9] neg_lo:[0,0,1] neg_hi:[0,0,1]
	v_pk_fma_f32 v[8:9], v[12:13], s[6:7], v[8:9] op_sel_hi:[1,0,1]
	s_nop 0
	v_mov_b32_e32 v15, v9
	v_pk_add_f32 v[2:3], v[2:3], v[14:15]
	s_nop 0
	v_mov_b32_e32 v9, v3
.LBB217_17:
	v_mov_b32_e32 v3, v9
	global_store_dwordx2 v[6:7], v[2:3], off
.LBB217_18:
	s_or_b64 exec, exec, s[8:9]
	v_add_u32_e32 v2, 16, v0
	v_cmp_le_i32_e32 vcc, v2, v10
	s_and_b64 s[8:9], s[2:3], vcc
	v_ashrrev_i32_e32 v3, 31, v2
	s_and_saveexec_b64 s[2:3], s[8:9]
	s_cbranch_execz .LBB217_22
; %bb.19:
	v_pk_mul_f32 v[8:9], v[28:29], s[34:35] op_sel:[0,1] op_sel_hi:[0,0]
	v_pk_fma_f32 v[6:7], v[26:27], s[34:35], v[8:9] op_sel_hi:[0,1,1] neg_lo:[0,0,1] neg_hi:[0,0,1]
	v_pk_fma_f32 v[8:9], v[26:27], s[34:35], v[8:9] op_sel_hi:[0,1,1]
	s_and_b64 vcc, exec, s[0:1]
	v_lshl_add_u64 v[4:5], v[2:3], 3, v[4:5]
	s_cbranch_vccnz .LBB217_21
; %bb.20:
	global_load_dwordx2 v[12:13], v[4:5], off
	s_mov_b32 s8, s7
	v_mov_b32_e32 v7, v9
	s_waitcnt vmcnt(0)
	v_pk_mul_f32 v[8:9], v[12:13], s[8:9] op_sel:[1,0] op_sel_hi:[0,0]
	v_pk_fma_f32 v[14:15], v[12:13], s[6:7], v[8:9] neg_lo:[0,0,1] neg_hi:[0,0,1]
	v_pk_fma_f32 v[8:9], v[12:13], s[6:7], v[8:9] op_sel_hi:[1,0,1]
	s_nop 0
	v_mov_b32_e32 v15, v9
	v_pk_add_f32 v[6:7], v[6:7], v[14:15]
	s_nop 0
	v_mov_b32_e32 v9, v7
.LBB217_21:
	v_mov_b32_e32 v7, v9
	global_store_dwordx2 v[4:5], v[6:7], off
.LBB217_22:
	s_or_b64 exec, exec, s[2:3]
	v_add_u32_e32 v10, 16, v10
	v_ashrrev_i32_e32 v4, 31, v10
	v_mul_lo_u32 v6, s28, v4
	v_mul_lo_u32 v7, s29, v10
	v_mad_u64_u32 v[4:5], s[8:9], s28, v10, 0
	v_cmp_gt_i32_e64 s[2:3], s24, v10
	v_add3_u32 v5, v5, v6, v7
	v_cmp_le_i32_e32 vcc, v0, v10
	v_lshl_add_u64 v[4:5], v[4:5], 3, s[4:5]
	s_and_b64 s[8:9], s[2:3], vcc
	s_and_saveexec_b64 s[4:5], s[8:9]
	s_cbranch_execz .LBB217_26
; %bb.23:
	v_pk_mul_f32 v[8:9], v[24:25], s[34:35] op_sel:[0,1] op_sel_hi:[0,0]
	v_pk_fma_f32 v[6:7], v[22:23], s[34:35], v[8:9] op_sel_hi:[0,1,1] neg_lo:[0,0,1] neg_hi:[0,0,1]
	v_pk_fma_f32 v[8:9], v[22:23], s[34:35], v[8:9] op_sel_hi:[0,1,1]
	s_and_b64 vcc, exec, s[0:1]
	v_lshl_add_u64 v[0:1], v[0:1], 3, v[4:5]
	s_cbranch_vccnz .LBB217_25
; %bb.24:
	global_load_dwordx2 v[12:13], v[0:1], off
	s_mov_b32 s8, s7
	v_mov_b32_e32 v7, v9
	s_waitcnt vmcnt(0)
	v_pk_mul_f32 v[8:9], v[12:13], s[8:9] op_sel:[1,0] op_sel_hi:[0,0]
	v_pk_fma_f32 v[14:15], v[12:13], s[6:7], v[8:9] neg_lo:[0,0,1] neg_hi:[0,0,1]
	v_pk_fma_f32 v[8:9], v[12:13], s[6:7], v[8:9] op_sel_hi:[1,0,1]
	s_nop 0
	v_mov_b32_e32 v15, v9
	v_pk_add_f32 v[6:7], v[6:7], v[14:15]
	s_nop 0
	v_mov_b32_e32 v9, v7
.LBB217_25:
	v_mov_b32_e32 v7, v9
	global_store_dwordx2 v[0:1], v[6:7], off
.LBB217_26:
	s_or_b64 exec, exec, s[4:5]
	v_cmp_le_i32_e32 vcc, v2, v10
	s_and_b64 s[2:3], s[2:3], vcc
	s_and_saveexec_b64 s[4:5], s[2:3]
	s_cbranch_execz .LBB217_30
; %bb.27:
	v_pk_mul_f32 v[6:7], v[20:21], s[34:35] op_sel:[0,1] op_sel_hi:[0,0]
	v_pk_fma_f32 v[0:1], v[18:19], s[34:35], v[6:7] op_sel_hi:[0,1,1] neg_lo:[0,0,1] neg_hi:[0,0,1]
	v_pk_fma_f32 v[6:7], v[18:19], s[34:35], v[6:7] op_sel_hi:[0,1,1]
	s_and_b64 vcc, exec, s[0:1]
	v_lshl_add_u64 v[2:3], v[2:3], 3, v[4:5]
	s_cbranch_vccnz .LBB217_29
; %bb.28:
	global_load_dwordx2 v[4:5], v[2:3], off
	s_mov_b32 s0, s7
	v_mov_b32_e32 v1, v7
	s_waitcnt vmcnt(0)
	v_pk_mul_f32 v[6:7], v[4:5], s[0:1] op_sel:[1,0] op_sel_hi:[0,0]
	v_pk_fma_f32 v[8:9], v[4:5], s[6:7], v[6:7] neg_lo:[0,0,1] neg_hi:[0,0,1]
	v_pk_fma_f32 v[4:5], v[4:5], s[6:7], v[6:7] op_sel_hi:[1,0,1]
	s_nop 0
	v_mov_b32_e32 v9, v5
	v_pk_add_f32 v[0:1], v[0:1], v[8:9]
	s_nop 0
	v_mov_b32_e32 v7, v1
.LBB217_29:
	v_mov_b32_e32 v1, v7
	global_store_dwordx2 v[2:3], v[0:1], off
.LBB217_30:
	s_endpgm
	.section	.rodata,"a",@progbits
	.p2align	6, 0x0
	.amdhsa_kernel _ZL29rocblas_internal_gemmt_kernelIlLi16ELi32ELi8ELc78ELc84ELc85ELb0ELb0E19rocblas_complex_numIfEPKS1_S3_PS1_EviT_T9_T10_S5_lS7_S5_lS6_T11_S5_li
		.amdhsa_group_segment_fixed_size 4096
		.amdhsa_private_segment_fixed_size 0
		.amdhsa_kernarg_size 108
		.amdhsa_user_sgpr_count 2
		.amdhsa_user_sgpr_dispatch_ptr 0
		.amdhsa_user_sgpr_queue_ptr 0
		.amdhsa_user_sgpr_kernarg_segment_ptr 1
		.amdhsa_user_sgpr_dispatch_id 0
		.amdhsa_user_sgpr_kernarg_preload_length 0
		.amdhsa_user_sgpr_kernarg_preload_offset 0
		.amdhsa_user_sgpr_private_segment_size 0
		.amdhsa_uses_dynamic_stack 0
		.amdhsa_enable_private_segment 0
		.amdhsa_system_sgpr_workgroup_id_x 1
		.amdhsa_system_sgpr_workgroup_id_y 1
		.amdhsa_system_sgpr_workgroup_id_z 1
		.amdhsa_system_sgpr_workgroup_info 0
		.amdhsa_system_vgpr_workitem_id 1
		.amdhsa_next_free_vgpr 51
		.amdhsa_next_free_sgpr 40
		.amdhsa_accum_offset 52
		.amdhsa_reserve_vcc 1
		.amdhsa_float_round_mode_32 0
		.amdhsa_float_round_mode_16_64 0
		.amdhsa_float_denorm_mode_32 3
		.amdhsa_float_denorm_mode_16_64 3
		.amdhsa_dx10_clamp 1
		.amdhsa_ieee_mode 1
		.amdhsa_fp16_overflow 0
		.amdhsa_tg_split 0
		.amdhsa_exception_fp_ieee_invalid_op 0
		.amdhsa_exception_fp_denorm_src 0
		.amdhsa_exception_fp_ieee_div_zero 0
		.amdhsa_exception_fp_ieee_overflow 0
		.amdhsa_exception_fp_ieee_underflow 0
		.amdhsa_exception_fp_ieee_inexact 0
		.amdhsa_exception_int_div_zero 0
	.end_amdhsa_kernel
	.section	.text._ZL29rocblas_internal_gemmt_kernelIlLi16ELi32ELi8ELc78ELc84ELc85ELb0ELb0E19rocblas_complex_numIfEPKS1_S3_PS1_EviT_T9_T10_S5_lS7_S5_lS6_T11_S5_li,"axG",@progbits,_ZL29rocblas_internal_gemmt_kernelIlLi16ELi32ELi8ELc78ELc84ELc85ELb0ELb0E19rocblas_complex_numIfEPKS1_S3_PS1_EviT_T9_T10_S5_lS7_S5_lS6_T11_S5_li,comdat
.Lfunc_end217:
	.size	_ZL29rocblas_internal_gemmt_kernelIlLi16ELi32ELi8ELc78ELc84ELc85ELb0ELb0E19rocblas_complex_numIfEPKS1_S3_PS1_EviT_T9_T10_S5_lS7_S5_lS6_T11_S5_li, .Lfunc_end217-_ZL29rocblas_internal_gemmt_kernelIlLi16ELi32ELi8ELc78ELc84ELc85ELb0ELb0E19rocblas_complex_numIfEPKS1_S3_PS1_EviT_T9_T10_S5_lS7_S5_lS6_T11_S5_li
                                        ; -- End function
	.set _ZL29rocblas_internal_gemmt_kernelIlLi16ELi32ELi8ELc78ELc84ELc85ELb0ELb0E19rocblas_complex_numIfEPKS1_S3_PS1_EviT_T9_T10_S5_lS7_S5_lS6_T11_S5_li.num_vgpr, 51
	.set _ZL29rocblas_internal_gemmt_kernelIlLi16ELi32ELi8ELc78ELc84ELc85ELb0ELb0E19rocblas_complex_numIfEPKS1_S3_PS1_EviT_T9_T10_S5_lS7_S5_lS6_T11_S5_li.num_agpr, 0
	.set _ZL29rocblas_internal_gemmt_kernelIlLi16ELi32ELi8ELc78ELc84ELc85ELb0ELb0E19rocblas_complex_numIfEPKS1_S3_PS1_EviT_T9_T10_S5_lS7_S5_lS6_T11_S5_li.numbered_sgpr, 40
	.set _ZL29rocblas_internal_gemmt_kernelIlLi16ELi32ELi8ELc78ELc84ELc85ELb0ELb0E19rocblas_complex_numIfEPKS1_S3_PS1_EviT_T9_T10_S5_lS7_S5_lS6_T11_S5_li.num_named_barrier, 0
	.set _ZL29rocblas_internal_gemmt_kernelIlLi16ELi32ELi8ELc78ELc84ELc85ELb0ELb0E19rocblas_complex_numIfEPKS1_S3_PS1_EviT_T9_T10_S5_lS7_S5_lS6_T11_S5_li.private_seg_size, 0
	.set _ZL29rocblas_internal_gemmt_kernelIlLi16ELi32ELi8ELc78ELc84ELc85ELb0ELb0E19rocblas_complex_numIfEPKS1_S3_PS1_EviT_T9_T10_S5_lS7_S5_lS6_T11_S5_li.uses_vcc, 1
	.set _ZL29rocblas_internal_gemmt_kernelIlLi16ELi32ELi8ELc78ELc84ELc85ELb0ELb0E19rocblas_complex_numIfEPKS1_S3_PS1_EviT_T9_T10_S5_lS7_S5_lS6_T11_S5_li.uses_flat_scratch, 0
	.set _ZL29rocblas_internal_gemmt_kernelIlLi16ELi32ELi8ELc78ELc84ELc85ELb0ELb0E19rocblas_complex_numIfEPKS1_S3_PS1_EviT_T9_T10_S5_lS7_S5_lS6_T11_S5_li.has_dyn_sized_stack, 0
	.set _ZL29rocblas_internal_gemmt_kernelIlLi16ELi32ELi8ELc78ELc84ELc85ELb0ELb0E19rocblas_complex_numIfEPKS1_S3_PS1_EviT_T9_T10_S5_lS7_S5_lS6_T11_S5_li.has_recursion, 0
	.set _ZL29rocblas_internal_gemmt_kernelIlLi16ELi32ELi8ELc78ELc84ELc85ELb0ELb0E19rocblas_complex_numIfEPKS1_S3_PS1_EviT_T9_T10_S5_lS7_S5_lS6_T11_S5_li.has_indirect_call, 0
	.section	.AMDGPU.csdata,"",@progbits
; Kernel info:
; codeLenInByte = 2500
; TotalNumSgprs: 46
; NumVgprs: 51
; NumAgprs: 0
; TotalNumVgprs: 51
; ScratchSize: 0
; MemoryBound: 0
; FloatMode: 240
; IeeeMode: 1
; LDSByteSize: 4096 bytes/workgroup (compile time only)
; SGPRBlocks: 5
; VGPRBlocks: 6
; NumSGPRsForWavesPerEU: 46
; NumVGPRsForWavesPerEU: 51
; AccumOffset: 52
; Occupancy: 8
; WaveLimiterHint : 0
; COMPUTE_PGM_RSRC2:SCRATCH_EN: 0
; COMPUTE_PGM_RSRC2:USER_SGPR: 2
; COMPUTE_PGM_RSRC2:TRAP_HANDLER: 0
; COMPUTE_PGM_RSRC2:TGID_X_EN: 1
; COMPUTE_PGM_RSRC2:TGID_Y_EN: 1
; COMPUTE_PGM_RSRC2:TGID_Z_EN: 1
; COMPUTE_PGM_RSRC2:TIDIG_COMP_CNT: 1
; COMPUTE_PGM_RSRC3_GFX90A:ACCUM_OFFSET: 12
; COMPUTE_PGM_RSRC3_GFX90A:TG_SPLIT: 0
	.section	.text._ZL29rocblas_internal_gemmt_kernelIlLi16ELi32ELi8ELc78ELc67ELc85ELb0ELb1E19rocblas_complex_numIfEPKS1_S3_PS1_EviT_T9_T10_S5_lS7_S5_lS6_T11_S5_li,"axG",@progbits,_ZL29rocblas_internal_gemmt_kernelIlLi16ELi32ELi8ELc78ELc67ELc85ELb0ELb1E19rocblas_complex_numIfEPKS1_S3_PS1_EviT_T9_T10_S5_lS7_S5_lS6_T11_S5_li,comdat
	.globl	_ZL29rocblas_internal_gemmt_kernelIlLi16ELi32ELi8ELc78ELc67ELc85ELb0ELb1E19rocblas_complex_numIfEPKS1_S3_PS1_EviT_T9_T10_S5_lS7_S5_lS6_T11_S5_li ; -- Begin function _ZL29rocblas_internal_gemmt_kernelIlLi16ELi32ELi8ELc78ELc67ELc85ELb0ELb1E19rocblas_complex_numIfEPKS1_S3_PS1_EviT_T9_T10_S5_lS7_S5_lS6_T11_S5_li
	.p2align	8
	.type	_ZL29rocblas_internal_gemmt_kernelIlLi16ELi32ELi8ELc78ELc67ELc85ELb0ELb1E19rocblas_complex_numIfEPKS1_S3_PS1_EviT_T9_T10_S5_lS7_S5_lS6_T11_S5_li,@function
_ZL29rocblas_internal_gemmt_kernelIlLi16ELi32ELi8ELc78ELc67ELc85ELb0ELb1E19rocblas_complex_numIfEPKS1_S3_PS1_EviT_T9_T10_S5_lS7_S5_lS6_T11_S5_li: ; @_ZL29rocblas_internal_gemmt_kernelIlLi16ELi32ELi8ELc78ELc67ELc85ELb0ELb1E19rocblas_complex_numIfEPKS1_S3_PS1_EviT_T9_T10_S5_lS7_S5_lS6_T11_S5_li
; %bb.0:
	s_load_dwordx8 s[24:31], s[0:1], 0x48
	s_load_dwordx16 s[8:23], s[0:1], 0x8
	s_waitcnt lgkmcnt(0)
	s_load_dwordx2 s[6:7], s[24:25], 0x0
	s_load_dwordx2 s[34:35], s[10:11], 0x0
	s_waitcnt lgkmcnt(0)
	s_and_b32 s5, s7, 0x7fffffff
	s_cmp_eq_u32 s5, 0
	v_cmp_eq_f32_e64 s[24:25], s6, 1.0
	s_cselect_b64 s[10:11], -1, 0
	s_and_b64 s[24:25], s[24:25], s[10:11]
	s_and_b64 vcc, exec, s[24:25]
	s_cbranch_vccnz .LBB218_2
; %bb.1:
	s_mov_b64 s[24:25], -1
	s_cbranch_execz .LBB218_3
	s_branch .LBB218_4
.LBB218_2:
	s_mov_b64 s[24:25], 0
.LBB218_3:
	s_cmp_lg_u64 s[8:9], 0
	v_cmp_neq_f32_e64 s[36:37], s34, 0
	v_cmp_neq_f32_e64 s[38:39], s35, 0
	s_cselect_b64 s[24:25], -1, 0
	s_or_b64 s[36:37], s[36:37], s[38:39]
	s_and_b64 s[24:25], s[24:25], s[36:37]
.LBB218_4:
	s_andn2_b64 vcc, exec, s[24:25]
	s_cbranch_vccnz .LBB218_32
; %bb.5:
	s_load_dword s24, s[0:1], 0x0
	s_lshl_b32 s25, s2, 5
	s_lshl_b32 s33, s3, 5
	v_cmp_eq_f32_e64 s[0:1], s34, 0
	v_cmp_eq_f32_e64 s[2:3], s35, 0
	s_and_b64 s[0:1], s[0:1], s[2:3]
	v_cmp_lt_i64_e64 s[2:3], s[8:9], 1
	s_or_b64 s[0:1], s[0:1], s[2:3]
	v_and_b32_e32 v9, 0x3ff, v0
	v_bfe_u32 v11, v0, 10, 10
	v_mov_b32_e32 v30, 0
	s_and_b64 vcc, exec, s[0:1]
	v_mov_b32_e32 v32, 0
	v_mov_b32_e32 v26, 0
	;; [unrolled: 1-line block ×7, first 2 shown]
	s_cbranch_vccnz .LBB218_16
; %bb.6:
	s_mul_i32 s0, s23, s4
	s_mul_hi_u32 s1, s22, s4
	s_add_i32 s1, s1, s0
	s_mul_i32 s0, s22, s4
	v_lshl_add_u32 v1, v11, 4, v9
	s_lshl_b64 s[0:1], s[0:1], 3
	v_lshrrev_b32_e32 v10, 5, v1
	v_lshrrev_b32_e32 v4, 3, v1
	v_and_b32_e32 v1, 31, v1
	s_add_u32 s2, s18, s0
	v_and_b32_e32 v8, 7, v9
	v_or_b32_e32 v2, s25, v1
	s_addc_u32 s3, s19, s1
	s_mul_i32 s0, s17, s4
	s_mul_hi_u32 s1, s16, s4
	v_lshlrev_b32_e32 v1, 3, v1
	s_add_i32 s1, s1, s0
	s_mul_i32 s0, s16, s4
	v_lshl_or_b32 v19, v10, 8, v1
	v_lshlrev_b32_e32 v1, 3, v8
	v_add_u32_e32 v0, s33, v4
	s_lshl_b64 s[0:1], s[0:1], 3
	v_lshl_or_b32 v1, v4, 6, v1
	s_add_u32 s12, s12, s0
	v_add_u32_e32 v21, 0x800, v1
	v_ashrrev_i32_e32 v1, 31, v0
	s_addc_u32 s13, s13, s1
	v_ashrrev_i32_e32 v3, 31, v2
	s_waitcnt lgkmcnt(0)
	v_cmp_gt_i32_e32 vcc, s24, v0
	v_lshl_add_u64 v[14:15], v[0:1], 3, s[2:3]
	v_mov_b32_e32 v0, 0x800
	v_cmp_gt_i32_e64 s[0:1], s24, v2
	v_lshl_add_u64 v[12:13], v[2:3], 3, s[12:13]
	v_lshlrev_b32_e32 v23, 3, v9
	v_lshl_add_u32 v25, v11, 6, v0
	v_mov_b32_e32 v17, 0
	s_mov_b64 s[2:3], 0
	s_xor_b64 s[12:13], vcc, -1
	v_mov_b32_e32 v20, 0
	v_mov_b32_e32 v18, 0
	;; [unrolled: 1-line block ×8, first 2 shown]
	s_branch .LBB218_8
.LBB218_7:                              ;   in Loop: Header=BB218_8 Depth=1
	s_or_b64 exec, exec, s[16:17]
	ds_write_b32 v21, v0 offset:4
	s_waitcnt lgkmcnt(0)
	s_barrier
	ds_read2_b64 v[34:37], v23 offset1:16
	ds_read_b128 v[38:41], v25
	ds_read_b128 v[42:45], v25 offset:16
	ds_read_b128 v[4:7], v25 offset:32
	;; [unrolled: 1-line block ×3, first 2 shown]
	s_add_u32 s2, s2, 8
	s_waitcnt lgkmcnt(3)
	v_mul_f32_e32 v16, v39, v35
	v_mul_f32_e32 v27, v38, v35
	v_fma_f32 v16, v38, v34, -v16
	v_fmac_f32_e32 v27, v39, v34
	v_add_f32_e32 v16, v30, v16
	v_add_f32_e32 v50, v32, v27
	ds_read_b128 v[30:33], v25 offset:1024
	v_mul_f32_e32 v27, v39, v37
	v_mul_f32_e32 v29, v38, v37
	v_fma_f32 v27, v38, v36, -v27
	v_fmac_f32_e32 v29, v39, v36
	v_add_f32_e32 v38, v26, v27
	v_add_f32_e32 v39, v28, v29
	ds_read_b128 v[26:29], v25 offset:1040
	s_waitcnt lgkmcnt(1)
	v_mul_f32_e32 v46, v31, v35
	v_fma_f32 v46, v30, v34, -v46
	v_add_f32_e32 v22, v22, v46
	ds_read2_b64 v[46:49], v23 offset0:32 offset1:48
	v_mul_f32_e32 v35, v30, v35
	v_fmac_f32_e32 v35, v31, v34
	v_mul_f32_e32 v34, v31, v37
	v_fma_f32 v34, v30, v36, -v34
	v_mul_f32_e32 v30, v30, v37
	v_fmac_f32_e32 v30, v31, v36
	v_add_f32_e32 v20, v20, v30
	s_waitcnt lgkmcnt(0)
	v_mul_f32_e32 v30, v41, v47
	v_mul_f32_e32 v31, v40, v47
	v_fma_f32 v30, v40, v46, -v30
	v_fmac_f32_e32 v31, v41, v46
	v_add_f32_e32 v18, v18, v34
	v_add_f32_e32 v16, v16, v30
	;; [unrolled: 1-line block ×3, first 2 shown]
	v_mul_f32_e32 v31, v41, v49
	v_mul_f32_e32 v34, v40, v49
	v_fma_f32 v31, v40, v48, -v31
	v_fmac_f32_e32 v34, v41, v48
	v_add_f32_e32 v31, v38, v31
	v_add_f32_e32 v38, v39, v34
	v_mul_f32_e32 v34, v33, v47
	v_add_f32_e32 v24, v24, v35
	v_fma_f32 v34, v32, v46, -v34
	v_mul_f32_e32 v35, v32, v47
	v_fmac_f32_e32 v35, v33, v46
	v_add_f32_e32 v22, v22, v34
	v_mul_f32_e32 v34, v33, v49
	v_add_f32_e32 v24, v24, v35
	v_fma_f32 v39, v32, v48, -v34
	ds_read2_b64 v[34:37], v23 offset0:64 offset1:80
	v_mul_f32_e32 v32, v32, v49
	v_fmac_f32_e32 v32, v33, v48
	v_add_f32_e32 v18, v18, v39
	v_add_f32_e32 v20, v20, v32
	s_waitcnt lgkmcnt(0)
	v_mul_f32_e32 v33, v42, v35
	v_fmac_f32_e32 v33, v43, v34
	v_add_f32_e32 v39, v30, v33
	v_mul_f32_e32 v30, v43, v37
	v_mul_f32_e32 v32, v43, v35
	v_fma_f32 v30, v42, v36, -v30
	v_fma_f32 v32, v42, v34, -v32
	v_add_f32_e32 v40, v31, v30
	v_mul_f32_e32 v30, v27, v35
	v_add_f32_e32 v16, v16, v32
	v_mul_f32_e32 v32, v42, v37
	v_fma_f32 v30, v26, v34, -v30
	v_mul_f32_e32 v31, v26, v35
	v_fmac_f32_e32 v32, v43, v36
	v_fmac_f32_e32 v31, v27, v34
	v_add_f32_e32 v22, v22, v30
	v_mul_f32_e32 v30, v27, v37
	v_add_f32_e32 v38, v38, v32
	v_add_f32_e32 v24, v24, v31
	v_fma_f32 v34, v26, v36, -v30
	ds_read2_b64 v[30:33], v23 offset0:96 offset1:112
	v_mul_f32_e32 v26, v26, v37
	v_fmac_f32_e32 v26, v27, v36
	v_add_f32_e32 v20, v20, v26
	v_add_f32_e32 v18, v18, v34
	s_waitcnt lgkmcnt(0)
	v_mul_f32_e32 v26, v45, v31
	v_mul_f32_e32 v27, v44, v31
	v_fma_f32 v26, v44, v30, -v26
	v_fmac_f32_e32 v27, v45, v30
	v_add_f32_e32 v16, v16, v26
	v_add_f32_e32 v26, v39, v27
	v_mul_f32_e32 v27, v45, v33
	v_mul_f32_e32 v34, v44, v33
	v_fma_f32 v27, v44, v32, -v27
	v_fmac_f32_e32 v34, v45, v32
	v_add_f32_e32 v39, v40, v27
	v_add_f32_e32 v38, v38, v34
	v_mul_f32_e32 v27, v29, v31
	ds_read2_b64 v[34:37], v23 offset0:128 offset1:144
	v_fma_f32 v27, v28, v30, -v27
	v_add_f32_e32 v22, v22, v27
	v_mul_f32_e32 v27, v29, v33
	v_mul_f32_e32 v31, v28, v31
	v_fma_f32 v27, v28, v32, -v27
	v_mul_f32_e32 v28, v28, v33
	v_fmac_f32_e32 v28, v29, v32
	v_add_f32_e32 v20, v20, v28
	s_waitcnt lgkmcnt(0)
	v_mul_f32_e32 v28, v4, v35
	v_add_f32_e32 v18, v18, v27
	v_mul_f32_e32 v27, v5, v35
	v_fmac_f32_e32 v28, v5, v34
	v_fma_f32 v27, v4, v34, -v27
	v_add_f32_e32 v42, v26, v28
	v_mul_f32_e32 v26, v5, v37
	v_fmac_f32_e32 v31, v29, v30
	v_add_f32_e32 v16, v16, v27
	v_fma_f32 v30, v4, v36, -v26
	ds_read_b128 v[26:29], v25 offset:1056
	v_mul_f32_e32 v4, v4, v37
	v_fmac_f32_e32 v4, v5, v36
	v_add_f32_e32 v5, v39, v30
	v_add_f32_e32 v4, v38, v4
	ds_read_b128 v[38:41], v25 offset:1072
	s_waitcnt lgkmcnt(1)
	v_mul_f32_e32 v30, v27, v35
	v_add_f32_e32 v24, v24, v31
	v_fma_f32 v30, v26, v34, -v30
	v_mul_f32_e32 v31, v26, v35
	v_fmac_f32_e32 v31, v27, v34
	v_add_f32_e32 v22, v22, v30
	v_mul_f32_e32 v30, v27, v37
	v_add_f32_e32 v24, v24, v31
	v_fma_f32 v34, v26, v36, -v30
	ds_read2_b64 v[30:33], v23 offset0:160 offset1:176
	v_mul_f32_e32 v26, v26, v37
	v_fmac_f32_e32 v26, v27, v36
	v_add_f32_e32 v20, v20, v26
	v_add_f32_e32 v18, v18, v34
	s_waitcnt lgkmcnt(0)
	v_mul_f32_e32 v26, v7, v31
	v_mul_f32_e32 v27, v6, v31
	v_fma_f32 v26, v6, v30, -v26
	v_fmac_f32_e32 v27, v7, v30
	v_add_f32_e32 v16, v16, v26
	v_add_f32_e32 v26, v42, v27
	v_mul_f32_e32 v27, v7, v33
	v_fma_f32 v27, v6, v32, -v27
	v_mul_f32_e32 v6, v6, v33
	v_fmac_f32_e32 v6, v7, v32
	v_add_f32_e32 v34, v4, v6
	v_mul_f32_e32 v4, v29, v31
	v_add_f32_e32 v27, v5, v27
	v_fma_f32 v4, v28, v30, -v4
	v_mul_f32_e32 v5, v28, v31
	v_fmac_f32_e32 v5, v29, v30
	v_add_f32_e32 v22, v22, v4
	v_mul_f32_e32 v4, v29, v33
	v_add_f32_e32 v24, v24, v5
	v_fma_f32 v30, v28, v32, -v4
	ds_read2_b64 v[4:7], v23 offset0:192 offset1:208
	v_mul_f32_e32 v28, v28, v33
	v_fmac_f32_e32 v28, v29, v32
	v_add_f32_e32 v20, v20, v28
	v_add_f32_e32 v18, v18, v30
	s_waitcnt lgkmcnt(0)
	v_mul_f32_e32 v28, v1, v5
	v_fma_f32 v28, v0, v4, -v28
	v_add_f32_e32 v16, v16, v28
	v_mul_f32_e32 v28, v1, v7
	v_mul_f32_e32 v29, v0, v5
	v_fma_f32 v28, v0, v6, -v28
	v_mul_f32_e32 v0, v0, v7
	v_fmac_f32_e32 v0, v1, v6
	v_add_f32_e32 v0, v34, v0
	ds_read2_b64 v[34:37], v23 offset0:224 offset1:240
	v_fmac_f32_e32 v29, v1, v4
	v_add_f32_e32 v1, v27, v28
	v_mul_f32_e32 v27, v39, v5
	v_fma_f32 v27, v38, v4, -v27
	v_mul_f32_e32 v5, v38, v5
	v_fmac_f32_e32 v5, v39, v4
	v_add_f32_e32 v4, v22, v27
	v_mul_f32_e32 v22, v39, v7
	v_fma_f32 v22, v38, v6, -v22
	v_mul_f32_e32 v7, v38, v7
	v_fmac_f32_e32 v7, v39, v6
	v_add_f32_e32 v6, v18, v22
	s_waitcnt lgkmcnt(0)
	v_mul_f32_e32 v18, v3, v35
	v_fma_f32 v18, v2, v34, -v18
	v_add_f32_e32 v30, v16, v18
	v_mul_f32_e32 v16, v3, v37
	v_add_f32_e32 v7, v20, v7
	v_mul_f32_e32 v20, v2, v35
	v_fma_f32 v16, v2, v36, -v16
	v_mul_f32_e32 v2, v2, v37
	v_add_f32_e32 v26, v26, v29
	v_fmac_f32_e32 v20, v3, v34
	v_fmac_f32_e32 v2, v3, v36
	v_add_f32_e32 v32, v26, v20
	v_add_f32_e32 v26, v1, v16
	v_add_f32_e32 v28, v0, v2
	v_mul_f32_e32 v0, v41, v35
	v_mul_f32_e32 v1, v40, v35
	v_add_f32_e32 v5, v24, v5
	v_fma_f32 v0, v40, v34, -v0
	v_fmac_f32_e32 v1, v41, v34
	v_add_f32_e32 v22, v4, v0
	v_add_f32_e32 v24, v5, v1
	v_mul_f32_e32 v0, v41, v37
	v_mul_f32_e32 v1, v40, v37
	v_fma_f32 v0, v40, v36, -v0
	v_fmac_f32_e32 v1, v41, v36
	s_addc_u32 s3, s3, 0
	v_add_f32_e32 v18, v6, v0
	v_add_f32_e32 v20, v7, v1
	v_mov_b64_e32 v[0:1], s[2:3]
	v_cmp_gt_i64_e32 vcc, s[8:9], v[0:1]
	s_barrier
	s_cbranch_vccz .LBB218_16
.LBB218_8:                              ; =>This Inner Loop Header: Depth=1
	v_mov_b32_e32 v0, 0
	v_mov_b32_e32 v1, 0
	s_and_saveexec_b64 s[16:17], s[0:1]
	s_cbranch_execz .LBB218_12
; %bb.9:                                ;   in Loop: Header=BB218_8 Depth=1
	v_add_u32_e32 v16, s2, v10
	v_cmp_gt_u64_e32 vcc, s[8:9], v[16:17]
	v_mov_b32_e32 v1, 0
	v_mov_b32_e32 v0, 0
	s_and_saveexec_b64 s[18:19], vcc
	s_cbranch_execz .LBB218_11
; %bb.10:                               ;   in Loop: Header=BB218_8 Depth=1
	v_mad_u64_u32 v[0:1], s[22:23], s14, v16, 0
	v_mov_b32_e32 v2, v1
	v_mad_u64_u32 v[2:3], s[22:23], s15, v16, v[2:3]
	v_mov_b32_e32 v1, v2
	v_lshl_add_u64 v[0:1], v[0:1], 3, v[12:13]
	global_load_dwordx2 v[0:1], v[0:1], off
.LBB218_11:                             ;   in Loop: Header=BB218_8 Depth=1
	s_or_b64 exec, exec, s[18:19]
.LBB218_12:                             ;   in Loop: Header=BB218_8 Depth=1
	s_or_b64 exec, exec, s[16:17]
	v_add_u32_e32 v16, s2, v8
	v_cmp_le_u64_e32 vcc, s[8:9], v[16:17]
	s_or_b64 s[16:17], vcc, s[12:13]
	s_waitcnt vmcnt(0)
	ds_write_b64 v19, v[0:1]
	s_and_saveexec_b64 s[18:19], s[16:17]
	s_xor_b64 s[16:17], exec, s[18:19]
; %bb.13:                               ;   in Loop: Header=BB218_8 Depth=1
	ds_write_b32 v21, v17
; %bb.14:                               ;   in Loop: Header=BB218_8 Depth=1
	s_or_saveexec_b64 s[16:17], s[16:17]
	v_mov_b32_e32 v0, 0
	s_xor_b64 exec, exec, s[16:17]
	s_cbranch_execz .LBB218_7
; %bb.15:                               ;   in Loop: Header=BB218_8 Depth=1
	v_mad_u64_u32 v[0:1], s[18:19], s20, v16, 0
	v_mov_b32_e32 v2, v1
	v_mad_u64_u32 v[2:3], s[18:19], s21, v16, v[2:3]
	v_mov_b32_e32 v1, v2
	v_lshl_add_u64 v[0:1], v[0:1], 3, v[14:15]
	global_load_dwordx2 v[2:3], v[0:1], off
	s_waitcnt vmcnt(0)
	v_xor_b32_e32 v0, 0x80000000, v3
	ds_write_b32 v21, v2
	s_branch .LBB218_7
.LBB218_16:
	s_mul_i32 s0, s31, s4
	s_mul_hi_u32 s1, s30, s4
	s_add_i32 s1, s1, s0
	s_mul_i32 s0, s30, s4
	s_lshl_b64 s[0:1], s[0:1], 3
	v_add_u32_e32 v10, s33, v11
	s_add_u32 s4, s26, s0
	v_ashrrev_i32_e32 v1, 31, v10
	s_addc_u32 s5, s27, s1
	v_cmp_neq_f32_e64 s[0:1], s6, 0
	s_xor_b64 s[8:9], s[10:11], -1
	v_mul_lo_u32 v1, s28, v1
	v_mul_lo_u32 v4, s29, v10
	v_mad_u64_u32 v[2:3], s[10:11], s28, v10, 0
	v_add_u32_e32 v0, s25, v9
	v_add3_u32 v3, v3, v1, v4
	s_or_b64 s[0:1], s[0:1], s[8:9]
	s_waitcnt lgkmcnt(0)
	v_cmp_gt_i32_e64 s[2:3], s24, v10
	v_lshl_add_u64 v[4:5], v[2:3], 3, s[4:5]
	v_cmp_le_i32_e32 vcc, v0, v10
	v_cndmask_b32_e64 v2, 0, 1, s[0:1]
	s_and_b64 s[10:11], s[2:3], vcc
	v_ashrrev_i32_e32 v1, 31, v0
	v_cmp_ne_u32_e64 s[0:1], 1, v2
	s_and_saveexec_b64 s[8:9], s[10:11]
	s_cbranch_execz .LBB218_20
; %bb.17:
	v_pk_mul_f32 v[6:7], v[32:33], s[34:35] op_sel:[0,1] op_sel_hi:[0,0]
	v_pk_fma_f32 v[2:3], v[30:31], s[34:35], v[6:7] op_sel_hi:[0,1,1] neg_lo:[0,0,1] neg_hi:[0,0,1]
	v_pk_fma_f32 v[8:9], v[30:31], s[34:35], v[6:7] op_sel_hi:[0,1,1]
	s_and_b64 vcc, exec, s[0:1]
	v_lshl_add_u64 v[6:7], v[0:1], 3, v[4:5]
	s_cbranch_vccnz .LBB218_19
; %bb.18:
	global_load_dwordx2 v[12:13], v[6:7], off
	s_mov_b32 s10, s7
	v_mov_b32_e32 v3, v9
	s_waitcnt vmcnt(0)
	v_pk_mul_f32 v[8:9], v[12:13], s[10:11] op_sel:[1,0] op_sel_hi:[0,0]
	v_pk_fma_f32 v[14:15], v[12:13], s[6:7], v[8:9] neg_lo:[0,0,1] neg_hi:[0,0,1]
	v_pk_fma_f32 v[8:9], v[12:13], s[6:7], v[8:9] op_sel_hi:[1,0,1]
	s_nop 0
	v_mov_b32_e32 v15, v9
	v_pk_add_f32 v[2:3], v[2:3], v[14:15]
	s_nop 0
	v_mov_b32_e32 v9, v3
.LBB218_19:
	v_mov_b32_e32 v3, v9
	global_store_dwordx2 v[6:7], v[2:3], off
.LBB218_20:
	s_or_b64 exec, exec, s[8:9]
	v_add_u32_e32 v2, 16, v0
	v_cmp_le_i32_e32 vcc, v2, v10
	s_and_b64 s[8:9], s[2:3], vcc
	v_ashrrev_i32_e32 v3, 31, v2
	s_and_saveexec_b64 s[2:3], s[8:9]
	s_cbranch_execz .LBB218_24
; %bb.21:
	v_pk_mul_f32 v[8:9], v[28:29], s[34:35] op_sel:[0,1] op_sel_hi:[0,0]
	v_pk_fma_f32 v[6:7], v[26:27], s[34:35], v[8:9] op_sel_hi:[0,1,1] neg_lo:[0,0,1] neg_hi:[0,0,1]
	v_pk_fma_f32 v[8:9], v[26:27], s[34:35], v[8:9] op_sel_hi:[0,1,1]
	s_and_b64 vcc, exec, s[0:1]
	v_lshl_add_u64 v[4:5], v[2:3], 3, v[4:5]
	s_cbranch_vccnz .LBB218_23
; %bb.22:
	global_load_dwordx2 v[12:13], v[4:5], off
	s_mov_b32 s8, s7
	v_mov_b32_e32 v7, v9
	s_waitcnt vmcnt(0)
	v_pk_mul_f32 v[8:9], v[12:13], s[8:9] op_sel:[1,0] op_sel_hi:[0,0]
	v_pk_fma_f32 v[14:15], v[12:13], s[6:7], v[8:9] neg_lo:[0,0,1] neg_hi:[0,0,1]
	v_pk_fma_f32 v[8:9], v[12:13], s[6:7], v[8:9] op_sel_hi:[1,0,1]
	s_nop 0
	v_mov_b32_e32 v15, v9
	v_pk_add_f32 v[6:7], v[6:7], v[14:15]
	s_nop 0
	v_mov_b32_e32 v9, v7
.LBB218_23:
	v_mov_b32_e32 v7, v9
	global_store_dwordx2 v[4:5], v[6:7], off
.LBB218_24:
	s_or_b64 exec, exec, s[2:3]
	v_add_u32_e32 v10, 16, v10
	v_ashrrev_i32_e32 v4, 31, v10
	v_mul_lo_u32 v6, s28, v4
	v_mul_lo_u32 v7, s29, v10
	v_mad_u64_u32 v[4:5], s[8:9], s28, v10, 0
	v_cmp_gt_i32_e64 s[2:3], s24, v10
	v_add3_u32 v5, v5, v6, v7
	v_cmp_le_i32_e32 vcc, v0, v10
	v_lshl_add_u64 v[4:5], v[4:5], 3, s[4:5]
	s_and_b64 s[8:9], s[2:3], vcc
	s_and_saveexec_b64 s[4:5], s[8:9]
	s_cbranch_execz .LBB218_28
; %bb.25:
	v_pk_mul_f32 v[8:9], v[24:25], s[34:35] op_sel:[0,1] op_sel_hi:[0,0]
	v_pk_fma_f32 v[6:7], v[22:23], s[34:35], v[8:9] op_sel_hi:[0,1,1] neg_lo:[0,0,1] neg_hi:[0,0,1]
	v_pk_fma_f32 v[8:9], v[22:23], s[34:35], v[8:9] op_sel_hi:[0,1,1]
	s_and_b64 vcc, exec, s[0:1]
	v_lshl_add_u64 v[0:1], v[0:1], 3, v[4:5]
	s_cbranch_vccnz .LBB218_27
; %bb.26:
	global_load_dwordx2 v[12:13], v[0:1], off
	s_mov_b32 s8, s7
	v_mov_b32_e32 v7, v9
	s_waitcnt vmcnt(0)
	v_pk_mul_f32 v[8:9], v[12:13], s[8:9] op_sel:[1,0] op_sel_hi:[0,0]
	v_pk_fma_f32 v[14:15], v[12:13], s[6:7], v[8:9] neg_lo:[0,0,1] neg_hi:[0,0,1]
	v_pk_fma_f32 v[8:9], v[12:13], s[6:7], v[8:9] op_sel_hi:[1,0,1]
	s_nop 0
	v_mov_b32_e32 v15, v9
	v_pk_add_f32 v[6:7], v[6:7], v[14:15]
	s_nop 0
	v_mov_b32_e32 v9, v7
.LBB218_27:
	v_mov_b32_e32 v7, v9
	global_store_dwordx2 v[0:1], v[6:7], off
.LBB218_28:
	s_or_b64 exec, exec, s[4:5]
	v_cmp_le_i32_e32 vcc, v2, v10
	s_and_b64 s[2:3], s[2:3], vcc
	s_and_saveexec_b64 s[4:5], s[2:3]
	s_cbranch_execz .LBB218_32
; %bb.29:
	v_pk_mul_f32 v[6:7], v[20:21], s[34:35] op_sel:[0,1] op_sel_hi:[0,0]
	v_pk_fma_f32 v[0:1], v[18:19], s[34:35], v[6:7] op_sel_hi:[0,1,1] neg_lo:[0,0,1] neg_hi:[0,0,1]
	v_pk_fma_f32 v[6:7], v[18:19], s[34:35], v[6:7] op_sel_hi:[0,1,1]
	s_and_b64 vcc, exec, s[0:1]
	v_lshl_add_u64 v[2:3], v[2:3], 3, v[4:5]
	s_cbranch_vccnz .LBB218_31
; %bb.30:
	global_load_dwordx2 v[4:5], v[2:3], off
	s_mov_b32 s0, s7
	v_mov_b32_e32 v1, v7
	s_waitcnt vmcnt(0)
	v_pk_mul_f32 v[6:7], v[4:5], s[0:1] op_sel:[1,0] op_sel_hi:[0,0]
	v_pk_fma_f32 v[8:9], v[4:5], s[6:7], v[6:7] neg_lo:[0,0,1] neg_hi:[0,0,1]
	v_pk_fma_f32 v[4:5], v[4:5], s[6:7], v[6:7] op_sel_hi:[1,0,1]
	s_nop 0
	v_mov_b32_e32 v9, v5
	v_pk_add_f32 v[0:1], v[0:1], v[8:9]
	s_nop 0
	v_mov_b32_e32 v7, v1
.LBB218_31:
	v_mov_b32_e32 v1, v7
	global_store_dwordx2 v[2:3], v[0:1], off
.LBB218_32:
	s_endpgm
	.section	.rodata,"a",@progbits
	.p2align	6, 0x0
	.amdhsa_kernel _ZL29rocblas_internal_gemmt_kernelIlLi16ELi32ELi8ELc78ELc67ELc85ELb0ELb1E19rocblas_complex_numIfEPKS1_S3_PS1_EviT_T9_T10_S5_lS7_S5_lS6_T11_S5_li
		.amdhsa_group_segment_fixed_size 4096
		.amdhsa_private_segment_fixed_size 0
		.amdhsa_kernarg_size 108
		.amdhsa_user_sgpr_count 2
		.amdhsa_user_sgpr_dispatch_ptr 0
		.amdhsa_user_sgpr_queue_ptr 0
		.amdhsa_user_sgpr_kernarg_segment_ptr 1
		.amdhsa_user_sgpr_dispatch_id 0
		.amdhsa_user_sgpr_kernarg_preload_length 0
		.amdhsa_user_sgpr_kernarg_preload_offset 0
		.amdhsa_user_sgpr_private_segment_size 0
		.amdhsa_uses_dynamic_stack 0
		.amdhsa_enable_private_segment 0
		.amdhsa_system_sgpr_workgroup_id_x 1
		.amdhsa_system_sgpr_workgroup_id_y 1
		.amdhsa_system_sgpr_workgroup_id_z 1
		.amdhsa_system_sgpr_workgroup_info 0
		.amdhsa_system_vgpr_workitem_id 1
		.amdhsa_next_free_vgpr 51
		.amdhsa_next_free_sgpr 40
		.amdhsa_accum_offset 52
		.amdhsa_reserve_vcc 1
		.amdhsa_float_round_mode_32 0
		.amdhsa_float_round_mode_16_64 0
		.amdhsa_float_denorm_mode_32 3
		.amdhsa_float_denorm_mode_16_64 3
		.amdhsa_dx10_clamp 1
		.amdhsa_ieee_mode 1
		.amdhsa_fp16_overflow 0
		.amdhsa_tg_split 0
		.amdhsa_exception_fp_ieee_invalid_op 0
		.amdhsa_exception_fp_denorm_src 0
		.amdhsa_exception_fp_ieee_div_zero 0
		.amdhsa_exception_fp_ieee_overflow 0
		.amdhsa_exception_fp_ieee_underflow 0
		.amdhsa_exception_fp_ieee_inexact 0
		.amdhsa_exception_int_div_zero 0
	.end_amdhsa_kernel
	.section	.text._ZL29rocblas_internal_gemmt_kernelIlLi16ELi32ELi8ELc78ELc67ELc85ELb0ELb1E19rocblas_complex_numIfEPKS1_S3_PS1_EviT_T9_T10_S5_lS7_S5_lS6_T11_S5_li,"axG",@progbits,_ZL29rocblas_internal_gemmt_kernelIlLi16ELi32ELi8ELc78ELc67ELc85ELb0ELb1E19rocblas_complex_numIfEPKS1_S3_PS1_EviT_T9_T10_S5_lS7_S5_lS6_T11_S5_li,comdat
.Lfunc_end218:
	.size	_ZL29rocblas_internal_gemmt_kernelIlLi16ELi32ELi8ELc78ELc67ELc85ELb0ELb1E19rocblas_complex_numIfEPKS1_S3_PS1_EviT_T9_T10_S5_lS7_S5_lS6_T11_S5_li, .Lfunc_end218-_ZL29rocblas_internal_gemmt_kernelIlLi16ELi32ELi8ELc78ELc67ELc85ELb0ELb1E19rocblas_complex_numIfEPKS1_S3_PS1_EviT_T9_T10_S5_lS7_S5_lS6_T11_S5_li
                                        ; -- End function
	.set _ZL29rocblas_internal_gemmt_kernelIlLi16ELi32ELi8ELc78ELc67ELc85ELb0ELb1E19rocblas_complex_numIfEPKS1_S3_PS1_EviT_T9_T10_S5_lS7_S5_lS6_T11_S5_li.num_vgpr, 51
	.set _ZL29rocblas_internal_gemmt_kernelIlLi16ELi32ELi8ELc78ELc67ELc85ELb0ELb1E19rocblas_complex_numIfEPKS1_S3_PS1_EviT_T9_T10_S5_lS7_S5_lS6_T11_S5_li.num_agpr, 0
	.set _ZL29rocblas_internal_gemmt_kernelIlLi16ELi32ELi8ELc78ELc67ELc85ELb0ELb1E19rocblas_complex_numIfEPKS1_S3_PS1_EviT_T9_T10_S5_lS7_S5_lS6_T11_S5_li.numbered_sgpr, 40
	.set _ZL29rocblas_internal_gemmt_kernelIlLi16ELi32ELi8ELc78ELc67ELc85ELb0ELb1E19rocblas_complex_numIfEPKS1_S3_PS1_EviT_T9_T10_S5_lS7_S5_lS6_T11_S5_li.num_named_barrier, 0
	.set _ZL29rocblas_internal_gemmt_kernelIlLi16ELi32ELi8ELc78ELc67ELc85ELb0ELb1E19rocblas_complex_numIfEPKS1_S3_PS1_EviT_T9_T10_S5_lS7_S5_lS6_T11_S5_li.private_seg_size, 0
	.set _ZL29rocblas_internal_gemmt_kernelIlLi16ELi32ELi8ELc78ELc67ELc85ELb0ELb1E19rocblas_complex_numIfEPKS1_S3_PS1_EviT_T9_T10_S5_lS7_S5_lS6_T11_S5_li.uses_vcc, 1
	.set _ZL29rocblas_internal_gemmt_kernelIlLi16ELi32ELi8ELc78ELc67ELc85ELb0ELb1E19rocblas_complex_numIfEPKS1_S3_PS1_EviT_T9_T10_S5_lS7_S5_lS6_T11_S5_li.uses_flat_scratch, 0
	.set _ZL29rocblas_internal_gemmt_kernelIlLi16ELi32ELi8ELc78ELc67ELc85ELb0ELb1E19rocblas_complex_numIfEPKS1_S3_PS1_EviT_T9_T10_S5_lS7_S5_lS6_T11_S5_li.has_dyn_sized_stack, 0
	.set _ZL29rocblas_internal_gemmt_kernelIlLi16ELi32ELi8ELc78ELc67ELc85ELb0ELb1E19rocblas_complex_numIfEPKS1_S3_PS1_EviT_T9_T10_S5_lS7_S5_lS6_T11_S5_li.has_recursion, 0
	.set _ZL29rocblas_internal_gemmt_kernelIlLi16ELi32ELi8ELc78ELc67ELc85ELb0ELb1E19rocblas_complex_numIfEPKS1_S3_PS1_EviT_T9_T10_S5_lS7_S5_lS6_T11_S5_li.has_indirect_call, 0
	.section	.AMDGPU.csdata,"",@progbits
; Kernel info:
; codeLenInByte = 2532
; TotalNumSgprs: 46
; NumVgprs: 51
; NumAgprs: 0
; TotalNumVgprs: 51
; ScratchSize: 0
; MemoryBound: 0
; FloatMode: 240
; IeeeMode: 1
; LDSByteSize: 4096 bytes/workgroup (compile time only)
; SGPRBlocks: 5
; VGPRBlocks: 6
; NumSGPRsForWavesPerEU: 46
; NumVGPRsForWavesPerEU: 51
; AccumOffset: 52
; Occupancy: 8
; WaveLimiterHint : 0
; COMPUTE_PGM_RSRC2:SCRATCH_EN: 0
; COMPUTE_PGM_RSRC2:USER_SGPR: 2
; COMPUTE_PGM_RSRC2:TRAP_HANDLER: 0
; COMPUTE_PGM_RSRC2:TGID_X_EN: 1
; COMPUTE_PGM_RSRC2:TGID_Y_EN: 1
; COMPUTE_PGM_RSRC2:TGID_Z_EN: 1
; COMPUTE_PGM_RSRC2:TIDIG_COMP_CNT: 1
; COMPUTE_PGM_RSRC3_GFX90A:ACCUM_OFFSET: 12
; COMPUTE_PGM_RSRC3_GFX90A:TG_SPLIT: 0
	.section	.text._ZL29rocblas_internal_gemmt_kernelIlLi16ELi32ELi8ELc84ELc78ELc85ELb0ELb0E19rocblas_complex_numIfEPKS1_S3_PS1_EviT_T9_T10_S5_lS7_S5_lS6_T11_S5_li,"axG",@progbits,_ZL29rocblas_internal_gemmt_kernelIlLi16ELi32ELi8ELc84ELc78ELc85ELb0ELb0E19rocblas_complex_numIfEPKS1_S3_PS1_EviT_T9_T10_S5_lS7_S5_lS6_T11_S5_li,comdat
	.globl	_ZL29rocblas_internal_gemmt_kernelIlLi16ELi32ELi8ELc84ELc78ELc85ELb0ELb0E19rocblas_complex_numIfEPKS1_S3_PS1_EviT_T9_T10_S5_lS7_S5_lS6_T11_S5_li ; -- Begin function _ZL29rocblas_internal_gemmt_kernelIlLi16ELi32ELi8ELc84ELc78ELc85ELb0ELb0E19rocblas_complex_numIfEPKS1_S3_PS1_EviT_T9_T10_S5_lS7_S5_lS6_T11_S5_li
	.p2align	8
	.type	_ZL29rocblas_internal_gemmt_kernelIlLi16ELi32ELi8ELc84ELc78ELc85ELb0ELb0E19rocblas_complex_numIfEPKS1_S3_PS1_EviT_T9_T10_S5_lS7_S5_lS6_T11_S5_li,@function
_ZL29rocblas_internal_gemmt_kernelIlLi16ELi32ELi8ELc84ELc78ELc85ELb0ELb0E19rocblas_complex_numIfEPKS1_S3_PS1_EviT_T9_T10_S5_lS7_S5_lS6_T11_S5_li: ; @_ZL29rocblas_internal_gemmt_kernelIlLi16ELi32ELi8ELc84ELc78ELc85ELb0ELb0E19rocblas_complex_numIfEPKS1_S3_PS1_EviT_T9_T10_S5_lS7_S5_lS6_T11_S5_li
; %bb.0:
	s_load_dwordx8 s[24:31], s[0:1], 0x48
	s_load_dwordx16 s[8:23], s[0:1], 0x8
	s_waitcnt lgkmcnt(0)
	s_load_dwordx2 s[6:7], s[24:25], 0x0
	s_load_dwordx2 s[34:35], s[10:11], 0x0
	s_waitcnt lgkmcnt(0)
	s_and_b32 s5, s7, 0x7fffffff
	s_cmp_eq_u32 s5, 0
	v_cmp_eq_f32_e64 s[24:25], s6, 1.0
	s_cselect_b64 s[10:11], -1, 0
	s_and_b64 s[24:25], s[24:25], s[10:11]
	s_and_b64 vcc, exec, s[24:25]
	s_cbranch_vccnz .LBB219_2
; %bb.1:
	s_mov_b64 s[24:25], -1
	s_cbranch_execz .LBB219_3
	s_branch .LBB219_4
.LBB219_2:
	s_mov_b64 s[24:25], 0
.LBB219_3:
	s_cmp_lg_u64 s[8:9], 0
	v_cmp_neq_f32_e64 s[36:37], s34, 0
	v_cmp_neq_f32_e64 s[38:39], s35, 0
	s_cselect_b64 s[24:25], -1, 0
	s_or_b64 s[36:37], s[36:37], s[38:39]
	s_and_b64 s[24:25], s[24:25], s[36:37]
.LBB219_4:
	s_andn2_b64 vcc, exec, s[24:25]
	s_cbranch_vccnz .LBB219_30
; %bb.5:
	s_load_dword s24, s[0:1], 0x0
	s_lshl_b32 s25, s2, 5
	s_lshl_b32 s33, s3, 5
	v_cmp_eq_f32_e64 s[0:1], s34, 0
	v_cmp_eq_f32_e64 s[2:3], s35, 0
	s_and_b64 s[0:1], s[0:1], s[2:3]
	v_cmp_lt_i64_e64 s[2:3], s[8:9], 1
	s_or_b64 s[0:1], s[0:1], s[2:3]
	v_and_b32_e32 v9, 0x3ff, v0
	v_bfe_u32 v11, v0, 10, 10
	v_mov_b32_e32 v30, 0
	s_and_b64 vcc, exec, s[0:1]
	v_mov_b32_e32 v32, 0
	v_mov_b32_e32 v26, 0
	;; [unrolled: 1-line block ×7, first 2 shown]
	s_cbranch_vccnz .LBB219_14
; %bb.6:
	s_mul_i32 s0, s23, s4
	s_mul_hi_u32 s1, s22, s4
	s_add_i32 s1, s1, s0
	s_mul_i32 s0, s22, s4
	s_lshl_b64 s[0:1], s[0:1], 3
	s_add_u32 s18, s18, s0
	s_addc_u32 s19, s19, s1
	s_mul_i32 s0, s17, s4
	s_mul_hi_u32 s1, s16, s4
	s_add_i32 s1, s1, s0
	s_mul_i32 s0, s16, s4
	v_lshl_add_u32 v0, v11, 4, v9
	s_lshl_b64 s[0:1], s[0:1], 3
	v_lshrrev_b32_e32 v10, 5, v0
	v_lshrrev_b32_e32 v2, 3, v0
	v_and_b32_e32 v0, 31, v0
	s_add_u32 s2, s12, s0
	v_or_b32_e32 v1, s25, v0
	s_addc_u32 s3, s13, s1
	v_lshlrev_b32_e32 v0, 3, v0
	s_ashr_i32 s5, s25, 31
	s_waitcnt lgkmcnt(0)
	v_cmp_gt_i32_e64 s[0:1], s24, v1
	v_lshl_or_b32 v19, v10, 8, v0
	v_mul_lo_u32 v4, s15, v1
	v_mad_u64_u32 v[0:1], s[12:13], s14, v1, 0
	s_mul_i32 s5, s14, s5
	v_and_b32_e32 v8, 7, v9
	v_add3_u32 v1, v1, s5, v4
	v_lshl_add_u64 v[12:13], v[0:1], 3, s[2:3]
	v_lshlrev_b32_e32 v0, 3, v8
	v_add_u32_e32 v3, s33, v2
	v_lshl_or_b32 v0, v2, 6, v0
	v_add_u32_e32 v21, 0x800, v0
	v_ashrrev_i32_e32 v0, 31, v3
	v_mul_lo_u32 v2, s20, v0
	v_mul_lo_u32 v4, s21, v3
	v_mad_u64_u32 v[0:1], s[12:13], s20, v3, 0
	v_add3_u32 v1, v1, v2, v4
	v_lshl_add_u64 v[14:15], v[0:1], 3, s[18:19]
	v_mov_b32_e32 v0, 0x800
	v_cmp_gt_i32_e64 s[2:3], s24, v3
	v_lshlrev_b32_e32 v23, 3, v9
	v_lshl_add_u32 v25, v11, 6, v0
	v_mov_b32_e32 v17, 0
	s_mov_b64 s[12:13], 0
	v_mov_b32_e32 v20, 0
	v_mov_b32_e32 v18, 0
	;; [unrolled: 1-line block ×8, first 2 shown]
	s_branch .LBB219_8
.LBB219_7:                              ;   in Loop: Header=BB219_8 Depth=1
	s_or_b64 exec, exec, s[14:15]
	s_waitcnt vmcnt(0)
	ds_write_b64 v21, v[0:1]
	s_waitcnt lgkmcnt(0)
	s_barrier
	ds_read2_b64 v[34:37], v23 offset1:16
	ds_read_b128 v[38:41], v25
	ds_read_b128 v[42:45], v25 offset:16
	ds_read_b128 v[4:7], v25 offset:32
	;; [unrolled: 1-line block ×3, first 2 shown]
	s_add_u32 s12, s12, 8
	s_waitcnt lgkmcnt(3)
	v_mul_f32_e32 v16, v39, v35
	v_mul_f32_e32 v27, v38, v35
	v_fma_f32 v16, v38, v34, -v16
	v_fmac_f32_e32 v27, v39, v34
	v_add_f32_e32 v16, v30, v16
	v_add_f32_e32 v50, v32, v27
	ds_read_b128 v[30:33], v25 offset:1024
	v_mul_f32_e32 v27, v39, v37
	v_mul_f32_e32 v29, v38, v37
	v_fma_f32 v27, v38, v36, -v27
	v_fmac_f32_e32 v29, v39, v36
	v_add_f32_e32 v38, v26, v27
	v_add_f32_e32 v39, v28, v29
	ds_read_b128 v[26:29], v25 offset:1040
	s_waitcnt lgkmcnt(1)
	v_mul_f32_e32 v46, v31, v35
	v_fma_f32 v46, v30, v34, -v46
	v_add_f32_e32 v22, v22, v46
	ds_read2_b64 v[46:49], v23 offset0:32 offset1:48
	v_mul_f32_e32 v35, v30, v35
	v_fmac_f32_e32 v35, v31, v34
	v_mul_f32_e32 v34, v31, v37
	v_fma_f32 v34, v30, v36, -v34
	v_mul_f32_e32 v30, v30, v37
	v_fmac_f32_e32 v30, v31, v36
	v_add_f32_e32 v20, v20, v30
	s_waitcnt lgkmcnt(0)
	v_mul_f32_e32 v30, v41, v47
	v_mul_f32_e32 v31, v40, v47
	v_fma_f32 v30, v40, v46, -v30
	v_fmac_f32_e32 v31, v41, v46
	v_add_f32_e32 v18, v18, v34
	v_add_f32_e32 v16, v16, v30
	;; [unrolled: 1-line block ×3, first 2 shown]
	v_mul_f32_e32 v31, v41, v49
	v_mul_f32_e32 v34, v40, v49
	v_fma_f32 v31, v40, v48, -v31
	v_fmac_f32_e32 v34, v41, v48
	v_add_f32_e32 v31, v38, v31
	v_add_f32_e32 v38, v39, v34
	v_mul_f32_e32 v34, v33, v47
	v_add_f32_e32 v24, v24, v35
	v_fma_f32 v34, v32, v46, -v34
	v_mul_f32_e32 v35, v32, v47
	v_fmac_f32_e32 v35, v33, v46
	v_add_f32_e32 v22, v22, v34
	v_mul_f32_e32 v34, v33, v49
	v_add_f32_e32 v24, v24, v35
	v_fma_f32 v39, v32, v48, -v34
	ds_read2_b64 v[34:37], v23 offset0:64 offset1:80
	v_mul_f32_e32 v32, v32, v49
	v_fmac_f32_e32 v32, v33, v48
	v_add_f32_e32 v18, v18, v39
	v_add_f32_e32 v20, v20, v32
	s_waitcnt lgkmcnt(0)
	v_mul_f32_e32 v33, v42, v35
	v_fmac_f32_e32 v33, v43, v34
	v_add_f32_e32 v39, v30, v33
	v_mul_f32_e32 v30, v43, v37
	v_mul_f32_e32 v32, v43, v35
	v_fma_f32 v30, v42, v36, -v30
	v_fma_f32 v32, v42, v34, -v32
	v_add_f32_e32 v40, v31, v30
	v_mul_f32_e32 v30, v27, v35
	v_add_f32_e32 v16, v16, v32
	v_mul_f32_e32 v32, v42, v37
	v_fma_f32 v30, v26, v34, -v30
	v_mul_f32_e32 v31, v26, v35
	v_fmac_f32_e32 v32, v43, v36
	v_fmac_f32_e32 v31, v27, v34
	v_add_f32_e32 v22, v22, v30
	v_mul_f32_e32 v30, v27, v37
	v_add_f32_e32 v38, v38, v32
	v_add_f32_e32 v24, v24, v31
	v_fma_f32 v34, v26, v36, -v30
	ds_read2_b64 v[30:33], v23 offset0:96 offset1:112
	v_mul_f32_e32 v26, v26, v37
	v_fmac_f32_e32 v26, v27, v36
	v_add_f32_e32 v20, v20, v26
	v_add_f32_e32 v18, v18, v34
	s_waitcnt lgkmcnt(0)
	v_mul_f32_e32 v26, v45, v31
	v_mul_f32_e32 v27, v44, v31
	v_fma_f32 v26, v44, v30, -v26
	v_fmac_f32_e32 v27, v45, v30
	v_add_f32_e32 v16, v16, v26
	v_add_f32_e32 v26, v39, v27
	v_mul_f32_e32 v27, v45, v33
	v_mul_f32_e32 v34, v44, v33
	v_fma_f32 v27, v44, v32, -v27
	v_fmac_f32_e32 v34, v45, v32
	v_add_f32_e32 v39, v40, v27
	v_add_f32_e32 v38, v38, v34
	v_mul_f32_e32 v27, v29, v31
	ds_read2_b64 v[34:37], v23 offset0:128 offset1:144
	v_fma_f32 v27, v28, v30, -v27
	v_add_f32_e32 v22, v22, v27
	v_mul_f32_e32 v27, v29, v33
	v_mul_f32_e32 v31, v28, v31
	v_fma_f32 v27, v28, v32, -v27
	v_mul_f32_e32 v28, v28, v33
	v_fmac_f32_e32 v28, v29, v32
	v_add_f32_e32 v20, v20, v28
	s_waitcnt lgkmcnt(0)
	v_mul_f32_e32 v28, v4, v35
	v_add_f32_e32 v18, v18, v27
	v_mul_f32_e32 v27, v5, v35
	v_fmac_f32_e32 v28, v5, v34
	v_fma_f32 v27, v4, v34, -v27
	v_add_f32_e32 v42, v26, v28
	v_mul_f32_e32 v26, v5, v37
	v_fmac_f32_e32 v31, v29, v30
	v_add_f32_e32 v16, v16, v27
	v_fma_f32 v30, v4, v36, -v26
	ds_read_b128 v[26:29], v25 offset:1056
	v_mul_f32_e32 v4, v4, v37
	v_fmac_f32_e32 v4, v5, v36
	v_add_f32_e32 v5, v39, v30
	v_add_f32_e32 v4, v38, v4
	ds_read_b128 v[38:41], v25 offset:1072
	s_waitcnt lgkmcnt(1)
	v_mul_f32_e32 v30, v27, v35
	v_add_f32_e32 v24, v24, v31
	v_fma_f32 v30, v26, v34, -v30
	v_mul_f32_e32 v31, v26, v35
	v_fmac_f32_e32 v31, v27, v34
	v_add_f32_e32 v22, v22, v30
	v_mul_f32_e32 v30, v27, v37
	v_add_f32_e32 v24, v24, v31
	v_fma_f32 v34, v26, v36, -v30
	ds_read2_b64 v[30:33], v23 offset0:160 offset1:176
	v_mul_f32_e32 v26, v26, v37
	v_fmac_f32_e32 v26, v27, v36
	v_add_f32_e32 v20, v20, v26
	v_add_f32_e32 v18, v18, v34
	s_waitcnt lgkmcnt(0)
	v_mul_f32_e32 v26, v7, v31
	v_mul_f32_e32 v27, v6, v31
	v_fma_f32 v26, v6, v30, -v26
	v_fmac_f32_e32 v27, v7, v30
	v_add_f32_e32 v16, v16, v26
	v_add_f32_e32 v26, v42, v27
	v_mul_f32_e32 v27, v7, v33
	v_fma_f32 v27, v6, v32, -v27
	v_mul_f32_e32 v6, v6, v33
	v_fmac_f32_e32 v6, v7, v32
	v_add_f32_e32 v34, v4, v6
	v_mul_f32_e32 v4, v29, v31
	v_add_f32_e32 v27, v5, v27
	v_fma_f32 v4, v28, v30, -v4
	v_mul_f32_e32 v5, v28, v31
	v_fmac_f32_e32 v5, v29, v30
	v_add_f32_e32 v22, v22, v4
	v_mul_f32_e32 v4, v29, v33
	v_add_f32_e32 v24, v24, v5
	v_fma_f32 v30, v28, v32, -v4
	ds_read2_b64 v[4:7], v23 offset0:192 offset1:208
	v_mul_f32_e32 v28, v28, v33
	v_fmac_f32_e32 v28, v29, v32
	v_add_f32_e32 v20, v20, v28
	v_add_f32_e32 v18, v18, v30
	s_waitcnt lgkmcnt(0)
	v_mul_f32_e32 v28, v1, v5
	v_fma_f32 v28, v0, v4, -v28
	v_add_f32_e32 v16, v16, v28
	v_mul_f32_e32 v28, v1, v7
	v_mul_f32_e32 v29, v0, v5
	v_fma_f32 v28, v0, v6, -v28
	v_mul_f32_e32 v0, v0, v7
	v_fmac_f32_e32 v0, v1, v6
	v_add_f32_e32 v0, v34, v0
	ds_read2_b64 v[34:37], v23 offset0:224 offset1:240
	v_fmac_f32_e32 v29, v1, v4
	v_add_f32_e32 v1, v27, v28
	v_mul_f32_e32 v27, v39, v5
	v_fma_f32 v27, v38, v4, -v27
	v_mul_f32_e32 v5, v38, v5
	v_fmac_f32_e32 v5, v39, v4
	v_add_f32_e32 v4, v22, v27
	v_mul_f32_e32 v22, v39, v7
	v_fma_f32 v22, v38, v6, -v22
	v_mul_f32_e32 v7, v38, v7
	v_fmac_f32_e32 v7, v39, v6
	v_add_f32_e32 v6, v18, v22
	s_waitcnt lgkmcnt(0)
	v_mul_f32_e32 v18, v3, v35
	v_fma_f32 v18, v2, v34, -v18
	v_add_f32_e32 v30, v16, v18
	v_mul_f32_e32 v16, v3, v37
	v_add_f32_e32 v7, v20, v7
	v_mul_f32_e32 v20, v2, v35
	v_fma_f32 v16, v2, v36, -v16
	v_mul_f32_e32 v2, v2, v37
	v_add_f32_e32 v26, v26, v29
	v_fmac_f32_e32 v20, v3, v34
	v_fmac_f32_e32 v2, v3, v36
	v_add_f32_e32 v32, v26, v20
	v_add_f32_e32 v26, v1, v16
	;; [unrolled: 1-line block ×3, first 2 shown]
	v_mul_f32_e32 v0, v41, v35
	v_mul_f32_e32 v1, v40, v35
	v_add_f32_e32 v5, v24, v5
	v_fma_f32 v0, v40, v34, -v0
	v_fmac_f32_e32 v1, v41, v34
	v_add_f32_e32 v22, v4, v0
	v_add_f32_e32 v24, v5, v1
	v_mul_f32_e32 v0, v41, v37
	v_mul_f32_e32 v1, v40, v37
	v_fma_f32 v0, v40, v36, -v0
	v_fmac_f32_e32 v1, v41, v36
	s_addc_u32 s13, s13, 0
	v_add_f32_e32 v18, v6, v0
	v_add_f32_e32 v20, v7, v1
	v_mov_b64_e32 v[0:1], s[12:13]
	v_cmp_gt_i64_e32 vcc, s[8:9], v[0:1]
	s_barrier
	s_cbranch_vccz .LBB219_14
.LBB219_8:                              ; =>This Inner Loop Header: Depth=1
	v_mov_b32_e32 v0, 0
	v_mov_b32_e32 v1, 0
	s_and_saveexec_b64 s[14:15], s[0:1]
	s_cbranch_execz .LBB219_12
; %bb.9:                                ;   in Loop: Header=BB219_8 Depth=1
	v_add_u32_e32 v16, s12, v10
	v_cmp_gt_u64_e32 vcc, s[8:9], v[16:17]
	v_mov_b32_e32 v1, 0
	v_mov_b32_e32 v0, 0
	s_and_saveexec_b64 s[16:17], vcc
	s_cbranch_execz .LBB219_11
; %bb.10:                               ;   in Loop: Header=BB219_8 Depth=1
	v_lshl_add_u64 v[0:1], v[16:17], 3, v[12:13]
	global_load_dwordx2 v[0:1], v[0:1], off
.LBB219_11:                             ;   in Loop: Header=BB219_8 Depth=1
	s_or_b64 exec, exec, s[16:17]
.LBB219_12:                             ;   in Loop: Header=BB219_8 Depth=1
	s_or_b64 exec, exec, s[14:15]
	v_add_u32_e32 v16, s12, v8
	v_cmp_gt_u64_e32 vcc, s[8:9], v[16:17]
	s_waitcnt vmcnt(0)
	ds_write_b64 v19, v[0:1]
	s_and_b64 s[16:17], vcc, s[2:3]
	v_mov_b32_e32 v0, 0
	v_mov_b32_e32 v1, 0
	s_and_saveexec_b64 s[14:15], s[16:17]
	s_cbranch_execz .LBB219_7
; %bb.13:                               ;   in Loop: Header=BB219_8 Depth=1
	v_lshl_add_u64 v[0:1], v[16:17], 3, v[14:15]
	global_load_dwordx2 v[0:1], v[0:1], off
	s_branch .LBB219_7
.LBB219_14:
	s_mul_i32 s0, s31, s4
	s_mul_hi_u32 s1, s30, s4
	s_add_i32 s1, s1, s0
	s_mul_i32 s0, s30, s4
	s_lshl_b64 s[0:1], s[0:1], 3
	v_add_u32_e32 v10, s33, v11
	s_add_u32 s4, s26, s0
	v_ashrrev_i32_e32 v1, 31, v10
	s_addc_u32 s5, s27, s1
	v_cmp_neq_f32_e64 s[0:1], s6, 0
	s_xor_b64 s[8:9], s[10:11], -1
	v_mul_lo_u32 v1, s28, v1
	v_mul_lo_u32 v4, s29, v10
	v_mad_u64_u32 v[2:3], s[10:11], s28, v10, 0
	v_add_u32_e32 v0, s25, v9
	v_add3_u32 v3, v3, v1, v4
	s_or_b64 s[0:1], s[0:1], s[8:9]
	s_waitcnt lgkmcnt(0)
	v_cmp_gt_i32_e64 s[2:3], s24, v10
	v_lshl_add_u64 v[4:5], v[2:3], 3, s[4:5]
	v_cmp_le_i32_e32 vcc, v0, v10
	v_cndmask_b32_e64 v2, 0, 1, s[0:1]
	s_and_b64 s[10:11], s[2:3], vcc
	v_ashrrev_i32_e32 v1, 31, v0
	v_cmp_ne_u32_e64 s[0:1], 1, v2
	s_and_saveexec_b64 s[8:9], s[10:11]
	s_cbranch_execz .LBB219_18
; %bb.15:
	v_pk_mul_f32 v[6:7], v[32:33], s[34:35] op_sel:[0,1] op_sel_hi:[0,0]
	v_pk_fma_f32 v[2:3], v[30:31], s[34:35], v[6:7] op_sel_hi:[0,1,1] neg_lo:[0,0,1] neg_hi:[0,0,1]
	v_pk_fma_f32 v[8:9], v[30:31], s[34:35], v[6:7] op_sel_hi:[0,1,1]
	s_and_b64 vcc, exec, s[0:1]
	v_lshl_add_u64 v[6:7], v[0:1], 3, v[4:5]
	s_cbranch_vccnz .LBB219_17
; %bb.16:
	global_load_dwordx2 v[12:13], v[6:7], off
	s_mov_b32 s10, s7
	v_mov_b32_e32 v3, v9
	s_waitcnt vmcnt(0)
	v_pk_mul_f32 v[8:9], v[12:13], s[10:11] op_sel:[1,0] op_sel_hi:[0,0]
	v_pk_fma_f32 v[14:15], v[12:13], s[6:7], v[8:9] neg_lo:[0,0,1] neg_hi:[0,0,1]
	v_pk_fma_f32 v[8:9], v[12:13], s[6:7], v[8:9] op_sel_hi:[1,0,1]
	s_nop 0
	v_mov_b32_e32 v15, v9
	v_pk_add_f32 v[2:3], v[2:3], v[14:15]
	s_nop 0
	v_mov_b32_e32 v9, v3
.LBB219_17:
	v_mov_b32_e32 v3, v9
	global_store_dwordx2 v[6:7], v[2:3], off
.LBB219_18:
	s_or_b64 exec, exec, s[8:9]
	v_add_u32_e32 v2, 16, v0
	v_cmp_le_i32_e32 vcc, v2, v10
	s_and_b64 s[8:9], s[2:3], vcc
	v_ashrrev_i32_e32 v3, 31, v2
	s_and_saveexec_b64 s[2:3], s[8:9]
	s_cbranch_execz .LBB219_22
; %bb.19:
	v_pk_mul_f32 v[8:9], v[28:29], s[34:35] op_sel:[0,1] op_sel_hi:[0,0]
	v_pk_fma_f32 v[6:7], v[26:27], s[34:35], v[8:9] op_sel_hi:[0,1,1] neg_lo:[0,0,1] neg_hi:[0,0,1]
	v_pk_fma_f32 v[8:9], v[26:27], s[34:35], v[8:9] op_sel_hi:[0,1,1]
	s_and_b64 vcc, exec, s[0:1]
	v_lshl_add_u64 v[4:5], v[2:3], 3, v[4:5]
	s_cbranch_vccnz .LBB219_21
; %bb.20:
	global_load_dwordx2 v[12:13], v[4:5], off
	s_mov_b32 s8, s7
	v_mov_b32_e32 v7, v9
	s_waitcnt vmcnt(0)
	v_pk_mul_f32 v[8:9], v[12:13], s[8:9] op_sel:[1,0] op_sel_hi:[0,0]
	v_pk_fma_f32 v[14:15], v[12:13], s[6:7], v[8:9] neg_lo:[0,0,1] neg_hi:[0,0,1]
	v_pk_fma_f32 v[8:9], v[12:13], s[6:7], v[8:9] op_sel_hi:[1,0,1]
	s_nop 0
	v_mov_b32_e32 v15, v9
	v_pk_add_f32 v[6:7], v[6:7], v[14:15]
	s_nop 0
	v_mov_b32_e32 v9, v7
.LBB219_21:
	v_mov_b32_e32 v7, v9
	global_store_dwordx2 v[4:5], v[6:7], off
.LBB219_22:
	s_or_b64 exec, exec, s[2:3]
	v_add_u32_e32 v10, 16, v10
	v_ashrrev_i32_e32 v4, 31, v10
	v_mul_lo_u32 v6, s28, v4
	v_mul_lo_u32 v7, s29, v10
	v_mad_u64_u32 v[4:5], s[8:9], s28, v10, 0
	v_cmp_gt_i32_e64 s[2:3], s24, v10
	v_add3_u32 v5, v5, v6, v7
	v_cmp_le_i32_e32 vcc, v0, v10
	v_lshl_add_u64 v[4:5], v[4:5], 3, s[4:5]
	s_and_b64 s[8:9], s[2:3], vcc
	s_and_saveexec_b64 s[4:5], s[8:9]
	s_cbranch_execz .LBB219_26
; %bb.23:
	v_pk_mul_f32 v[8:9], v[24:25], s[34:35] op_sel:[0,1] op_sel_hi:[0,0]
	v_pk_fma_f32 v[6:7], v[22:23], s[34:35], v[8:9] op_sel_hi:[0,1,1] neg_lo:[0,0,1] neg_hi:[0,0,1]
	v_pk_fma_f32 v[8:9], v[22:23], s[34:35], v[8:9] op_sel_hi:[0,1,1]
	s_and_b64 vcc, exec, s[0:1]
	v_lshl_add_u64 v[0:1], v[0:1], 3, v[4:5]
	s_cbranch_vccnz .LBB219_25
; %bb.24:
	global_load_dwordx2 v[12:13], v[0:1], off
	s_mov_b32 s8, s7
	v_mov_b32_e32 v7, v9
	s_waitcnt vmcnt(0)
	v_pk_mul_f32 v[8:9], v[12:13], s[8:9] op_sel:[1,0] op_sel_hi:[0,0]
	v_pk_fma_f32 v[14:15], v[12:13], s[6:7], v[8:9] neg_lo:[0,0,1] neg_hi:[0,0,1]
	v_pk_fma_f32 v[8:9], v[12:13], s[6:7], v[8:9] op_sel_hi:[1,0,1]
	s_nop 0
	v_mov_b32_e32 v15, v9
	v_pk_add_f32 v[6:7], v[6:7], v[14:15]
	s_nop 0
	v_mov_b32_e32 v9, v7
.LBB219_25:
	v_mov_b32_e32 v7, v9
	global_store_dwordx2 v[0:1], v[6:7], off
.LBB219_26:
	s_or_b64 exec, exec, s[4:5]
	v_cmp_le_i32_e32 vcc, v2, v10
	s_and_b64 s[2:3], s[2:3], vcc
	s_and_saveexec_b64 s[4:5], s[2:3]
	s_cbranch_execz .LBB219_30
; %bb.27:
	v_pk_mul_f32 v[6:7], v[20:21], s[34:35] op_sel:[0,1] op_sel_hi:[0,0]
	v_pk_fma_f32 v[0:1], v[18:19], s[34:35], v[6:7] op_sel_hi:[0,1,1] neg_lo:[0,0,1] neg_hi:[0,0,1]
	v_pk_fma_f32 v[6:7], v[18:19], s[34:35], v[6:7] op_sel_hi:[0,1,1]
	s_and_b64 vcc, exec, s[0:1]
	v_lshl_add_u64 v[2:3], v[2:3], 3, v[4:5]
	s_cbranch_vccnz .LBB219_29
; %bb.28:
	global_load_dwordx2 v[4:5], v[2:3], off
	s_mov_b32 s0, s7
	v_mov_b32_e32 v1, v7
	s_waitcnt vmcnt(0)
	v_pk_mul_f32 v[6:7], v[4:5], s[0:1] op_sel:[1,0] op_sel_hi:[0,0]
	v_pk_fma_f32 v[8:9], v[4:5], s[6:7], v[6:7] neg_lo:[0,0,1] neg_hi:[0,0,1]
	v_pk_fma_f32 v[4:5], v[4:5], s[6:7], v[6:7] op_sel_hi:[1,0,1]
	s_nop 0
	v_mov_b32_e32 v9, v5
	v_pk_add_f32 v[0:1], v[0:1], v[8:9]
	s_nop 0
	v_mov_b32_e32 v7, v1
.LBB219_29:
	v_mov_b32_e32 v1, v7
	global_store_dwordx2 v[2:3], v[0:1], off
.LBB219_30:
	s_endpgm
	.section	.rodata,"a",@progbits
	.p2align	6, 0x0
	.amdhsa_kernel _ZL29rocblas_internal_gemmt_kernelIlLi16ELi32ELi8ELc84ELc78ELc85ELb0ELb0E19rocblas_complex_numIfEPKS1_S3_PS1_EviT_T9_T10_S5_lS7_S5_lS6_T11_S5_li
		.amdhsa_group_segment_fixed_size 4096
		.amdhsa_private_segment_fixed_size 0
		.amdhsa_kernarg_size 108
		.amdhsa_user_sgpr_count 2
		.amdhsa_user_sgpr_dispatch_ptr 0
		.amdhsa_user_sgpr_queue_ptr 0
		.amdhsa_user_sgpr_kernarg_segment_ptr 1
		.amdhsa_user_sgpr_dispatch_id 0
		.amdhsa_user_sgpr_kernarg_preload_length 0
		.amdhsa_user_sgpr_kernarg_preload_offset 0
		.amdhsa_user_sgpr_private_segment_size 0
		.amdhsa_uses_dynamic_stack 0
		.amdhsa_enable_private_segment 0
		.amdhsa_system_sgpr_workgroup_id_x 1
		.amdhsa_system_sgpr_workgroup_id_y 1
		.amdhsa_system_sgpr_workgroup_id_z 1
		.amdhsa_system_sgpr_workgroup_info 0
		.amdhsa_system_vgpr_workitem_id 1
		.amdhsa_next_free_vgpr 51
		.amdhsa_next_free_sgpr 40
		.amdhsa_accum_offset 52
		.amdhsa_reserve_vcc 1
		.amdhsa_float_round_mode_32 0
		.amdhsa_float_round_mode_16_64 0
		.amdhsa_float_denorm_mode_32 3
		.amdhsa_float_denorm_mode_16_64 3
		.amdhsa_dx10_clamp 1
		.amdhsa_ieee_mode 1
		.amdhsa_fp16_overflow 0
		.amdhsa_tg_split 0
		.amdhsa_exception_fp_ieee_invalid_op 0
		.amdhsa_exception_fp_denorm_src 0
		.amdhsa_exception_fp_ieee_div_zero 0
		.amdhsa_exception_fp_ieee_overflow 0
		.amdhsa_exception_fp_ieee_underflow 0
		.amdhsa_exception_fp_ieee_inexact 0
		.amdhsa_exception_int_div_zero 0
	.end_amdhsa_kernel
	.section	.text._ZL29rocblas_internal_gemmt_kernelIlLi16ELi32ELi8ELc84ELc78ELc85ELb0ELb0E19rocblas_complex_numIfEPKS1_S3_PS1_EviT_T9_T10_S5_lS7_S5_lS6_T11_S5_li,"axG",@progbits,_ZL29rocblas_internal_gemmt_kernelIlLi16ELi32ELi8ELc84ELc78ELc85ELb0ELb0E19rocblas_complex_numIfEPKS1_S3_PS1_EviT_T9_T10_S5_lS7_S5_lS6_T11_S5_li,comdat
.Lfunc_end219:
	.size	_ZL29rocblas_internal_gemmt_kernelIlLi16ELi32ELi8ELc84ELc78ELc85ELb0ELb0E19rocblas_complex_numIfEPKS1_S3_PS1_EviT_T9_T10_S5_lS7_S5_lS6_T11_S5_li, .Lfunc_end219-_ZL29rocblas_internal_gemmt_kernelIlLi16ELi32ELi8ELc84ELc78ELc85ELb0ELb0E19rocblas_complex_numIfEPKS1_S3_PS1_EviT_T9_T10_S5_lS7_S5_lS6_T11_S5_li
                                        ; -- End function
	.set _ZL29rocblas_internal_gemmt_kernelIlLi16ELi32ELi8ELc84ELc78ELc85ELb0ELb0E19rocblas_complex_numIfEPKS1_S3_PS1_EviT_T9_T10_S5_lS7_S5_lS6_T11_S5_li.num_vgpr, 51
	.set _ZL29rocblas_internal_gemmt_kernelIlLi16ELi32ELi8ELc84ELc78ELc85ELb0ELb0E19rocblas_complex_numIfEPKS1_S3_PS1_EviT_T9_T10_S5_lS7_S5_lS6_T11_S5_li.num_agpr, 0
	.set _ZL29rocblas_internal_gemmt_kernelIlLi16ELi32ELi8ELc84ELc78ELc85ELb0ELb0E19rocblas_complex_numIfEPKS1_S3_PS1_EviT_T9_T10_S5_lS7_S5_lS6_T11_S5_li.numbered_sgpr, 40
	.set _ZL29rocblas_internal_gemmt_kernelIlLi16ELi32ELi8ELc84ELc78ELc85ELb0ELb0E19rocblas_complex_numIfEPKS1_S3_PS1_EviT_T9_T10_S5_lS7_S5_lS6_T11_S5_li.num_named_barrier, 0
	.set _ZL29rocblas_internal_gemmt_kernelIlLi16ELi32ELi8ELc84ELc78ELc85ELb0ELb0E19rocblas_complex_numIfEPKS1_S3_PS1_EviT_T9_T10_S5_lS7_S5_lS6_T11_S5_li.private_seg_size, 0
	.set _ZL29rocblas_internal_gemmt_kernelIlLi16ELi32ELi8ELc84ELc78ELc85ELb0ELb0E19rocblas_complex_numIfEPKS1_S3_PS1_EviT_T9_T10_S5_lS7_S5_lS6_T11_S5_li.uses_vcc, 1
	.set _ZL29rocblas_internal_gemmt_kernelIlLi16ELi32ELi8ELc84ELc78ELc85ELb0ELb0E19rocblas_complex_numIfEPKS1_S3_PS1_EviT_T9_T10_S5_lS7_S5_lS6_T11_S5_li.uses_flat_scratch, 0
	.set _ZL29rocblas_internal_gemmt_kernelIlLi16ELi32ELi8ELc84ELc78ELc85ELb0ELb0E19rocblas_complex_numIfEPKS1_S3_PS1_EviT_T9_T10_S5_lS7_S5_lS6_T11_S5_li.has_dyn_sized_stack, 0
	.set _ZL29rocblas_internal_gemmt_kernelIlLi16ELi32ELi8ELc84ELc78ELc85ELb0ELb0E19rocblas_complex_numIfEPKS1_S3_PS1_EviT_T9_T10_S5_lS7_S5_lS6_T11_S5_li.has_recursion, 0
	.set _ZL29rocblas_internal_gemmt_kernelIlLi16ELi32ELi8ELc84ELc78ELc85ELb0ELb0E19rocblas_complex_numIfEPKS1_S3_PS1_EviT_T9_T10_S5_lS7_S5_lS6_T11_S5_li.has_indirect_call, 0
	.section	.AMDGPU.csdata,"",@progbits
; Kernel info:
; codeLenInByte = 2512
; TotalNumSgprs: 46
; NumVgprs: 51
; NumAgprs: 0
; TotalNumVgprs: 51
; ScratchSize: 0
; MemoryBound: 0
; FloatMode: 240
; IeeeMode: 1
; LDSByteSize: 4096 bytes/workgroup (compile time only)
; SGPRBlocks: 5
; VGPRBlocks: 6
; NumSGPRsForWavesPerEU: 46
; NumVGPRsForWavesPerEU: 51
; AccumOffset: 52
; Occupancy: 8
; WaveLimiterHint : 0
; COMPUTE_PGM_RSRC2:SCRATCH_EN: 0
; COMPUTE_PGM_RSRC2:USER_SGPR: 2
; COMPUTE_PGM_RSRC2:TRAP_HANDLER: 0
; COMPUTE_PGM_RSRC2:TGID_X_EN: 1
; COMPUTE_PGM_RSRC2:TGID_Y_EN: 1
; COMPUTE_PGM_RSRC2:TGID_Z_EN: 1
; COMPUTE_PGM_RSRC2:TIDIG_COMP_CNT: 1
; COMPUTE_PGM_RSRC3_GFX90A:ACCUM_OFFSET: 12
; COMPUTE_PGM_RSRC3_GFX90A:TG_SPLIT: 0
	.section	.text._ZL29rocblas_internal_gemmt_kernelIlLi16ELi32ELi8ELc84ELc84ELc85ELb0ELb0E19rocblas_complex_numIfEPKS1_S3_PS1_EviT_T9_T10_S5_lS7_S5_lS6_T11_S5_li,"axG",@progbits,_ZL29rocblas_internal_gemmt_kernelIlLi16ELi32ELi8ELc84ELc84ELc85ELb0ELb0E19rocblas_complex_numIfEPKS1_S3_PS1_EviT_T9_T10_S5_lS7_S5_lS6_T11_S5_li,comdat
	.globl	_ZL29rocblas_internal_gemmt_kernelIlLi16ELi32ELi8ELc84ELc84ELc85ELb0ELb0E19rocblas_complex_numIfEPKS1_S3_PS1_EviT_T9_T10_S5_lS7_S5_lS6_T11_S5_li ; -- Begin function _ZL29rocblas_internal_gemmt_kernelIlLi16ELi32ELi8ELc84ELc84ELc85ELb0ELb0E19rocblas_complex_numIfEPKS1_S3_PS1_EviT_T9_T10_S5_lS7_S5_lS6_T11_S5_li
	.p2align	8
	.type	_ZL29rocblas_internal_gemmt_kernelIlLi16ELi32ELi8ELc84ELc84ELc85ELb0ELb0E19rocblas_complex_numIfEPKS1_S3_PS1_EviT_T9_T10_S5_lS7_S5_lS6_T11_S5_li,@function
_ZL29rocblas_internal_gemmt_kernelIlLi16ELi32ELi8ELc84ELc84ELc85ELb0ELb0E19rocblas_complex_numIfEPKS1_S3_PS1_EviT_T9_T10_S5_lS7_S5_lS6_T11_S5_li: ; @_ZL29rocblas_internal_gemmt_kernelIlLi16ELi32ELi8ELc84ELc84ELc85ELb0ELb0E19rocblas_complex_numIfEPKS1_S3_PS1_EviT_T9_T10_S5_lS7_S5_lS6_T11_S5_li
; %bb.0:
	s_load_dwordx8 s[24:31], s[0:1], 0x48
	s_load_dwordx16 s[8:23], s[0:1], 0x8
	s_waitcnt lgkmcnt(0)
	s_load_dwordx2 s[6:7], s[24:25], 0x0
	s_load_dwordx2 s[34:35], s[10:11], 0x0
	s_waitcnt lgkmcnt(0)
	s_and_b32 s5, s7, 0x7fffffff
	s_cmp_eq_u32 s5, 0
	v_cmp_eq_f32_e64 s[24:25], s6, 1.0
	s_cselect_b64 s[10:11], -1, 0
	s_and_b64 s[24:25], s[24:25], s[10:11]
	s_and_b64 vcc, exec, s[24:25]
	s_cbranch_vccnz .LBB220_2
; %bb.1:
	s_mov_b64 s[24:25], -1
	s_cbranch_execz .LBB220_3
	s_branch .LBB220_4
.LBB220_2:
	s_mov_b64 s[24:25], 0
.LBB220_3:
	s_cmp_lg_u64 s[8:9], 0
	v_cmp_neq_f32_e64 s[36:37], s34, 0
	v_cmp_neq_f32_e64 s[38:39], s35, 0
	s_cselect_b64 s[24:25], -1, 0
	s_or_b64 s[36:37], s[36:37], s[38:39]
	s_and_b64 s[24:25], s[24:25], s[36:37]
.LBB220_4:
	s_andn2_b64 vcc, exec, s[24:25]
	s_cbranch_vccnz .LBB220_30
; %bb.5:
	s_load_dword s24, s[0:1], 0x0
	s_lshl_b32 s25, s2, 5
	s_lshl_b32 s33, s3, 5
	v_cmp_eq_f32_e64 s[0:1], s34, 0
	v_cmp_eq_f32_e64 s[2:3], s35, 0
	s_and_b64 s[0:1], s[0:1], s[2:3]
	v_cmp_lt_i64_e64 s[2:3], s[8:9], 1
	s_or_b64 s[0:1], s[0:1], s[2:3]
	v_and_b32_e32 v9, 0x3ff, v0
	v_bfe_u32 v11, v0, 10, 10
	v_mov_b32_e32 v30, 0
	s_and_b64 vcc, exec, s[0:1]
	v_mov_b32_e32 v32, 0
	v_mov_b32_e32 v26, 0
	;; [unrolled: 1-line block ×7, first 2 shown]
	s_cbranch_vccnz .LBB220_14
; %bb.6:
	s_mul_i32 s0, s23, s4
	s_mul_hi_u32 s1, s22, s4
	s_add_i32 s1, s1, s0
	s_mul_i32 s0, s22, s4
	s_lshl_b64 s[0:1], s[0:1], 3
	s_add_u32 s18, s18, s0
	s_addc_u32 s19, s19, s1
	s_mul_i32 s0, s17, s4
	s_mul_hi_u32 s1, s16, s4
	s_add_i32 s1, s1, s0
	s_mul_i32 s0, s16, s4
	v_lshl_add_u32 v1, v11, 4, v9
	s_lshl_b64 s[0:1], s[0:1], 3
	v_lshrrev_b32_e32 v10, 5, v1
	v_lshrrev_b32_e32 v4, 3, v1
	v_and_b32_e32 v1, 31, v1
	s_add_u32 s2, s12, s0
	v_or_b32_e32 v2, s25, v1
	s_addc_u32 s3, s13, s1
	v_lshlrev_b32_e32 v1, 3, v1
	s_ashr_i32 s5, s25, 31
	v_and_b32_e32 v8, 7, v9
	s_waitcnt lgkmcnt(0)
	v_cmp_gt_i32_e64 s[0:1], s24, v2
	v_lshl_or_b32 v19, v10, 8, v1
	v_mul_lo_u32 v1, s15, v2
	v_mad_u64_u32 v[2:3], s[12:13], s14, v2, 0
	s_mul_i32 s5, s14, s5
	v_add3_u32 v3, v3, s5, v1
	v_lshlrev_b32_e32 v1, 3, v8
	v_add_u32_e32 v0, s33, v4
	v_lshl_or_b32 v1, v4, 6, v1
	v_add_u32_e32 v21, 0x800, v1
	v_ashrrev_i32_e32 v1, 31, v0
	v_lshl_add_u64 v[12:13], v[2:3], 3, s[2:3]
	v_cmp_gt_i32_e64 s[2:3], s24, v0
	v_lshl_add_u64 v[14:15], v[0:1], 3, s[18:19]
	v_mov_b32_e32 v0, 0x800
	v_lshlrev_b32_e32 v23, 3, v9
	v_lshl_add_u32 v25, v11, 6, v0
	v_mov_b32_e32 v17, 0
	s_mov_b64 s[12:13], 0
	v_mov_b32_e32 v20, 0
	v_mov_b32_e32 v18, 0
	;; [unrolled: 1-line block ×8, first 2 shown]
	s_branch .LBB220_8
.LBB220_7:                              ;   in Loop: Header=BB220_8 Depth=1
	s_or_b64 exec, exec, s[14:15]
	s_waitcnt vmcnt(0)
	ds_write_b64 v21, v[0:1]
	s_waitcnt lgkmcnt(0)
	s_barrier
	ds_read2_b64 v[34:37], v23 offset1:16
	ds_read_b128 v[38:41], v25
	ds_read_b128 v[42:45], v25 offset:16
	ds_read_b128 v[4:7], v25 offset:32
	;; [unrolled: 1-line block ×3, first 2 shown]
	s_add_u32 s12, s12, 8
	s_waitcnt lgkmcnt(3)
	v_mul_f32_e32 v16, v39, v35
	v_mul_f32_e32 v27, v38, v35
	v_fma_f32 v16, v38, v34, -v16
	v_fmac_f32_e32 v27, v39, v34
	v_add_f32_e32 v16, v30, v16
	v_add_f32_e32 v50, v32, v27
	ds_read_b128 v[30:33], v25 offset:1024
	v_mul_f32_e32 v27, v39, v37
	v_mul_f32_e32 v29, v38, v37
	v_fma_f32 v27, v38, v36, -v27
	v_fmac_f32_e32 v29, v39, v36
	v_add_f32_e32 v38, v26, v27
	v_add_f32_e32 v39, v28, v29
	ds_read_b128 v[26:29], v25 offset:1040
	s_waitcnt lgkmcnt(1)
	v_mul_f32_e32 v46, v31, v35
	v_fma_f32 v46, v30, v34, -v46
	v_add_f32_e32 v22, v22, v46
	ds_read2_b64 v[46:49], v23 offset0:32 offset1:48
	v_mul_f32_e32 v35, v30, v35
	v_fmac_f32_e32 v35, v31, v34
	v_mul_f32_e32 v34, v31, v37
	v_fma_f32 v34, v30, v36, -v34
	v_mul_f32_e32 v30, v30, v37
	v_fmac_f32_e32 v30, v31, v36
	v_add_f32_e32 v20, v20, v30
	s_waitcnt lgkmcnt(0)
	v_mul_f32_e32 v30, v41, v47
	v_mul_f32_e32 v31, v40, v47
	v_fma_f32 v30, v40, v46, -v30
	v_fmac_f32_e32 v31, v41, v46
	v_add_f32_e32 v18, v18, v34
	v_add_f32_e32 v16, v16, v30
	;; [unrolled: 1-line block ×3, first 2 shown]
	v_mul_f32_e32 v31, v41, v49
	v_mul_f32_e32 v34, v40, v49
	v_fma_f32 v31, v40, v48, -v31
	v_fmac_f32_e32 v34, v41, v48
	v_add_f32_e32 v31, v38, v31
	v_add_f32_e32 v38, v39, v34
	v_mul_f32_e32 v34, v33, v47
	v_add_f32_e32 v24, v24, v35
	v_fma_f32 v34, v32, v46, -v34
	v_mul_f32_e32 v35, v32, v47
	v_fmac_f32_e32 v35, v33, v46
	v_add_f32_e32 v22, v22, v34
	v_mul_f32_e32 v34, v33, v49
	v_add_f32_e32 v24, v24, v35
	v_fma_f32 v39, v32, v48, -v34
	ds_read2_b64 v[34:37], v23 offset0:64 offset1:80
	v_mul_f32_e32 v32, v32, v49
	v_fmac_f32_e32 v32, v33, v48
	v_add_f32_e32 v18, v18, v39
	v_add_f32_e32 v20, v20, v32
	s_waitcnt lgkmcnt(0)
	v_mul_f32_e32 v33, v42, v35
	v_fmac_f32_e32 v33, v43, v34
	v_add_f32_e32 v39, v30, v33
	v_mul_f32_e32 v30, v43, v37
	v_mul_f32_e32 v32, v43, v35
	v_fma_f32 v30, v42, v36, -v30
	v_fma_f32 v32, v42, v34, -v32
	v_add_f32_e32 v40, v31, v30
	v_mul_f32_e32 v30, v27, v35
	v_add_f32_e32 v16, v16, v32
	v_mul_f32_e32 v32, v42, v37
	v_fma_f32 v30, v26, v34, -v30
	v_mul_f32_e32 v31, v26, v35
	v_fmac_f32_e32 v32, v43, v36
	v_fmac_f32_e32 v31, v27, v34
	v_add_f32_e32 v22, v22, v30
	v_mul_f32_e32 v30, v27, v37
	v_add_f32_e32 v38, v38, v32
	v_add_f32_e32 v24, v24, v31
	v_fma_f32 v34, v26, v36, -v30
	ds_read2_b64 v[30:33], v23 offset0:96 offset1:112
	v_mul_f32_e32 v26, v26, v37
	v_fmac_f32_e32 v26, v27, v36
	v_add_f32_e32 v20, v20, v26
	v_add_f32_e32 v18, v18, v34
	s_waitcnt lgkmcnt(0)
	v_mul_f32_e32 v26, v45, v31
	v_mul_f32_e32 v27, v44, v31
	v_fma_f32 v26, v44, v30, -v26
	v_fmac_f32_e32 v27, v45, v30
	v_add_f32_e32 v16, v16, v26
	v_add_f32_e32 v26, v39, v27
	v_mul_f32_e32 v27, v45, v33
	v_mul_f32_e32 v34, v44, v33
	v_fma_f32 v27, v44, v32, -v27
	v_fmac_f32_e32 v34, v45, v32
	v_add_f32_e32 v39, v40, v27
	v_add_f32_e32 v38, v38, v34
	v_mul_f32_e32 v27, v29, v31
	ds_read2_b64 v[34:37], v23 offset0:128 offset1:144
	v_fma_f32 v27, v28, v30, -v27
	v_add_f32_e32 v22, v22, v27
	v_mul_f32_e32 v27, v29, v33
	v_mul_f32_e32 v31, v28, v31
	v_fma_f32 v27, v28, v32, -v27
	v_mul_f32_e32 v28, v28, v33
	v_fmac_f32_e32 v28, v29, v32
	v_add_f32_e32 v20, v20, v28
	s_waitcnt lgkmcnt(0)
	v_mul_f32_e32 v28, v4, v35
	v_add_f32_e32 v18, v18, v27
	v_mul_f32_e32 v27, v5, v35
	v_fmac_f32_e32 v28, v5, v34
	v_fma_f32 v27, v4, v34, -v27
	v_add_f32_e32 v42, v26, v28
	v_mul_f32_e32 v26, v5, v37
	v_fmac_f32_e32 v31, v29, v30
	v_add_f32_e32 v16, v16, v27
	v_fma_f32 v30, v4, v36, -v26
	ds_read_b128 v[26:29], v25 offset:1056
	v_mul_f32_e32 v4, v4, v37
	v_fmac_f32_e32 v4, v5, v36
	v_add_f32_e32 v5, v39, v30
	v_add_f32_e32 v4, v38, v4
	ds_read_b128 v[38:41], v25 offset:1072
	s_waitcnt lgkmcnt(1)
	v_mul_f32_e32 v30, v27, v35
	v_add_f32_e32 v24, v24, v31
	v_fma_f32 v30, v26, v34, -v30
	v_mul_f32_e32 v31, v26, v35
	v_fmac_f32_e32 v31, v27, v34
	v_add_f32_e32 v22, v22, v30
	v_mul_f32_e32 v30, v27, v37
	v_add_f32_e32 v24, v24, v31
	v_fma_f32 v34, v26, v36, -v30
	ds_read2_b64 v[30:33], v23 offset0:160 offset1:176
	v_mul_f32_e32 v26, v26, v37
	v_fmac_f32_e32 v26, v27, v36
	v_add_f32_e32 v20, v20, v26
	v_add_f32_e32 v18, v18, v34
	s_waitcnt lgkmcnt(0)
	v_mul_f32_e32 v26, v7, v31
	v_mul_f32_e32 v27, v6, v31
	v_fma_f32 v26, v6, v30, -v26
	v_fmac_f32_e32 v27, v7, v30
	v_add_f32_e32 v16, v16, v26
	v_add_f32_e32 v26, v42, v27
	v_mul_f32_e32 v27, v7, v33
	v_fma_f32 v27, v6, v32, -v27
	v_mul_f32_e32 v6, v6, v33
	v_fmac_f32_e32 v6, v7, v32
	v_add_f32_e32 v34, v4, v6
	v_mul_f32_e32 v4, v29, v31
	v_add_f32_e32 v27, v5, v27
	v_fma_f32 v4, v28, v30, -v4
	v_mul_f32_e32 v5, v28, v31
	v_fmac_f32_e32 v5, v29, v30
	v_add_f32_e32 v22, v22, v4
	v_mul_f32_e32 v4, v29, v33
	v_add_f32_e32 v24, v24, v5
	v_fma_f32 v30, v28, v32, -v4
	ds_read2_b64 v[4:7], v23 offset0:192 offset1:208
	v_mul_f32_e32 v28, v28, v33
	v_fmac_f32_e32 v28, v29, v32
	v_add_f32_e32 v20, v20, v28
	v_add_f32_e32 v18, v18, v30
	s_waitcnt lgkmcnt(0)
	v_mul_f32_e32 v28, v1, v5
	v_fma_f32 v28, v0, v4, -v28
	v_add_f32_e32 v16, v16, v28
	v_mul_f32_e32 v28, v1, v7
	v_mul_f32_e32 v29, v0, v5
	v_fma_f32 v28, v0, v6, -v28
	v_mul_f32_e32 v0, v0, v7
	v_fmac_f32_e32 v0, v1, v6
	v_add_f32_e32 v0, v34, v0
	ds_read2_b64 v[34:37], v23 offset0:224 offset1:240
	v_fmac_f32_e32 v29, v1, v4
	v_add_f32_e32 v1, v27, v28
	v_mul_f32_e32 v27, v39, v5
	v_fma_f32 v27, v38, v4, -v27
	v_mul_f32_e32 v5, v38, v5
	v_fmac_f32_e32 v5, v39, v4
	v_add_f32_e32 v4, v22, v27
	v_mul_f32_e32 v22, v39, v7
	v_fma_f32 v22, v38, v6, -v22
	v_mul_f32_e32 v7, v38, v7
	v_fmac_f32_e32 v7, v39, v6
	v_add_f32_e32 v6, v18, v22
	s_waitcnt lgkmcnt(0)
	v_mul_f32_e32 v18, v3, v35
	v_fma_f32 v18, v2, v34, -v18
	v_add_f32_e32 v30, v16, v18
	v_mul_f32_e32 v16, v3, v37
	v_add_f32_e32 v7, v20, v7
	v_mul_f32_e32 v20, v2, v35
	v_fma_f32 v16, v2, v36, -v16
	v_mul_f32_e32 v2, v2, v37
	v_add_f32_e32 v26, v26, v29
	v_fmac_f32_e32 v20, v3, v34
	v_fmac_f32_e32 v2, v3, v36
	v_add_f32_e32 v32, v26, v20
	v_add_f32_e32 v26, v1, v16
	;; [unrolled: 1-line block ×3, first 2 shown]
	v_mul_f32_e32 v0, v41, v35
	v_mul_f32_e32 v1, v40, v35
	v_add_f32_e32 v5, v24, v5
	v_fma_f32 v0, v40, v34, -v0
	v_fmac_f32_e32 v1, v41, v34
	v_add_f32_e32 v22, v4, v0
	v_add_f32_e32 v24, v5, v1
	v_mul_f32_e32 v0, v41, v37
	v_mul_f32_e32 v1, v40, v37
	v_fma_f32 v0, v40, v36, -v0
	v_fmac_f32_e32 v1, v41, v36
	s_addc_u32 s13, s13, 0
	v_add_f32_e32 v18, v6, v0
	v_add_f32_e32 v20, v7, v1
	v_mov_b64_e32 v[0:1], s[12:13]
	v_cmp_gt_i64_e32 vcc, s[8:9], v[0:1]
	s_barrier
	s_cbranch_vccz .LBB220_14
.LBB220_8:                              ; =>This Inner Loop Header: Depth=1
	v_mov_b32_e32 v0, 0
	v_mov_b32_e32 v1, 0
	s_and_saveexec_b64 s[14:15], s[0:1]
	s_cbranch_execz .LBB220_12
; %bb.9:                                ;   in Loop: Header=BB220_8 Depth=1
	v_add_u32_e32 v16, s12, v10
	v_cmp_gt_u64_e32 vcc, s[8:9], v[16:17]
	v_mov_b32_e32 v1, 0
	v_mov_b32_e32 v0, 0
	s_and_saveexec_b64 s[16:17], vcc
	s_cbranch_execz .LBB220_11
; %bb.10:                               ;   in Loop: Header=BB220_8 Depth=1
	v_lshl_add_u64 v[0:1], v[16:17], 3, v[12:13]
	global_load_dwordx2 v[0:1], v[0:1], off
.LBB220_11:                             ;   in Loop: Header=BB220_8 Depth=1
	s_or_b64 exec, exec, s[16:17]
.LBB220_12:                             ;   in Loop: Header=BB220_8 Depth=1
	s_or_b64 exec, exec, s[14:15]
	v_add_u32_e32 v16, s12, v8
	v_cmp_gt_u64_e32 vcc, s[8:9], v[16:17]
	s_waitcnt vmcnt(0)
	ds_write_b64 v19, v[0:1]
	s_and_b64 s[16:17], vcc, s[2:3]
	v_mov_b32_e32 v0, 0
	v_mov_b32_e32 v1, 0
	s_and_saveexec_b64 s[14:15], s[16:17]
	s_cbranch_execz .LBB220_7
; %bb.13:                               ;   in Loop: Header=BB220_8 Depth=1
	v_mad_u64_u32 v[0:1], s[16:17], s20, v16, 0
	v_mov_b32_e32 v2, v1
	v_mad_u64_u32 v[2:3], s[16:17], s21, v16, v[2:3]
	v_mov_b32_e32 v1, v2
	v_lshl_add_u64 v[0:1], v[0:1], 3, v[14:15]
	global_load_dwordx2 v[0:1], v[0:1], off
	s_branch .LBB220_7
.LBB220_14:
	s_mul_i32 s0, s31, s4
	s_mul_hi_u32 s1, s30, s4
	s_add_i32 s1, s1, s0
	s_mul_i32 s0, s30, s4
	s_lshl_b64 s[0:1], s[0:1], 3
	v_add_u32_e32 v10, s33, v11
	s_add_u32 s4, s26, s0
	v_ashrrev_i32_e32 v1, 31, v10
	s_addc_u32 s5, s27, s1
	v_cmp_neq_f32_e64 s[0:1], s6, 0
	s_xor_b64 s[8:9], s[10:11], -1
	v_mul_lo_u32 v1, s28, v1
	v_mul_lo_u32 v4, s29, v10
	v_mad_u64_u32 v[2:3], s[10:11], s28, v10, 0
	v_add_u32_e32 v0, s25, v9
	v_add3_u32 v3, v3, v1, v4
	s_or_b64 s[0:1], s[0:1], s[8:9]
	s_waitcnt lgkmcnt(0)
	v_cmp_gt_i32_e64 s[2:3], s24, v10
	v_lshl_add_u64 v[4:5], v[2:3], 3, s[4:5]
	v_cmp_le_i32_e32 vcc, v0, v10
	v_cndmask_b32_e64 v2, 0, 1, s[0:1]
	s_and_b64 s[10:11], s[2:3], vcc
	v_ashrrev_i32_e32 v1, 31, v0
	v_cmp_ne_u32_e64 s[0:1], 1, v2
	s_and_saveexec_b64 s[8:9], s[10:11]
	s_cbranch_execz .LBB220_18
; %bb.15:
	v_pk_mul_f32 v[6:7], v[32:33], s[34:35] op_sel:[0,1] op_sel_hi:[0,0]
	v_pk_fma_f32 v[2:3], v[30:31], s[34:35], v[6:7] op_sel_hi:[0,1,1] neg_lo:[0,0,1] neg_hi:[0,0,1]
	v_pk_fma_f32 v[8:9], v[30:31], s[34:35], v[6:7] op_sel_hi:[0,1,1]
	s_and_b64 vcc, exec, s[0:1]
	v_lshl_add_u64 v[6:7], v[0:1], 3, v[4:5]
	s_cbranch_vccnz .LBB220_17
; %bb.16:
	global_load_dwordx2 v[12:13], v[6:7], off
	s_mov_b32 s10, s7
	v_mov_b32_e32 v3, v9
	s_waitcnt vmcnt(0)
	v_pk_mul_f32 v[8:9], v[12:13], s[10:11] op_sel:[1,0] op_sel_hi:[0,0]
	v_pk_fma_f32 v[14:15], v[12:13], s[6:7], v[8:9] neg_lo:[0,0,1] neg_hi:[0,0,1]
	v_pk_fma_f32 v[8:9], v[12:13], s[6:7], v[8:9] op_sel_hi:[1,0,1]
	s_nop 0
	v_mov_b32_e32 v15, v9
	v_pk_add_f32 v[2:3], v[2:3], v[14:15]
	s_nop 0
	v_mov_b32_e32 v9, v3
.LBB220_17:
	v_mov_b32_e32 v3, v9
	global_store_dwordx2 v[6:7], v[2:3], off
.LBB220_18:
	s_or_b64 exec, exec, s[8:9]
	v_add_u32_e32 v2, 16, v0
	v_cmp_le_i32_e32 vcc, v2, v10
	s_and_b64 s[8:9], s[2:3], vcc
	v_ashrrev_i32_e32 v3, 31, v2
	s_and_saveexec_b64 s[2:3], s[8:9]
	s_cbranch_execz .LBB220_22
; %bb.19:
	v_pk_mul_f32 v[8:9], v[28:29], s[34:35] op_sel:[0,1] op_sel_hi:[0,0]
	v_pk_fma_f32 v[6:7], v[26:27], s[34:35], v[8:9] op_sel_hi:[0,1,1] neg_lo:[0,0,1] neg_hi:[0,0,1]
	v_pk_fma_f32 v[8:9], v[26:27], s[34:35], v[8:9] op_sel_hi:[0,1,1]
	s_and_b64 vcc, exec, s[0:1]
	v_lshl_add_u64 v[4:5], v[2:3], 3, v[4:5]
	s_cbranch_vccnz .LBB220_21
; %bb.20:
	global_load_dwordx2 v[12:13], v[4:5], off
	s_mov_b32 s8, s7
	v_mov_b32_e32 v7, v9
	s_waitcnt vmcnt(0)
	v_pk_mul_f32 v[8:9], v[12:13], s[8:9] op_sel:[1,0] op_sel_hi:[0,0]
	v_pk_fma_f32 v[14:15], v[12:13], s[6:7], v[8:9] neg_lo:[0,0,1] neg_hi:[0,0,1]
	v_pk_fma_f32 v[8:9], v[12:13], s[6:7], v[8:9] op_sel_hi:[1,0,1]
	s_nop 0
	v_mov_b32_e32 v15, v9
	v_pk_add_f32 v[6:7], v[6:7], v[14:15]
	s_nop 0
	v_mov_b32_e32 v9, v7
.LBB220_21:
	v_mov_b32_e32 v7, v9
	global_store_dwordx2 v[4:5], v[6:7], off
.LBB220_22:
	s_or_b64 exec, exec, s[2:3]
	v_add_u32_e32 v10, 16, v10
	v_ashrrev_i32_e32 v4, 31, v10
	v_mul_lo_u32 v6, s28, v4
	v_mul_lo_u32 v7, s29, v10
	v_mad_u64_u32 v[4:5], s[8:9], s28, v10, 0
	v_cmp_gt_i32_e64 s[2:3], s24, v10
	v_add3_u32 v5, v5, v6, v7
	v_cmp_le_i32_e32 vcc, v0, v10
	v_lshl_add_u64 v[4:5], v[4:5], 3, s[4:5]
	s_and_b64 s[8:9], s[2:3], vcc
	s_and_saveexec_b64 s[4:5], s[8:9]
	s_cbranch_execz .LBB220_26
; %bb.23:
	v_pk_mul_f32 v[8:9], v[24:25], s[34:35] op_sel:[0,1] op_sel_hi:[0,0]
	v_pk_fma_f32 v[6:7], v[22:23], s[34:35], v[8:9] op_sel_hi:[0,1,1] neg_lo:[0,0,1] neg_hi:[0,0,1]
	v_pk_fma_f32 v[8:9], v[22:23], s[34:35], v[8:9] op_sel_hi:[0,1,1]
	s_and_b64 vcc, exec, s[0:1]
	v_lshl_add_u64 v[0:1], v[0:1], 3, v[4:5]
	s_cbranch_vccnz .LBB220_25
; %bb.24:
	global_load_dwordx2 v[12:13], v[0:1], off
	s_mov_b32 s8, s7
	v_mov_b32_e32 v7, v9
	s_waitcnt vmcnt(0)
	v_pk_mul_f32 v[8:9], v[12:13], s[8:9] op_sel:[1,0] op_sel_hi:[0,0]
	v_pk_fma_f32 v[14:15], v[12:13], s[6:7], v[8:9] neg_lo:[0,0,1] neg_hi:[0,0,1]
	v_pk_fma_f32 v[8:9], v[12:13], s[6:7], v[8:9] op_sel_hi:[1,0,1]
	s_nop 0
	v_mov_b32_e32 v15, v9
	v_pk_add_f32 v[6:7], v[6:7], v[14:15]
	s_nop 0
	v_mov_b32_e32 v9, v7
.LBB220_25:
	v_mov_b32_e32 v7, v9
	global_store_dwordx2 v[0:1], v[6:7], off
.LBB220_26:
	s_or_b64 exec, exec, s[4:5]
	v_cmp_le_i32_e32 vcc, v2, v10
	s_and_b64 s[2:3], s[2:3], vcc
	s_and_saveexec_b64 s[4:5], s[2:3]
	s_cbranch_execz .LBB220_30
; %bb.27:
	v_pk_mul_f32 v[6:7], v[20:21], s[34:35] op_sel:[0,1] op_sel_hi:[0,0]
	v_pk_fma_f32 v[0:1], v[18:19], s[34:35], v[6:7] op_sel_hi:[0,1,1] neg_lo:[0,0,1] neg_hi:[0,0,1]
	v_pk_fma_f32 v[6:7], v[18:19], s[34:35], v[6:7] op_sel_hi:[0,1,1]
	s_and_b64 vcc, exec, s[0:1]
	v_lshl_add_u64 v[2:3], v[2:3], 3, v[4:5]
	s_cbranch_vccnz .LBB220_29
; %bb.28:
	global_load_dwordx2 v[4:5], v[2:3], off
	s_mov_b32 s0, s7
	v_mov_b32_e32 v1, v7
	s_waitcnt vmcnt(0)
	v_pk_mul_f32 v[6:7], v[4:5], s[0:1] op_sel:[1,0] op_sel_hi:[0,0]
	v_pk_fma_f32 v[8:9], v[4:5], s[6:7], v[6:7] neg_lo:[0,0,1] neg_hi:[0,0,1]
	v_pk_fma_f32 v[4:5], v[4:5], s[6:7], v[6:7] op_sel_hi:[1,0,1]
	s_nop 0
	v_mov_b32_e32 v9, v5
	v_pk_add_f32 v[0:1], v[0:1], v[8:9]
	s_nop 0
	v_mov_b32_e32 v7, v1
.LBB220_29:
	v_mov_b32_e32 v1, v7
	global_store_dwordx2 v[2:3], v[0:1], off
.LBB220_30:
	s_endpgm
	.section	.rodata,"a",@progbits
	.p2align	6, 0x0
	.amdhsa_kernel _ZL29rocblas_internal_gemmt_kernelIlLi16ELi32ELi8ELc84ELc84ELc85ELb0ELb0E19rocblas_complex_numIfEPKS1_S3_PS1_EviT_T9_T10_S5_lS7_S5_lS6_T11_S5_li
		.amdhsa_group_segment_fixed_size 4096
		.amdhsa_private_segment_fixed_size 0
		.amdhsa_kernarg_size 108
		.amdhsa_user_sgpr_count 2
		.amdhsa_user_sgpr_dispatch_ptr 0
		.amdhsa_user_sgpr_queue_ptr 0
		.amdhsa_user_sgpr_kernarg_segment_ptr 1
		.amdhsa_user_sgpr_dispatch_id 0
		.amdhsa_user_sgpr_kernarg_preload_length 0
		.amdhsa_user_sgpr_kernarg_preload_offset 0
		.amdhsa_user_sgpr_private_segment_size 0
		.amdhsa_uses_dynamic_stack 0
		.amdhsa_enable_private_segment 0
		.amdhsa_system_sgpr_workgroup_id_x 1
		.amdhsa_system_sgpr_workgroup_id_y 1
		.amdhsa_system_sgpr_workgroup_id_z 1
		.amdhsa_system_sgpr_workgroup_info 0
		.amdhsa_system_vgpr_workitem_id 1
		.amdhsa_next_free_vgpr 51
		.amdhsa_next_free_sgpr 40
		.amdhsa_accum_offset 52
		.amdhsa_reserve_vcc 1
		.amdhsa_float_round_mode_32 0
		.amdhsa_float_round_mode_16_64 0
		.amdhsa_float_denorm_mode_32 3
		.amdhsa_float_denorm_mode_16_64 3
		.amdhsa_dx10_clamp 1
		.amdhsa_ieee_mode 1
		.amdhsa_fp16_overflow 0
		.amdhsa_tg_split 0
		.amdhsa_exception_fp_ieee_invalid_op 0
		.amdhsa_exception_fp_denorm_src 0
		.amdhsa_exception_fp_ieee_div_zero 0
		.amdhsa_exception_fp_ieee_overflow 0
		.amdhsa_exception_fp_ieee_underflow 0
		.amdhsa_exception_fp_ieee_inexact 0
		.amdhsa_exception_int_div_zero 0
	.end_amdhsa_kernel
	.section	.text._ZL29rocblas_internal_gemmt_kernelIlLi16ELi32ELi8ELc84ELc84ELc85ELb0ELb0E19rocblas_complex_numIfEPKS1_S3_PS1_EviT_T9_T10_S5_lS7_S5_lS6_T11_S5_li,"axG",@progbits,_ZL29rocblas_internal_gemmt_kernelIlLi16ELi32ELi8ELc84ELc84ELc85ELb0ELb0E19rocblas_complex_numIfEPKS1_S3_PS1_EviT_T9_T10_S5_lS7_S5_lS6_T11_S5_li,comdat
.Lfunc_end220:
	.size	_ZL29rocblas_internal_gemmt_kernelIlLi16ELi32ELi8ELc84ELc84ELc85ELb0ELb0E19rocblas_complex_numIfEPKS1_S3_PS1_EviT_T9_T10_S5_lS7_S5_lS6_T11_S5_li, .Lfunc_end220-_ZL29rocblas_internal_gemmt_kernelIlLi16ELi32ELi8ELc84ELc84ELc85ELb0ELb0E19rocblas_complex_numIfEPKS1_S3_PS1_EviT_T9_T10_S5_lS7_S5_lS6_T11_S5_li
                                        ; -- End function
	.set _ZL29rocblas_internal_gemmt_kernelIlLi16ELi32ELi8ELc84ELc84ELc85ELb0ELb0E19rocblas_complex_numIfEPKS1_S3_PS1_EviT_T9_T10_S5_lS7_S5_lS6_T11_S5_li.num_vgpr, 51
	.set _ZL29rocblas_internal_gemmt_kernelIlLi16ELi32ELi8ELc84ELc84ELc85ELb0ELb0E19rocblas_complex_numIfEPKS1_S3_PS1_EviT_T9_T10_S5_lS7_S5_lS6_T11_S5_li.num_agpr, 0
	.set _ZL29rocblas_internal_gemmt_kernelIlLi16ELi32ELi8ELc84ELc84ELc85ELb0ELb0E19rocblas_complex_numIfEPKS1_S3_PS1_EviT_T9_T10_S5_lS7_S5_lS6_T11_S5_li.numbered_sgpr, 40
	.set _ZL29rocblas_internal_gemmt_kernelIlLi16ELi32ELi8ELc84ELc84ELc85ELb0ELb0E19rocblas_complex_numIfEPKS1_S3_PS1_EviT_T9_T10_S5_lS7_S5_lS6_T11_S5_li.num_named_barrier, 0
	.set _ZL29rocblas_internal_gemmt_kernelIlLi16ELi32ELi8ELc84ELc84ELc85ELb0ELb0E19rocblas_complex_numIfEPKS1_S3_PS1_EviT_T9_T10_S5_lS7_S5_lS6_T11_S5_li.private_seg_size, 0
	.set _ZL29rocblas_internal_gemmt_kernelIlLi16ELi32ELi8ELc84ELc84ELc85ELb0ELb0E19rocblas_complex_numIfEPKS1_S3_PS1_EviT_T9_T10_S5_lS7_S5_lS6_T11_S5_li.uses_vcc, 1
	.set _ZL29rocblas_internal_gemmt_kernelIlLi16ELi32ELi8ELc84ELc84ELc85ELb0ELb0E19rocblas_complex_numIfEPKS1_S3_PS1_EviT_T9_T10_S5_lS7_S5_lS6_T11_S5_li.uses_flat_scratch, 0
	.set _ZL29rocblas_internal_gemmt_kernelIlLi16ELi32ELi8ELc84ELc84ELc85ELb0ELb0E19rocblas_complex_numIfEPKS1_S3_PS1_EviT_T9_T10_S5_lS7_S5_lS6_T11_S5_li.has_dyn_sized_stack, 0
	.set _ZL29rocblas_internal_gemmt_kernelIlLi16ELi32ELi8ELc84ELc84ELc85ELb0ELb0E19rocblas_complex_numIfEPKS1_S3_PS1_EviT_T9_T10_S5_lS7_S5_lS6_T11_S5_li.has_recursion, 0
	.set _ZL29rocblas_internal_gemmt_kernelIlLi16ELi32ELi8ELc84ELc84ELc85ELb0ELb0E19rocblas_complex_numIfEPKS1_S3_PS1_EviT_T9_T10_S5_lS7_S5_lS6_T11_S5_li.has_indirect_call, 0
	.section	.AMDGPU.csdata,"",@progbits
; Kernel info:
; codeLenInByte = 2504
; TotalNumSgprs: 46
; NumVgprs: 51
; NumAgprs: 0
; TotalNumVgprs: 51
; ScratchSize: 0
; MemoryBound: 0
; FloatMode: 240
; IeeeMode: 1
; LDSByteSize: 4096 bytes/workgroup (compile time only)
; SGPRBlocks: 5
; VGPRBlocks: 6
; NumSGPRsForWavesPerEU: 46
; NumVGPRsForWavesPerEU: 51
; AccumOffset: 52
; Occupancy: 8
; WaveLimiterHint : 0
; COMPUTE_PGM_RSRC2:SCRATCH_EN: 0
; COMPUTE_PGM_RSRC2:USER_SGPR: 2
; COMPUTE_PGM_RSRC2:TRAP_HANDLER: 0
; COMPUTE_PGM_RSRC2:TGID_X_EN: 1
; COMPUTE_PGM_RSRC2:TGID_Y_EN: 1
; COMPUTE_PGM_RSRC2:TGID_Z_EN: 1
; COMPUTE_PGM_RSRC2:TIDIG_COMP_CNT: 1
; COMPUTE_PGM_RSRC3_GFX90A:ACCUM_OFFSET: 12
; COMPUTE_PGM_RSRC3_GFX90A:TG_SPLIT: 0
	.section	.text._ZL29rocblas_internal_gemmt_kernelIlLi16ELi32ELi8ELc84ELc67ELc85ELb0ELb1E19rocblas_complex_numIfEPKS1_S3_PS1_EviT_T9_T10_S5_lS7_S5_lS6_T11_S5_li,"axG",@progbits,_ZL29rocblas_internal_gemmt_kernelIlLi16ELi32ELi8ELc84ELc67ELc85ELb0ELb1E19rocblas_complex_numIfEPKS1_S3_PS1_EviT_T9_T10_S5_lS7_S5_lS6_T11_S5_li,comdat
	.globl	_ZL29rocblas_internal_gemmt_kernelIlLi16ELi32ELi8ELc84ELc67ELc85ELb0ELb1E19rocblas_complex_numIfEPKS1_S3_PS1_EviT_T9_T10_S5_lS7_S5_lS6_T11_S5_li ; -- Begin function _ZL29rocblas_internal_gemmt_kernelIlLi16ELi32ELi8ELc84ELc67ELc85ELb0ELb1E19rocblas_complex_numIfEPKS1_S3_PS1_EviT_T9_T10_S5_lS7_S5_lS6_T11_S5_li
	.p2align	8
	.type	_ZL29rocblas_internal_gemmt_kernelIlLi16ELi32ELi8ELc84ELc67ELc85ELb0ELb1E19rocblas_complex_numIfEPKS1_S3_PS1_EviT_T9_T10_S5_lS7_S5_lS6_T11_S5_li,@function
_ZL29rocblas_internal_gemmt_kernelIlLi16ELi32ELi8ELc84ELc67ELc85ELb0ELb1E19rocblas_complex_numIfEPKS1_S3_PS1_EviT_T9_T10_S5_lS7_S5_lS6_T11_S5_li: ; @_ZL29rocblas_internal_gemmt_kernelIlLi16ELi32ELi8ELc84ELc67ELc85ELb0ELb1E19rocblas_complex_numIfEPKS1_S3_PS1_EviT_T9_T10_S5_lS7_S5_lS6_T11_S5_li
; %bb.0:
	s_load_dwordx8 s[24:31], s[0:1], 0x48
	s_load_dwordx16 s[8:23], s[0:1], 0x8
	s_waitcnt lgkmcnt(0)
	s_load_dwordx2 s[6:7], s[24:25], 0x0
	s_load_dwordx2 s[34:35], s[10:11], 0x0
	s_waitcnt lgkmcnt(0)
	s_and_b32 s5, s7, 0x7fffffff
	s_cmp_eq_u32 s5, 0
	v_cmp_eq_f32_e64 s[24:25], s6, 1.0
	s_cselect_b64 s[10:11], -1, 0
	s_and_b64 s[24:25], s[24:25], s[10:11]
	s_and_b64 vcc, exec, s[24:25]
	s_cbranch_vccnz .LBB221_2
; %bb.1:
	s_mov_b64 s[24:25], -1
	s_cbranch_execz .LBB221_3
	s_branch .LBB221_4
.LBB221_2:
	s_mov_b64 s[24:25], 0
.LBB221_3:
	s_cmp_lg_u64 s[8:9], 0
	v_cmp_neq_f32_e64 s[36:37], s34, 0
	v_cmp_neq_f32_e64 s[38:39], s35, 0
	s_cselect_b64 s[24:25], -1, 0
	s_or_b64 s[36:37], s[36:37], s[38:39]
	s_and_b64 s[24:25], s[24:25], s[36:37]
.LBB221_4:
	s_andn2_b64 vcc, exec, s[24:25]
	s_cbranch_vccnz .LBB221_32
; %bb.5:
	s_load_dword s24, s[0:1], 0x0
	s_lshl_b32 s25, s2, 5
	s_lshl_b32 s33, s3, 5
	v_cmp_eq_f32_e64 s[0:1], s34, 0
	v_cmp_eq_f32_e64 s[2:3], s35, 0
	s_and_b64 s[0:1], s[0:1], s[2:3]
	v_cmp_lt_i64_e64 s[2:3], s[8:9], 1
	s_or_b64 s[0:1], s[0:1], s[2:3]
	v_and_b32_e32 v9, 0x3ff, v0
	v_bfe_u32 v11, v0, 10, 10
	v_mov_b32_e32 v30, 0
	s_and_b64 vcc, exec, s[0:1]
	v_mov_b32_e32 v32, 0
	v_mov_b32_e32 v26, 0
	;; [unrolled: 1-line block ×7, first 2 shown]
	s_cbranch_vccnz .LBB221_16
; %bb.6:
	s_mul_i32 s0, s23, s4
	s_mul_hi_u32 s1, s22, s4
	s_add_i32 s1, s1, s0
	s_mul_i32 s0, s22, s4
	s_lshl_b64 s[0:1], s[0:1], 3
	s_add_u32 s2, s18, s0
	s_addc_u32 s3, s19, s1
	s_mul_i32 s0, s17, s4
	s_mul_hi_u32 s1, s16, s4
	s_add_i32 s1, s1, s0
	s_mul_i32 s0, s16, s4
	v_lshl_add_u32 v1, v11, 4, v9
	s_lshl_b64 s[0:1], s[0:1], 3
	v_lshrrev_b32_e32 v10, 5, v1
	v_lshrrev_b32_e32 v4, 3, v1
	v_and_b32_e32 v1, 31, v1
	s_add_u32 s12, s12, s0
	v_or_b32_e32 v2, s25, v1
	s_addc_u32 s13, s13, s1
	v_lshlrev_b32_e32 v1, 3, v1
	s_ashr_i32 s5, s25, 31
	v_and_b32_e32 v8, 7, v9
	s_waitcnt lgkmcnt(0)
	v_cmp_gt_i32_e64 s[0:1], s24, v2
	v_lshl_or_b32 v19, v10, 8, v1
	v_mul_lo_u32 v1, s15, v2
	v_mad_u64_u32 v[2:3], s[16:17], s14, v2, 0
	s_mul_i32 s5, s14, s5
	v_add3_u32 v3, v3, s5, v1
	v_lshlrev_b32_e32 v1, 3, v8
	v_add_u32_e32 v0, s33, v4
	v_lshl_or_b32 v1, v4, 6, v1
	v_add_u32_e32 v21, 0x800, v1
	v_ashrrev_i32_e32 v1, 31, v0
	v_cmp_gt_i32_e32 vcc, s24, v0
	v_lshl_add_u64 v[14:15], v[0:1], 3, s[2:3]
	v_mov_b32_e32 v0, 0x800
	v_lshl_add_u64 v[12:13], v[2:3], 3, s[12:13]
	v_lshlrev_b32_e32 v23, 3, v9
	v_lshl_add_u32 v25, v11, 6, v0
	v_mov_b32_e32 v17, 0
	s_mov_b64 s[2:3], 0
	s_xor_b64 s[12:13], vcc, -1
	v_mov_b32_e32 v20, 0
	v_mov_b32_e32 v18, 0
	;; [unrolled: 1-line block ×8, first 2 shown]
	s_branch .LBB221_8
.LBB221_7:                              ;   in Loop: Header=BB221_8 Depth=1
	s_or_b64 exec, exec, s[14:15]
	ds_write_b32 v21, v0 offset:4
	s_waitcnt lgkmcnt(0)
	s_barrier
	ds_read2_b64 v[34:37], v23 offset1:16
	ds_read_b128 v[38:41], v25
	ds_read_b128 v[42:45], v25 offset:16
	ds_read_b128 v[4:7], v25 offset:32
	;; [unrolled: 1-line block ×3, first 2 shown]
	s_add_u32 s2, s2, 8
	s_waitcnt lgkmcnt(3)
	v_mul_f32_e32 v16, v39, v35
	v_mul_f32_e32 v27, v38, v35
	v_fma_f32 v16, v38, v34, -v16
	v_fmac_f32_e32 v27, v39, v34
	v_add_f32_e32 v16, v30, v16
	v_add_f32_e32 v50, v32, v27
	ds_read_b128 v[30:33], v25 offset:1024
	v_mul_f32_e32 v27, v39, v37
	v_mul_f32_e32 v29, v38, v37
	v_fma_f32 v27, v38, v36, -v27
	v_fmac_f32_e32 v29, v39, v36
	v_add_f32_e32 v38, v26, v27
	v_add_f32_e32 v39, v28, v29
	ds_read_b128 v[26:29], v25 offset:1040
	s_waitcnt lgkmcnt(1)
	v_mul_f32_e32 v46, v31, v35
	v_fma_f32 v46, v30, v34, -v46
	v_add_f32_e32 v22, v22, v46
	ds_read2_b64 v[46:49], v23 offset0:32 offset1:48
	v_mul_f32_e32 v35, v30, v35
	v_fmac_f32_e32 v35, v31, v34
	v_mul_f32_e32 v34, v31, v37
	v_fma_f32 v34, v30, v36, -v34
	v_mul_f32_e32 v30, v30, v37
	v_fmac_f32_e32 v30, v31, v36
	v_add_f32_e32 v20, v20, v30
	s_waitcnt lgkmcnt(0)
	v_mul_f32_e32 v30, v41, v47
	v_mul_f32_e32 v31, v40, v47
	v_fma_f32 v30, v40, v46, -v30
	v_fmac_f32_e32 v31, v41, v46
	v_add_f32_e32 v18, v18, v34
	v_add_f32_e32 v16, v16, v30
	;; [unrolled: 1-line block ×3, first 2 shown]
	v_mul_f32_e32 v31, v41, v49
	v_mul_f32_e32 v34, v40, v49
	v_fma_f32 v31, v40, v48, -v31
	v_fmac_f32_e32 v34, v41, v48
	v_add_f32_e32 v31, v38, v31
	v_add_f32_e32 v38, v39, v34
	v_mul_f32_e32 v34, v33, v47
	v_add_f32_e32 v24, v24, v35
	v_fma_f32 v34, v32, v46, -v34
	v_mul_f32_e32 v35, v32, v47
	v_fmac_f32_e32 v35, v33, v46
	v_add_f32_e32 v22, v22, v34
	v_mul_f32_e32 v34, v33, v49
	v_add_f32_e32 v24, v24, v35
	v_fma_f32 v39, v32, v48, -v34
	ds_read2_b64 v[34:37], v23 offset0:64 offset1:80
	v_mul_f32_e32 v32, v32, v49
	v_fmac_f32_e32 v32, v33, v48
	v_add_f32_e32 v18, v18, v39
	v_add_f32_e32 v20, v20, v32
	s_waitcnt lgkmcnt(0)
	v_mul_f32_e32 v33, v42, v35
	v_fmac_f32_e32 v33, v43, v34
	v_add_f32_e32 v39, v30, v33
	v_mul_f32_e32 v30, v43, v37
	v_mul_f32_e32 v32, v43, v35
	v_fma_f32 v30, v42, v36, -v30
	v_fma_f32 v32, v42, v34, -v32
	v_add_f32_e32 v40, v31, v30
	v_mul_f32_e32 v30, v27, v35
	v_add_f32_e32 v16, v16, v32
	v_mul_f32_e32 v32, v42, v37
	v_fma_f32 v30, v26, v34, -v30
	v_mul_f32_e32 v31, v26, v35
	v_fmac_f32_e32 v32, v43, v36
	v_fmac_f32_e32 v31, v27, v34
	v_add_f32_e32 v22, v22, v30
	v_mul_f32_e32 v30, v27, v37
	v_add_f32_e32 v38, v38, v32
	v_add_f32_e32 v24, v24, v31
	v_fma_f32 v34, v26, v36, -v30
	ds_read2_b64 v[30:33], v23 offset0:96 offset1:112
	v_mul_f32_e32 v26, v26, v37
	v_fmac_f32_e32 v26, v27, v36
	v_add_f32_e32 v20, v20, v26
	v_add_f32_e32 v18, v18, v34
	s_waitcnt lgkmcnt(0)
	v_mul_f32_e32 v26, v45, v31
	v_mul_f32_e32 v27, v44, v31
	v_fma_f32 v26, v44, v30, -v26
	v_fmac_f32_e32 v27, v45, v30
	v_add_f32_e32 v16, v16, v26
	v_add_f32_e32 v26, v39, v27
	v_mul_f32_e32 v27, v45, v33
	v_mul_f32_e32 v34, v44, v33
	v_fma_f32 v27, v44, v32, -v27
	v_fmac_f32_e32 v34, v45, v32
	v_add_f32_e32 v39, v40, v27
	v_add_f32_e32 v38, v38, v34
	v_mul_f32_e32 v27, v29, v31
	ds_read2_b64 v[34:37], v23 offset0:128 offset1:144
	v_fma_f32 v27, v28, v30, -v27
	v_add_f32_e32 v22, v22, v27
	v_mul_f32_e32 v27, v29, v33
	v_mul_f32_e32 v31, v28, v31
	v_fma_f32 v27, v28, v32, -v27
	v_mul_f32_e32 v28, v28, v33
	v_fmac_f32_e32 v28, v29, v32
	v_add_f32_e32 v20, v20, v28
	s_waitcnt lgkmcnt(0)
	v_mul_f32_e32 v28, v4, v35
	v_add_f32_e32 v18, v18, v27
	v_mul_f32_e32 v27, v5, v35
	v_fmac_f32_e32 v28, v5, v34
	v_fma_f32 v27, v4, v34, -v27
	v_add_f32_e32 v42, v26, v28
	v_mul_f32_e32 v26, v5, v37
	v_fmac_f32_e32 v31, v29, v30
	v_add_f32_e32 v16, v16, v27
	v_fma_f32 v30, v4, v36, -v26
	ds_read_b128 v[26:29], v25 offset:1056
	v_mul_f32_e32 v4, v4, v37
	v_fmac_f32_e32 v4, v5, v36
	v_add_f32_e32 v5, v39, v30
	v_add_f32_e32 v4, v38, v4
	ds_read_b128 v[38:41], v25 offset:1072
	s_waitcnt lgkmcnt(1)
	v_mul_f32_e32 v30, v27, v35
	v_add_f32_e32 v24, v24, v31
	v_fma_f32 v30, v26, v34, -v30
	v_mul_f32_e32 v31, v26, v35
	v_fmac_f32_e32 v31, v27, v34
	v_add_f32_e32 v22, v22, v30
	v_mul_f32_e32 v30, v27, v37
	v_add_f32_e32 v24, v24, v31
	v_fma_f32 v34, v26, v36, -v30
	ds_read2_b64 v[30:33], v23 offset0:160 offset1:176
	v_mul_f32_e32 v26, v26, v37
	v_fmac_f32_e32 v26, v27, v36
	v_add_f32_e32 v20, v20, v26
	v_add_f32_e32 v18, v18, v34
	s_waitcnt lgkmcnt(0)
	v_mul_f32_e32 v26, v7, v31
	v_mul_f32_e32 v27, v6, v31
	v_fma_f32 v26, v6, v30, -v26
	v_fmac_f32_e32 v27, v7, v30
	v_add_f32_e32 v16, v16, v26
	v_add_f32_e32 v26, v42, v27
	v_mul_f32_e32 v27, v7, v33
	v_fma_f32 v27, v6, v32, -v27
	v_mul_f32_e32 v6, v6, v33
	v_fmac_f32_e32 v6, v7, v32
	v_add_f32_e32 v34, v4, v6
	v_mul_f32_e32 v4, v29, v31
	v_add_f32_e32 v27, v5, v27
	v_fma_f32 v4, v28, v30, -v4
	v_mul_f32_e32 v5, v28, v31
	v_fmac_f32_e32 v5, v29, v30
	v_add_f32_e32 v22, v22, v4
	v_mul_f32_e32 v4, v29, v33
	v_add_f32_e32 v24, v24, v5
	v_fma_f32 v30, v28, v32, -v4
	ds_read2_b64 v[4:7], v23 offset0:192 offset1:208
	v_mul_f32_e32 v28, v28, v33
	v_fmac_f32_e32 v28, v29, v32
	v_add_f32_e32 v20, v20, v28
	v_add_f32_e32 v18, v18, v30
	s_waitcnt lgkmcnt(0)
	v_mul_f32_e32 v28, v1, v5
	v_fma_f32 v28, v0, v4, -v28
	v_add_f32_e32 v16, v16, v28
	v_mul_f32_e32 v28, v1, v7
	v_mul_f32_e32 v29, v0, v5
	v_fma_f32 v28, v0, v6, -v28
	v_mul_f32_e32 v0, v0, v7
	v_fmac_f32_e32 v0, v1, v6
	v_add_f32_e32 v0, v34, v0
	ds_read2_b64 v[34:37], v23 offset0:224 offset1:240
	v_fmac_f32_e32 v29, v1, v4
	v_add_f32_e32 v1, v27, v28
	v_mul_f32_e32 v27, v39, v5
	v_fma_f32 v27, v38, v4, -v27
	v_mul_f32_e32 v5, v38, v5
	v_fmac_f32_e32 v5, v39, v4
	v_add_f32_e32 v4, v22, v27
	v_mul_f32_e32 v22, v39, v7
	v_fma_f32 v22, v38, v6, -v22
	v_mul_f32_e32 v7, v38, v7
	v_fmac_f32_e32 v7, v39, v6
	v_add_f32_e32 v6, v18, v22
	s_waitcnt lgkmcnt(0)
	v_mul_f32_e32 v18, v3, v35
	v_fma_f32 v18, v2, v34, -v18
	v_add_f32_e32 v30, v16, v18
	v_mul_f32_e32 v16, v3, v37
	v_add_f32_e32 v7, v20, v7
	v_mul_f32_e32 v20, v2, v35
	v_fma_f32 v16, v2, v36, -v16
	v_mul_f32_e32 v2, v2, v37
	v_add_f32_e32 v26, v26, v29
	v_fmac_f32_e32 v20, v3, v34
	v_fmac_f32_e32 v2, v3, v36
	v_add_f32_e32 v32, v26, v20
	v_add_f32_e32 v26, v1, v16
	;; [unrolled: 1-line block ×3, first 2 shown]
	v_mul_f32_e32 v0, v41, v35
	v_mul_f32_e32 v1, v40, v35
	v_add_f32_e32 v5, v24, v5
	v_fma_f32 v0, v40, v34, -v0
	v_fmac_f32_e32 v1, v41, v34
	v_add_f32_e32 v22, v4, v0
	v_add_f32_e32 v24, v5, v1
	v_mul_f32_e32 v0, v41, v37
	v_mul_f32_e32 v1, v40, v37
	v_fma_f32 v0, v40, v36, -v0
	v_fmac_f32_e32 v1, v41, v36
	s_addc_u32 s3, s3, 0
	v_add_f32_e32 v18, v6, v0
	v_add_f32_e32 v20, v7, v1
	v_mov_b64_e32 v[0:1], s[2:3]
	v_cmp_gt_i64_e32 vcc, s[8:9], v[0:1]
	s_barrier
	s_cbranch_vccz .LBB221_16
.LBB221_8:                              ; =>This Inner Loop Header: Depth=1
	v_mov_b32_e32 v0, 0
	v_mov_b32_e32 v1, 0
	s_and_saveexec_b64 s[14:15], s[0:1]
	s_cbranch_execz .LBB221_12
; %bb.9:                                ;   in Loop: Header=BB221_8 Depth=1
	v_add_u32_e32 v16, s2, v10
	v_cmp_gt_u64_e32 vcc, s[8:9], v[16:17]
	v_mov_b32_e32 v1, 0
	v_mov_b32_e32 v0, 0
	s_and_saveexec_b64 s[16:17], vcc
	s_cbranch_execz .LBB221_11
; %bb.10:                               ;   in Loop: Header=BB221_8 Depth=1
	v_lshl_add_u64 v[0:1], v[16:17], 3, v[12:13]
	global_load_dwordx2 v[0:1], v[0:1], off
.LBB221_11:                             ;   in Loop: Header=BB221_8 Depth=1
	s_or_b64 exec, exec, s[16:17]
.LBB221_12:                             ;   in Loop: Header=BB221_8 Depth=1
	s_or_b64 exec, exec, s[14:15]
	v_add_u32_e32 v16, s2, v8
	v_cmp_le_u64_e32 vcc, s[8:9], v[16:17]
	s_or_b64 s[14:15], vcc, s[12:13]
	s_waitcnt vmcnt(0)
	ds_write_b64 v19, v[0:1]
	s_and_saveexec_b64 s[16:17], s[14:15]
	s_xor_b64 s[14:15], exec, s[16:17]
; %bb.13:                               ;   in Loop: Header=BB221_8 Depth=1
	ds_write_b32 v21, v17
; %bb.14:                               ;   in Loop: Header=BB221_8 Depth=1
	s_or_saveexec_b64 s[14:15], s[14:15]
	v_mov_b32_e32 v0, 0
	s_xor_b64 exec, exec, s[14:15]
	s_cbranch_execz .LBB221_7
; %bb.15:                               ;   in Loop: Header=BB221_8 Depth=1
	v_mad_u64_u32 v[0:1], s[16:17], s20, v16, 0
	v_mov_b32_e32 v2, v1
	v_mad_u64_u32 v[2:3], s[16:17], s21, v16, v[2:3]
	v_mov_b32_e32 v1, v2
	v_lshl_add_u64 v[0:1], v[0:1], 3, v[14:15]
	global_load_dwordx2 v[2:3], v[0:1], off
	s_waitcnt vmcnt(0)
	v_xor_b32_e32 v0, 0x80000000, v3
	ds_write_b32 v21, v2
	s_branch .LBB221_7
.LBB221_16:
	s_mul_i32 s0, s31, s4
	s_mul_hi_u32 s1, s30, s4
	s_add_i32 s1, s1, s0
	s_mul_i32 s0, s30, s4
	s_lshl_b64 s[0:1], s[0:1], 3
	v_add_u32_e32 v10, s33, v11
	s_add_u32 s4, s26, s0
	v_ashrrev_i32_e32 v1, 31, v10
	s_addc_u32 s5, s27, s1
	v_cmp_neq_f32_e64 s[0:1], s6, 0
	s_xor_b64 s[8:9], s[10:11], -1
	v_mul_lo_u32 v1, s28, v1
	v_mul_lo_u32 v4, s29, v10
	v_mad_u64_u32 v[2:3], s[10:11], s28, v10, 0
	v_add_u32_e32 v0, s25, v9
	v_add3_u32 v3, v3, v1, v4
	s_or_b64 s[0:1], s[0:1], s[8:9]
	s_waitcnt lgkmcnt(0)
	v_cmp_gt_i32_e64 s[2:3], s24, v10
	v_lshl_add_u64 v[4:5], v[2:3], 3, s[4:5]
	v_cmp_le_i32_e32 vcc, v0, v10
	v_cndmask_b32_e64 v2, 0, 1, s[0:1]
	s_and_b64 s[10:11], s[2:3], vcc
	v_ashrrev_i32_e32 v1, 31, v0
	v_cmp_ne_u32_e64 s[0:1], 1, v2
	s_and_saveexec_b64 s[8:9], s[10:11]
	s_cbranch_execz .LBB221_20
; %bb.17:
	v_pk_mul_f32 v[6:7], v[32:33], s[34:35] op_sel:[0,1] op_sel_hi:[0,0]
	v_pk_fma_f32 v[2:3], v[30:31], s[34:35], v[6:7] op_sel_hi:[0,1,1] neg_lo:[0,0,1] neg_hi:[0,0,1]
	v_pk_fma_f32 v[8:9], v[30:31], s[34:35], v[6:7] op_sel_hi:[0,1,1]
	s_and_b64 vcc, exec, s[0:1]
	v_lshl_add_u64 v[6:7], v[0:1], 3, v[4:5]
	s_cbranch_vccnz .LBB221_19
; %bb.18:
	global_load_dwordx2 v[12:13], v[6:7], off
	s_mov_b32 s10, s7
	v_mov_b32_e32 v3, v9
	s_waitcnt vmcnt(0)
	v_pk_mul_f32 v[8:9], v[12:13], s[10:11] op_sel:[1,0] op_sel_hi:[0,0]
	v_pk_fma_f32 v[14:15], v[12:13], s[6:7], v[8:9] neg_lo:[0,0,1] neg_hi:[0,0,1]
	v_pk_fma_f32 v[8:9], v[12:13], s[6:7], v[8:9] op_sel_hi:[1,0,1]
	s_nop 0
	v_mov_b32_e32 v15, v9
	v_pk_add_f32 v[2:3], v[2:3], v[14:15]
	s_nop 0
	v_mov_b32_e32 v9, v3
.LBB221_19:
	v_mov_b32_e32 v3, v9
	global_store_dwordx2 v[6:7], v[2:3], off
.LBB221_20:
	s_or_b64 exec, exec, s[8:9]
	v_add_u32_e32 v2, 16, v0
	v_cmp_le_i32_e32 vcc, v2, v10
	s_and_b64 s[8:9], s[2:3], vcc
	v_ashrrev_i32_e32 v3, 31, v2
	s_and_saveexec_b64 s[2:3], s[8:9]
	s_cbranch_execz .LBB221_24
; %bb.21:
	v_pk_mul_f32 v[8:9], v[28:29], s[34:35] op_sel:[0,1] op_sel_hi:[0,0]
	v_pk_fma_f32 v[6:7], v[26:27], s[34:35], v[8:9] op_sel_hi:[0,1,1] neg_lo:[0,0,1] neg_hi:[0,0,1]
	v_pk_fma_f32 v[8:9], v[26:27], s[34:35], v[8:9] op_sel_hi:[0,1,1]
	s_and_b64 vcc, exec, s[0:1]
	v_lshl_add_u64 v[4:5], v[2:3], 3, v[4:5]
	s_cbranch_vccnz .LBB221_23
; %bb.22:
	global_load_dwordx2 v[12:13], v[4:5], off
	s_mov_b32 s8, s7
	v_mov_b32_e32 v7, v9
	s_waitcnt vmcnt(0)
	v_pk_mul_f32 v[8:9], v[12:13], s[8:9] op_sel:[1,0] op_sel_hi:[0,0]
	v_pk_fma_f32 v[14:15], v[12:13], s[6:7], v[8:9] neg_lo:[0,0,1] neg_hi:[0,0,1]
	v_pk_fma_f32 v[8:9], v[12:13], s[6:7], v[8:9] op_sel_hi:[1,0,1]
	s_nop 0
	v_mov_b32_e32 v15, v9
	v_pk_add_f32 v[6:7], v[6:7], v[14:15]
	s_nop 0
	v_mov_b32_e32 v9, v7
.LBB221_23:
	v_mov_b32_e32 v7, v9
	global_store_dwordx2 v[4:5], v[6:7], off
.LBB221_24:
	s_or_b64 exec, exec, s[2:3]
	v_add_u32_e32 v10, 16, v10
	v_ashrrev_i32_e32 v4, 31, v10
	v_mul_lo_u32 v6, s28, v4
	v_mul_lo_u32 v7, s29, v10
	v_mad_u64_u32 v[4:5], s[8:9], s28, v10, 0
	v_cmp_gt_i32_e64 s[2:3], s24, v10
	v_add3_u32 v5, v5, v6, v7
	v_cmp_le_i32_e32 vcc, v0, v10
	v_lshl_add_u64 v[4:5], v[4:5], 3, s[4:5]
	s_and_b64 s[8:9], s[2:3], vcc
	s_and_saveexec_b64 s[4:5], s[8:9]
	s_cbranch_execz .LBB221_28
; %bb.25:
	v_pk_mul_f32 v[8:9], v[24:25], s[34:35] op_sel:[0,1] op_sel_hi:[0,0]
	v_pk_fma_f32 v[6:7], v[22:23], s[34:35], v[8:9] op_sel_hi:[0,1,1] neg_lo:[0,0,1] neg_hi:[0,0,1]
	v_pk_fma_f32 v[8:9], v[22:23], s[34:35], v[8:9] op_sel_hi:[0,1,1]
	s_and_b64 vcc, exec, s[0:1]
	v_lshl_add_u64 v[0:1], v[0:1], 3, v[4:5]
	s_cbranch_vccnz .LBB221_27
; %bb.26:
	global_load_dwordx2 v[12:13], v[0:1], off
	s_mov_b32 s8, s7
	v_mov_b32_e32 v7, v9
	s_waitcnt vmcnt(0)
	v_pk_mul_f32 v[8:9], v[12:13], s[8:9] op_sel:[1,0] op_sel_hi:[0,0]
	v_pk_fma_f32 v[14:15], v[12:13], s[6:7], v[8:9] neg_lo:[0,0,1] neg_hi:[0,0,1]
	v_pk_fma_f32 v[8:9], v[12:13], s[6:7], v[8:9] op_sel_hi:[1,0,1]
	s_nop 0
	v_mov_b32_e32 v15, v9
	v_pk_add_f32 v[6:7], v[6:7], v[14:15]
	s_nop 0
	v_mov_b32_e32 v9, v7
.LBB221_27:
	v_mov_b32_e32 v7, v9
	global_store_dwordx2 v[0:1], v[6:7], off
.LBB221_28:
	s_or_b64 exec, exec, s[4:5]
	v_cmp_le_i32_e32 vcc, v2, v10
	s_and_b64 s[2:3], s[2:3], vcc
	s_and_saveexec_b64 s[4:5], s[2:3]
	s_cbranch_execz .LBB221_32
; %bb.29:
	v_pk_mul_f32 v[6:7], v[20:21], s[34:35] op_sel:[0,1] op_sel_hi:[0,0]
	v_pk_fma_f32 v[0:1], v[18:19], s[34:35], v[6:7] op_sel_hi:[0,1,1] neg_lo:[0,0,1] neg_hi:[0,0,1]
	v_pk_fma_f32 v[6:7], v[18:19], s[34:35], v[6:7] op_sel_hi:[0,1,1]
	s_and_b64 vcc, exec, s[0:1]
	v_lshl_add_u64 v[2:3], v[2:3], 3, v[4:5]
	s_cbranch_vccnz .LBB221_31
; %bb.30:
	global_load_dwordx2 v[4:5], v[2:3], off
	s_mov_b32 s0, s7
	v_mov_b32_e32 v1, v7
	s_waitcnt vmcnt(0)
	v_pk_mul_f32 v[6:7], v[4:5], s[0:1] op_sel:[1,0] op_sel_hi:[0,0]
	v_pk_fma_f32 v[8:9], v[4:5], s[6:7], v[6:7] neg_lo:[0,0,1] neg_hi:[0,0,1]
	v_pk_fma_f32 v[4:5], v[4:5], s[6:7], v[6:7] op_sel_hi:[1,0,1]
	s_nop 0
	v_mov_b32_e32 v9, v5
	v_pk_add_f32 v[0:1], v[0:1], v[8:9]
	s_nop 0
	v_mov_b32_e32 v7, v1
.LBB221_31:
	v_mov_b32_e32 v1, v7
	global_store_dwordx2 v[2:3], v[0:1], off
.LBB221_32:
	s_endpgm
	.section	.rodata,"a",@progbits
	.p2align	6, 0x0
	.amdhsa_kernel _ZL29rocblas_internal_gemmt_kernelIlLi16ELi32ELi8ELc84ELc67ELc85ELb0ELb1E19rocblas_complex_numIfEPKS1_S3_PS1_EviT_T9_T10_S5_lS7_S5_lS6_T11_S5_li
		.amdhsa_group_segment_fixed_size 4096
		.amdhsa_private_segment_fixed_size 0
		.amdhsa_kernarg_size 108
		.amdhsa_user_sgpr_count 2
		.amdhsa_user_sgpr_dispatch_ptr 0
		.amdhsa_user_sgpr_queue_ptr 0
		.amdhsa_user_sgpr_kernarg_segment_ptr 1
		.amdhsa_user_sgpr_dispatch_id 0
		.amdhsa_user_sgpr_kernarg_preload_length 0
		.amdhsa_user_sgpr_kernarg_preload_offset 0
		.amdhsa_user_sgpr_private_segment_size 0
		.amdhsa_uses_dynamic_stack 0
		.amdhsa_enable_private_segment 0
		.amdhsa_system_sgpr_workgroup_id_x 1
		.amdhsa_system_sgpr_workgroup_id_y 1
		.amdhsa_system_sgpr_workgroup_id_z 1
		.amdhsa_system_sgpr_workgroup_info 0
		.amdhsa_system_vgpr_workitem_id 1
		.amdhsa_next_free_vgpr 51
		.amdhsa_next_free_sgpr 40
		.amdhsa_accum_offset 52
		.amdhsa_reserve_vcc 1
		.amdhsa_float_round_mode_32 0
		.amdhsa_float_round_mode_16_64 0
		.amdhsa_float_denorm_mode_32 3
		.amdhsa_float_denorm_mode_16_64 3
		.amdhsa_dx10_clamp 1
		.amdhsa_ieee_mode 1
		.amdhsa_fp16_overflow 0
		.amdhsa_tg_split 0
		.amdhsa_exception_fp_ieee_invalid_op 0
		.amdhsa_exception_fp_denorm_src 0
		.amdhsa_exception_fp_ieee_div_zero 0
		.amdhsa_exception_fp_ieee_overflow 0
		.amdhsa_exception_fp_ieee_underflow 0
		.amdhsa_exception_fp_ieee_inexact 0
		.amdhsa_exception_int_div_zero 0
	.end_amdhsa_kernel
	.section	.text._ZL29rocblas_internal_gemmt_kernelIlLi16ELi32ELi8ELc84ELc67ELc85ELb0ELb1E19rocblas_complex_numIfEPKS1_S3_PS1_EviT_T9_T10_S5_lS7_S5_lS6_T11_S5_li,"axG",@progbits,_ZL29rocblas_internal_gemmt_kernelIlLi16ELi32ELi8ELc84ELc67ELc85ELb0ELb1E19rocblas_complex_numIfEPKS1_S3_PS1_EviT_T9_T10_S5_lS7_S5_lS6_T11_S5_li,comdat
.Lfunc_end221:
	.size	_ZL29rocblas_internal_gemmt_kernelIlLi16ELi32ELi8ELc84ELc67ELc85ELb0ELb1E19rocblas_complex_numIfEPKS1_S3_PS1_EviT_T9_T10_S5_lS7_S5_lS6_T11_S5_li, .Lfunc_end221-_ZL29rocblas_internal_gemmt_kernelIlLi16ELi32ELi8ELc84ELc67ELc85ELb0ELb1E19rocblas_complex_numIfEPKS1_S3_PS1_EviT_T9_T10_S5_lS7_S5_lS6_T11_S5_li
                                        ; -- End function
	.set _ZL29rocblas_internal_gemmt_kernelIlLi16ELi32ELi8ELc84ELc67ELc85ELb0ELb1E19rocblas_complex_numIfEPKS1_S3_PS1_EviT_T9_T10_S5_lS7_S5_lS6_T11_S5_li.num_vgpr, 51
	.set _ZL29rocblas_internal_gemmt_kernelIlLi16ELi32ELi8ELc84ELc67ELc85ELb0ELb1E19rocblas_complex_numIfEPKS1_S3_PS1_EviT_T9_T10_S5_lS7_S5_lS6_T11_S5_li.num_agpr, 0
	.set _ZL29rocblas_internal_gemmt_kernelIlLi16ELi32ELi8ELc84ELc67ELc85ELb0ELb1E19rocblas_complex_numIfEPKS1_S3_PS1_EviT_T9_T10_S5_lS7_S5_lS6_T11_S5_li.numbered_sgpr, 40
	.set _ZL29rocblas_internal_gemmt_kernelIlLi16ELi32ELi8ELc84ELc67ELc85ELb0ELb1E19rocblas_complex_numIfEPKS1_S3_PS1_EviT_T9_T10_S5_lS7_S5_lS6_T11_S5_li.num_named_barrier, 0
	.set _ZL29rocblas_internal_gemmt_kernelIlLi16ELi32ELi8ELc84ELc67ELc85ELb0ELb1E19rocblas_complex_numIfEPKS1_S3_PS1_EviT_T9_T10_S5_lS7_S5_lS6_T11_S5_li.private_seg_size, 0
	.set _ZL29rocblas_internal_gemmt_kernelIlLi16ELi32ELi8ELc84ELc67ELc85ELb0ELb1E19rocblas_complex_numIfEPKS1_S3_PS1_EviT_T9_T10_S5_lS7_S5_lS6_T11_S5_li.uses_vcc, 1
	.set _ZL29rocblas_internal_gemmt_kernelIlLi16ELi32ELi8ELc84ELc67ELc85ELb0ELb1E19rocblas_complex_numIfEPKS1_S3_PS1_EviT_T9_T10_S5_lS7_S5_lS6_T11_S5_li.uses_flat_scratch, 0
	.set _ZL29rocblas_internal_gemmt_kernelIlLi16ELi32ELi8ELc84ELc67ELc85ELb0ELb1E19rocblas_complex_numIfEPKS1_S3_PS1_EviT_T9_T10_S5_lS7_S5_lS6_T11_S5_li.has_dyn_sized_stack, 0
	.set _ZL29rocblas_internal_gemmt_kernelIlLi16ELi32ELi8ELc84ELc67ELc85ELb0ELb1E19rocblas_complex_numIfEPKS1_S3_PS1_EviT_T9_T10_S5_lS7_S5_lS6_T11_S5_li.has_recursion, 0
	.set _ZL29rocblas_internal_gemmt_kernelIlLi16ELi32ELi8ELc84ELc67ELc85ELb0ELb1E19rocblas_complex_numIfEPKS1_S3_PS1_EviT_T9_T10_S5_lS7_S5_lS6_T11_S5_li.has_indirect_call, 0
	.section	.AMDGPU.csdata,"",@progbits
; Kernel info:
; codeLenInByte = 2536
; TotalNumSgprs: 46
; NumVgprs: 51
; NumAgprs: 0
; TotalNumVgprs: 51
; ScratchSize: 0
; MemoryBound: 0
; FloatMode: 240
; IeeeMode: 1
; LDSByteSize: 4096 bytes/workgroup (compile time only)
; SGPRBlocks: 5
; VGPRBlocks: 6
; NumSGPRsForWavesPerEU: 46
; NumVGPRsForWavesPerEU: 51
; AccumOffset: 52
; Occupancy: 8
; WaveLimiterHint : 0
; COMPUTE_PGM_RSRC2:SCRATCH_EN: 0
; COMPUTE_PGM_RSRC2:USER_SGPR: 2
; COMPUTE_PGM_RSRC2:TRAP_HANDLER: 0
; COMPUTE_PGM_RSRC2:TGID_X_EN: 1
; COMPUTE_PGM_RSRC2:TGID_Y_EN: 1
; COMPUTE_PGM_RSRC2:TGID_Z_EN: 1
; COMPUTE_PGM_RSRC2:TIDIG_COMP_CNT: 1
; COMPUTE_PGM_RSRC3_GFX90A:ACCUM_OFFSET: 12
; COMPUTE_PGM_RSRC3_GFX90A:TG_SPLIT: 0
	.section	.text._ZL29rocblas_internal_gemmt_kernelIlLi16ELi32ELi8ELc67ELc78ELc85ELb1ELb0E19rocblas_complex_numIfEPKS1_S3_PS1_EviT_T9_T10_S5_lS7_S5_lS6_T11_S5_li,"axG",@progbits,_ZL29rocblas_internal_gemmt_kernelIlLi16ELi32ELi8ELc67ELc78ELc85ELb1ELb0E19rocblas_complex_numIfEPKS1_S3_PS1_EviT_T9_T10_S5_lS7_S5_lS6_T11_S5_li,comdat
	.globl	_ZL29rocblas_internal_gemmt_kernelIlLi16ELi32ELi8ELc67ELc78ELc85ELb1ELb0E19rocblas_complex_numIfEPKS1_S3_PS1_EviT_T9_T10_S5_lS7_S5_lS6_T11_S5_li ; -- Begin function _ZL29rocblas_internal_gemmt_kernelIlLi16ELi32ELi8ELc67ELc78ELc85ELb1ELb0E19rocblas_complex_numIfEPKS1_S3_PS1_EviT_T9_T10_S5_lS7_S5_lS6_T11_S5_li
	.p2align	8
	.type	_ZL29rocblas_internal_gemmt_kernelIlLi16ELi32ELi8ELc67ELc78ELc85ELb1ELb0E19rocblas_complex_numIfEPKS1_S3_PS1_EviT_T9_T10_S5_lS7_S5_lS6_T11_S5_li,@function
_ZL29rocblas_internal_gemmt_kernelIlLi16ELi32ELi8ELc67ELc78ELc85ELb1ELb0E19rocblas_complex_numIfEPKS1_S3_PS1_EviT_T9_T10_S5_lS7_S5_lS6_T11_S5_li: ; @_ZL29rocblas_internal_gemmt_kernelIlLi16ELi32ELi8ELc67ELc78ELc85ELb1ELb0E19rocblas_complex_numIfEPKS1_S3_PS1_EviT_T9_T10_S5_lS7_S5_lS6_T11_S5_li
; %bb.0:
	s_load_dwordx8 s[24:31], s[0:1], 0x48
	s_load_dwordx16 s[8:23], s[0:1], 0x8
	s_waitcnt lgkmcnt(0)
	s_load_dwordx2 s[6:7], s[24:25], 0x0
	s_load_dwordx2 s[34:35], s[10:11], 0x0
	s_waitcnt lgkmcnt(0)
	s_and_b32 s5, s7, 0x7fffffff
	s_cmp_eq_u32 s5, 0
	v_cmp_eq_f32_e64 s[24:25], s6, 1.0
	s_cselect_b64 s[10:11], -1, 0
	s_and_b64 s[24:25], s[24:25], s[10:11]
	s_and_b64 vcc, exec, s[24:25]
	s_cbranch_vccnz .LBB222_2
; %bb.1:
	s_mov_b64 s[24:25], -1
	s_cbranch_execz .LBB222_3
	s_branch .LBB222_4
.LBB222_2:
	s_mov_b64 s[24:25], 0
.LBB222_3:
	s_cmp_lg_u64 s[8:9], 0
	v_cmp_neq_f32_e64 s[36:37], s34, 0
	v_cmp_neq_f32_e64 s[38:39], s35, 0
	s_cselect_b64 s[24:25], -1, 0
	s_or_b64 s[36:37], s[36:37], s[38:39]
	s_and_b64 s[24:25], s[24:25], s[36:37]
.LBB222_4:
	s_andn2_b64 vcc, exec, s[24:25]
	s_cbranch_vccnz .LBB222_32
; %bb.5:
	s_load_dword s24, s[0:1], 0x0
	s_lshl_b32 s25, s2, 5
	s_lshl_b32 s33, s3, 5
	v_cmp_eq_f32_e64 s[0:1], s34, 0
	v_cmp_eq_f32_e64 s[2:3], s35, 0
	s_and_b64 s[0:1], s[0:1], s[2:3]
	v_cmp_lt_i64_e64 s[2:3], s[8:9], 1
	s_or_b64 s[0:1], s[0:1], s[2:3]
	v_and_b32_e32 v9, 0x3ff, v0
	v_bfe_u32 v11, v0, 10, 10
	v_mov_b32_e32 v32, 0
	s_and_b64 vcc, exec, s[0:1]
	v_mov_b32_e32 v34, 0
	v_mov_b32_e32 v28, 0
	v_mov_b32_e32 v30, 0
	v_mov_b32_e32 v24, 0
	v_mov_b32_e32 v26, 0
	v_mov_b32_e32 v20, 0
	v_mov_b32_e32 v22, 0
	s_cbranch_vccnz .LBB222_16
; %bb.6:
	s_mul_i32 s0, s23, s4
	s_mul_hi_u32 s1, s22, s4
	s_add_i32 s1, s1, s0
	s_mul_i32 s0, s22, s4
	s_lshl_b64 s[0:1], s[0:1], 3
	s_add_u32 s18, s18, s0
	s_addc_u32 s19, s19, s1
	s_mul_i32 s0, s17, s4
	s_mul_hi_u32 s1, s16, s4
	s_add_i32 s1, s1, s0
	s_mul_i32 s0, s16, s4
	v_lshl_add_u32 v0, v11, 4, v9
	s_lshl_b64 s[0:1], s[0:1], 3
	v_lshrrev_b32_e32 v10, 5, v0
	v_lshrrev_b32_e32 v2, 3, v0
	v_and_b32_e32 v0, 31, v0
	s_add_u32 s2, s12, s0
	v_or_b32_e32 v1, s25, v0
	s_addc_u32 s3, s13, s1
	v_lshlrev_b32_e32 v0, 3, v0
	s_ashr_i32 s5, s25, 31
	s_waitcnt lgkmcnt(0)
	v_cmp_gt_i32_e64 s[0:1], s24, v1
	v_cmp_le_i32_e64 s[12:13], s24, v1
	v_lshl_or_b32 v21, v10, 8, v0
	v_mul_lo_u32 v4, s15, v1
	v_mad_u64_u32 v[0:1], s[16:17], s14, v1, 0
	s_mul_i32 s5, s14, s5
	v_and_b32_e32 v8, 7, v9
	v_add3_u32 v1, v1, s5, v4
	v_lshl_add_u64 v[12:13], v[0:1], 3, s[2:3]
	v_lshlrev_b32_e32 v0, 3, v8
	v_add_u32_e32 v3, s33, v2
	v_lshl_or_b32 v0, v2, 6, v0
	v_add_u32_e32 v23, 0x800, v0
	v_ashrrev_i32_e32 v0, 31, v3
	v_mul_lo_u32 v2, s20, v0
	v_mul_lo_u32 v4, s21, v3
	v_mad_u64_u32 v[0:1], s[14:15], s20, v3, 0
	v_add3_u32 v1, v1, v2, v4
	v_lshl_add_u64 v[14:15], v[0:1], 3, s[18:19]
	v_mov_b32_e32 v0, 0x800
	v_cmp_gt_i32_e64 s[2:3], s24, v3
	v_lshlrev_b32_e32 v25, 3, v9
	v_lshl_add_u32 v27, v11, 6, v0
	v_mov_b32_e32 v17, 0
	s_mov_b64 s[14:15], 0
	v_mov_b32_e32 v22, 0
	v_mov_b32_e32 v20, 0
	;; [unrolled: 1-line block ×8, first 2 shown]
                                        ; implicit-def: $vgpr18_vgpr19
	s_branch .LBB222_8
.LBB222_7:                              ;   in Loop: Header=BB222_8 Depth=1
	s_or_b64 exec, exec, s[16:17]
	s_waitcnt vmcnt(0)
	ds_write_b64 v23, v[2:3]
	s_waitcnt lgkmcnt(0)
	s_barrier
	ds_read2_b64 v[36:39], v25 offset1:16
	ds_read_b128 v[40:43], v27
	ds_read_b128 v[44:47], v27 offset:16
	ds_read_b128 v[4:7], v27 offset:32
	;; [unrolled: 1-line block ×3, first 2 shown]
	s_add_u32 s14, s14, 8
	s_waitcnt lgkmcnt(3)
	v_mul_f32_e32 v16, v41, v37
	v_mul_f32_e32 v29, v40, v37
	v_fma_f32 v16, v40, v36, -v16
	v_fmac_f32_e32 v29, v41, v36
	v_add_f32_e32 v16, v32, v16
	v_add_f32_e32 v52, v34, v29
	ds_read_b128 v[32:35], v27 offset:1024
	v_mul_f32_e32 v29, v41, v39
	v_mul_f32_e32 v31, v40, v39
	v_fma_f32 v29, v40, v38, -v29
	v_fmac_f32_e32 v31, v41, v38
	v_add_f32_e32 v40, v28, v29
	v_add_f32_e32 v41, v30, v31
	ds_read_b128 v[28:31], v27 offset:1040
	s_waitcnt lgkmcnt(1)
	v_mul_f32_e32 v48, v33, v37
	v_fma_f32 v48, v32, v36, -v48
	v_add_f32_e32 v24, v24, v48
	ds_read2_b64 v[48:51], v25 offset0:32 offset1:48
	v_mul_f32_e32 v37, v32, v37
	v_fmac_f32_e32 v37, v33, v36
	v_mul_f32_e32 v36, v33, v39
	v_fma_f32 v36, v32, v38, -v36
	v_mul_f32_e32 v32, v32, v39
	v_fmac_f32_e32 v32, v33, v38
	v_add_f32_e32 v22, v22, v32
	s_waitcnt lgkmcnt(0)
	v_mul_f32_e32 v32, v43, v49
	v_mul_f32_e32 v33, v42, v49
	v_fma_f32 v32, v42, v48, -v32
	v_fmac_f32_e32 v33, v43, v48
	v_add_f32_e32 v20, v20, v36
	v_add_f32_e32 v16, v16, v32
	;; [unrolled: 1-line block ×3, first 2 shown]
	v_mul_f32_e32 v33, v43, v51
	v_mul_f32_e32 v36, v42, v51
	v_fma_f32 v33, v42, v50, -v33
	v_fmac_f32_e32 v36, v43, v50
	v_add_f32_e32 v33, v40, v33
	v_add_f32_e32 v40, v41, v36
	v_mul_f32_e32 v36, v35, v49
	v_add_f32_e32 v26, v26, v37
	v_fma_f32 v36, v34, v48, -v36
	v_mul_f32_e32 v37, v34, v49
	v_fmac_f32_e32 v37, v35, v48
	v_add_f32_e32 v24, v24, v36
	v_mul_f32_e32 v36, v35, v51
	v_add_f32_e32 v26, v26, v37
	v_fma_f32 v41, v34, v50, -v36
	ds_read2_b64 v[36:39], v25 offset0:64 offset1:80
	v_mul_f32_e32 v34, v34, v51
	v_fmac_f32_e32 v34, v35, v50
	v_add_f32_e32 v20, v20, v41
	v_add_f32_e32 v22, v22, v34
	s_waitcnt lgkmcnt(0)
	v_mul_f32_e32 v35, v44, v37
	v_fmac_f32_e32 v35, v45, v36
	v_add_f32_e32 v41, v32, v35
	v_mul_f32_e32 v32, v45, v39
	v_mul_f32_e32 v34, v45, v37
	v_fma_f32 v32, v44, v38, -v32
	v_fma_f32 v34, v44, v36, -v34
	v_add_f32_e32 v42, v33, v32
	v_mul_f32_e32 v32, v29, v37
	v_add_f32_e32 v16, v16, v34
	v_mul_f32_e32 v34, v44, v39
	v_fma_f32 v32, v28, v36, -v32
	v_mul_f32_e32 v33, v28, v37
	v_fmac_f32_e32 v34, v45, v38
	v_fmac_f32_e32 v33, v29, v36
	v_add_f32_e32 v24, v24, v32
	v_mul_f32_e32 v32, v29, v39
	v_add_f32_e32 v40, v40, v34
	v_add_f32_e32 v26, v26, v33
	v_fma_f32 v36, v28, v38, -v32
	ds_read2_b64 v[32:35], v25 offset0:96 offset1:112
	v_mul_f32_e32 v28, v28, v39
	v_fmac_f32_e32 v28, v29, v38
	v_add_f32_e32 v22, v22, v28
	v_add_f32_e32 v20, v20, v36
	s_waitcnt lgkmcnt(0)
	v_mul_f32_e32 v28, v47, v33
	v_mul_f32_e32 v29, v46, v33
	v_fma_f32 v28, v46, v32, -v28
	v_fmac_f32_e32 v29, v47, v32
	v_add_f32_e32 v16, v16, v28
	v_add_f32_e32 v28, v41, v29
	v_mul_f32_e32 v29, v47, v35
	v_mul_f32_e32 v36, v46, v35
	v_fma_f32 v29, v46, v34, -v29
	v_fmac_f32_e32 v36, v47, v34
	v_add_f32_e32 v41, v42, v29
	v_add_f32_e32 v40, v40, v36
	v_mul_f32_e32 v29, v31, v33
	ds_read2_b64 v[36:39], v25 offset0:128 offset1:144
	v_fma_f32 v29, v30, v32, -v29
	v_add_f32_e32 v24, v24, v29
	v_mul_f32_e32 v29, v31, v35
	v_mul_f32_e32 v33, v30, v33
	v_fma_f32 v29, v30, v34, -v29
	v_mul_f32_e32 v30, v30, v35
	v_fmac_f32_e32 v30, v31, v34
	v_add_f32_e32 v22, v22, v30
	s_waitcnt lgkmcnt(0)
	v_mul_f32_e32 v30, v4, v37
	v_add_f32_e32 v20, v20, v29
	v_mul_f32_e32 v29, v5, v37
	v_fmac_f32_e32 v30, v5, v36
	v_fma_f32 v29, v4, v36, -v29
	v_add_f32_e32 v44, v28, v30
	v_mul_f32_e32 v28, v5, v39
	v_fmac_f32_e32 v33, v31, v32
	v_add_f32_e32 v16, v16, v29
	v_fma_f32 v32, v4, v38, -v28
	ds_read_b128 v[28:31], v27 offset:1056
	v_mul_f32_e32 v4, v4, v39
	v_fmac_f32_e32 v4, v5, v38
	v_add_f32_e32 v5, v41, v32
	v_add_f32_e32 v4, v40, v4
	ds_read_b128 v[40:43], v27 offset:1072
	s_waitcnt lgkmcnt(1)
	v_mul_f32_e32 v32, v29, v37
	v_add_f32_e32 v26, v26, v33
	v_fma_f32 v32, v28, v36, -v32
	v_mul_f32_e32 v33, v28, v37
	v_fmac_f32_e32 v33, v29, v36
	v_add_f32_e32 v24, v24, v32
	v_mul_f32_e32 v32, v29, v39
	v_add_f32_e32 v26, v26, v33
	v_fma_f32 v36, v28, v38, -v32
	ds_read2_b64 v[32:35], v25 offset0:160 offset1:176
	v_mul_f32_e32 v28, v28, v39
	v_fmac_f32_e32 v28, v29, v38
	v_add_f32_e32 v22, v22, v28
	v_add_f32_e32 v20, v20, v36
	s_waitcnt lgkmcnt(0)
	v_mul_f32_e32 v28, v7, v33
	v_mul_f32_e32 v29, v6, v33
	v_fma_f32 v28, v6, v32, -v28
	v_fmac_f32_e32 v29, v7, v32
	v_add_f32_e32 v16, v16, v28
	v_add_f32_e32 v28, v44, v29
	v_mul_f32_e32 v29, v7, v35
	v_fma_f32 v29, v6, v34, -v29
	v_mul_f32_e32 v6, v6, v35
	v_fmac_f32_e32 v6, v7, v34
	v_add_f32_e32 v36, v4, v6
	v_mul_f32_e32 v4, v31, v33
	v_add_f32_e32 v29, v5, v29
	v_fma_f32 v4, v30, v32, -v4
	v_mul_f32_e32 v5, v30, v33
	v_fmac_f32_e32 v5, v31, v32
	v_add_f32_e32 v24, v24, v4
	v_mul_f32_e32 v4, v31, v35
	v_add_f32_e32 v26, v26, v5
	v_fma_f32 v32, v30, v34, -v4
	ds_read2_b64 v[4:7], v25 offset0:192 offset1:208
	v_mul_f32_e32 v30, v30, v35
	v_fmac_f32_e32 v30, v31, v34
	v_add_f32_e32 v22, v22, v30
	v_add_f32_e32 v20, v20, v32
	s_waitcnt lgkmcnt(0)
	v_mul_f32_e32 v30, v1, v5
	v_fma_f32 v30, v0, v4, -v30
	v_add_f32_e32 v16, v16, v30
	v_mul_f32_e32 v30, v1, v7
	v_mul_f32_e32 v31, v0, v5
	v_fma_f32 v30, v0, v6, -v30
	v_mul_f32_e32 v0, v0, v7
	v_fmac_f32_e32 v0, v1, v6
	v_add_f32_e32 v0, v36, v0
	ds_read2_b64 v[36:39], v25 offset0:224 offset1:240
	v_fmac_f32_e32 v31, v1, v4
	v_add_f32_e32 v1, v29, v30
	v_mul_f32_e32 v29, v41, v5
	v_fma_f32 v29, v40, v4, -v29
	v_mul_f32_e32 v5, v40, v5
	v_fmac_f32_e32 v5, v41, v4
	v_add_f32_e32 v4, v24, v29
	v_mul_f32_e32 v24, v41, v7
	v_fma_f32 v24, v40, v6, -v24
	v_mul_f32_e32 v7, v40, v7
	v_fmac_f32_e32 v7, v41, v6
	v_add_f32_e32 v6, v20, v24
	s_waitcnt lgkmcnt(0)
	v_mul_f32_e32 v20, v3, v37
	v_fma_f32 v20, v2, v36, -v20
	v_add_f32_e32 v32, v16, v20
	v_mul_f32_e32 v16, v3, v39
	v_add_f32_e32 v7, v22, v7
	v_mul_f32_e32 v22, v2, v37
	v_fma_f32 v16, v2, v38, -v16
	v_mul_f32_e32 v2, v2, v39
	v_add_f32_e32 v28, v28, v31
	v_fmac_f32_e32 v22, v3, v36
	v_fmac_f32_e32 v2, v3, v38
	v_add_f32_e32 v34, v28, v22
	v_add_f32_e32 v28, v1, v16
	;; [unrolled: 1-line block ×3, first 2 shown]
	v_mul_f32_e32 v0, v43, v37
	v_mul_f32_e32 v1, v42, v37
	v_add_f32_e32 v5, v26, v5
	v_fma_f32 v0, v42, v36, -v0
	v_fmac_f32_e32 v1, v43, v36
	v_add_f32_e32 v24, v4, v0
	v_add_f32_e32 v26, v5, v1
	v_mul_f32_e32 v0, v43, v39
	v_mul_f32_e32 v1, v42, v39
	v_fma_f32 v0, v42, v38, -v0
	v_fmac_f32_e32 v1, v43, v38
	s_addc_u32 s15, s15, 0
	v_add_f32_e32 v20, v6, v0
	v_add_f32_e32 v22, v7, v1
	v_mov_b64_e32 v[0:1], s[14:15]
	v_cmp_gt_i64_e32 vcc, s[8:9], v[0:1]
	s_barrier
	s_cbranch_vccz .LBB222_16
.LBB222_8:                              ; =>This Inner Loop Header: Depth=1
	s_mov_b64 s[20:21], s[12:13]
	s_mov_b64 s[16:17], 0
	s_and_saveexec_b64 s[18:19], s[0:1]
; %bb.9:                                ;   in Loop: Header=BB222_8 Depth=1
	v_add_u32_e32 v16, s14, v10
	v_cmp_le_u64_e32 vcc, s[8:9], v[16:17]
	s_andn2_b64 s[20:21], s[12:13], exec
	s_and_b64 s[22:23], vcc, exec
	s_mov_b64 s[16:17], exec
	s_or_b64 s[20:21], s[20:21], s[22:23]
	v_mov_b64_e32 v[18:19], v[16:17]
; %bb.10:                               ;   in Loop: Header=BB222_8 Depth=1
	s_or_b64 exec, exec, s[18:19]
	s_and_saveexec_b64 s[18:19], s[20:21]
	s_xor_b64 s[18:19], exec, s[18:19]
; %bb.11:                               ;   in Loop: Header=BB222_8 Depth=1
	ds_write_b32 v21, v17
	s_andn2_b64 s[16:17], s[16:17], exec
; %bb.12:                               ;   in Loop: Header=BB222_8 Depth=1
	s_or_b64 exec, exec, s[18:19]
	v_mov_b32_e32 v2, 0
	v_mov_b32_e32 v0, 0
	s_and_saveexec_b64 s[18:19], s[16:17]
	s_cbranch_execz .LBB222_14
; %bb.13:                               ;   in Loop: Header=BB222_8 Depth=1
	v_lshl_add_u64 v[0:1], v[18:19], 3, v[12:13]
	global_load_dwordx2 v[4:5], v[0:1], off
	s_waitcnt vmcnt(0)
	v_xor_b32_e32 v0, 0x80000000, v5
	ds_write_b32 v21, v4
.LBB222_14:                             ;   in Loop: Header=BB222_8 Depth=1
	s_or_b64 exec, exec, s[18:19]
	v_add_u32_e32 v16, s14, v8
	v_cmp_gt_u64_e32 vcc, s[8:9], v[16:17]
	s_and_b64 s[18:19], vcc, s[2:3]
	v_mov_b32_e32 v3, 0
	ds_write_b32 v21, v0 offset:4
	s_and_saveexec_b64 s[16:17], s[18:19]
	s_cbranch_execz .LBB222_7
; %bb.15:                               ;   in Loop: Header=BB222_8 Depth=1
	v_lshl_add_u64 v[0:1], v[16:17], 3, v[14:15]
	global_load_dwordx2 v[2:3], v[0:1], off
	s_branch .LBB222_7
.LBB222_16:
	s_mul_i32 s0, s31, s4
	s_mul_hi_u32 s1, s30, s4
	s_add_i32 s1, s1, s0
	s_mul_i32 s0, s30, s4
	s_lshl_b64 s[0:1], s[0:1], 3
	v_add_u32_e32 v10, s33, v11
	s_add_u32 s4, s26, s0
	v_ashrrev_i32_e32 v1, 31, v10
	s_addc_u32 s5, s27, s1
	v_cmp_neq_f32_e64 s[0:1], s6, 0
	s_xor_b64 s[8:9], s[10:11], -1
	v_mul_lo_u32 v1, s28, v1
	v_mul_lo_u32 v4, s29, v10
	v_mad_u64_u32 v[2:3], s[10:11], s28, v10, 0
	v_add_u32_e32 v0, s25, v9
	v_add3_u32 v3, v3, v1, v4
	s_or_b64 s[0:1], s[0:1], s[8:9]
	s_waitcnt lgkmcnt(0)
	v_cmp_gt_i32_e64 s[2:3], s24, v10
	v_lshl_add_u64 v[4:5], v[2:3], 3, s[4:5]
	v_cmp_le_i32_e32 vcc, v0, v10
	v_cndmask_b32_e64 v2, 0, 1, s[0:1]
	s_and_b64 s[10:11], s[2:3], vcc
	v_ashrrev_i32_e32 v1, 31, v0
	v_cmp_ne_u32_e64 s[0:1], 1, v2
	s_and_saveexec_b64 s[8:9], s[10:11]
	s_cbranch_execz .LBB222_20
; %bb.17:
	v_pk_mul_f32 v[6:7], v[34:35], s[34:35] op_sel:[0,1] op_sel_hi:[0,0]
	v_pk_fma_f32 v[2:3], v[32:33], s[34:35], v[6:7] op_sel_hi:[0,1,1] neg_lo:[0,0,1] neg_hi:[0,0,1]
	v_pk_fma_f32 v[8:9], v[32:33], s[34:35], v[6:7] op_sel_hi:[0,1,1]
	s_and_b64 vcc, exec, s[0:1]
	v_lshl_add_u64 v[6:7], v[0:1], 3, v[4:5]
	s_cbranch_vccnz .LBB222_19
; %bb.18:
	global_load_dwordx2 v[12:13], v[6:7], off
	s_mov_b32 s10, s7
	v_mov_b32_e32 v3, v9
	s_waitcnt vmcnt(0)
	v_pk_mul_f32 v[8:9], v[12:13], s[10:11] op_sel:[1,0] op_sel_hi:[0,0]
	v_pk_fma_f32 v[14:15], v[12:13], s[6:7], v[8:9] neg_lo:[0,0,1] neg_hi:[0,0,1]
	v_pk_fma_f32 v[8:9], v[12:13], s[6:7], v[8:9] op_sel_hi:[1,0,1]
	s_nop 0
	v_mov_b32_e32 v15, v9
	v_pk_add_f32 v[2:3], v[2:3], v[14:15]
	s_nop 0
	v_mov_b32_e32 v9, v3
.LBB222_19:
	v_mov_b32_e32 v3, v9
	global_store_dwordx2 v[6:7], v[2:3], off
.LBB222_20:
	s_or_b64 exec, exec, s[8:9]
	v_add_u32_e32 v2, 16, v0
	v_cmp_le_i32_e32 vcc, v2, v10
	s_and_b64 s[8:9], s[2:3], vcc
	v_ashrrev_i32_e32 v3, 31, v2
	s_and_saveexec_b64 s[2:3], s[8:9]
	s_cbranch_execz .LBB222_24
; %bb.21:
	v_pk_mul_f32 v[8:9], v[30:31], s[34:35] op_sel:[0,1] op_sel_hi:[0,0]
	v_pk_fma_f32 v[6:7], v[28:29], s[34:35], v[8:9] op_sel_hi:[0,1,1] neg_lo:[0,0,1] neg_hi:[0,0,1]
	v_pk_fma_f32 v[8:9], v[28:29], s[34:35], v[8:9] op_sel_hi:[0,1,1]
	s_and_b64 vcc, exec, s[0:1]
	v_lshl_add_u64 v[4:5], v[2:3], 3, v[4:5]
	s_cbranch_vccnz .LBB222_23
; %bb.22:
	global_load_dwordx2 v[12:13], v[4:5], off
	s_mov_b32 s8, s7
	v_mov_b32_e32 v7, v9
	s_waitcnt vmcnt(0)
	v_pk_mul_f32 v[8:9], v[12:13], s[8:9] op_sel:[1,0] op_sel_hi:[0,0]
	v_pk_fma_f32 v[14:15], v[12:13], s[6:7], v[8:9] neg_lo:[0,0,1] neg_hi:[0,0,1]
	v_pk_fma_f32 v[8:9], v[12:13], s[6:7], v[8:9] op_sel_hi:[1,0,1]
	s_nop 0
	v_mov_b32_e32 v15, v9
	v_pk_add_f32 v[6:7], v[6:7], v[14:15]
	s_nop 0
	v_mov_b32_e32 v9, v7
.LBB222_23:
	v_mov_b32_e32 v7, v9
	global_store_dwordx2 v[4:5], v[6:7], off
.LBB222_24:
	s_or_b64 exec, exec, s[2:3]
	v_add_u32_e32 v10, 16, v10
	v_ashrrev_i32_e32 v4, 31, v10
	v_mul_lo_u32 v6, s28, v4
	v_mul_lo_u32 v7, s29, v10
	v_mad_u64_u32 v[4:5], s[8:9], s28, v10, 0
	v_cmp_gt_i32_e64 s[2:3], s24, v10
	v_add3_u32 v5, v5, v6, v7
	v_cmp_le_i32_e32 vcc, v0, v10
	v_lshl_add_u64 v[4:5], v[4:5], 3, s[4:5]
	s_and_b64 s[8:9], s[2:3], vcc
	s_and_saveexec_b64 s[4:5], s[8:9]
	s_cbranch_execz .LBB222_28
; %bb.25:
	v_pk_mul_f32 v[8:9], v[26:27], s[34:35] op_sel:[0,1] op_sel_hi:[0,0]
	v_pk_fma_f32 v[6:7], v[24:25], s[34:35], v[8:9] op_sel_hi:[0,1,1] neg_lo:[0,0,1] neg_hi:[0,0,1]
	v_pk_fma_f32 v[8:9], v[24:25], s[34:35], v[8:9] op_sel_hi:[0,1,1]
	s_and_b64 vcc, exec, s[0:1]
	v_lshl_add_u64 v[0:1], v[0:1], 3, v[4:5]
	s_cbranch_vccnz .LBB222_27
; %bb.26:
	global_load_dwordx2 v[12:13], v[0:1], off
	s_mov_b32 s8, s7
	v_mov_b32_e32 v7, v9
	s_waitcnt vmcnt(0)
	v_pk_mul_f32 v[8:9], v[12:13], s[8:9] op_sel:[1,0] op_sel_hi:[0,0]
	v_pk_fma_f32 v[14:15], v[12:13], s[6:7], v[8:9] neg_lo:[0,0,1] neg_hi:[0,0,1]
	v_pk_fma_f32 v[8:9], v[12:13], s[6:7], v[8:9] op_sel_hi:[1,0,1]
	s_nop 0
	v_mov_b32_e32 v15, v9
	v_pk_add_f32 v[6:7], v[6:7], v[14:15]
	s_nop 0
	v_mov_b32_e32 v9, v7
.LBB222_27:
	v_mov_b32_e32 v7, v9
	global_store_dwordx2 v[0:1], v[6:7], off
.LBB222_28:
	s_or_b64 exec, exec, s[4:5]
	v_cmp_le_i32_e32 vcc, v2, v10
	s_and_b64 s[2:3], s[2:3], vcc
	s_and_saveexec_b64 s[4:5], s[2:3]
	s_cbranch_execz .LBB222_32
; %bb.29:
	v_pk_mul_f32 v[6:7], v[22:23], s[34:35] op_sel:[0,1] op_sel_hi:[0,0]
	v_pk_fma_f32 v[0:1], v[20:21], s[34:35], v[6:7] op_sel_hi:[0,1,1] neg_lo:[0,0,1] neg_hi:[0,0,1]
	v_pk_fma_f32 v[6:7], v[20:21], s[34:35], v[6:7] op_sel_hi:[0,1,1]
	s_and_b64 vcc, exec, s[0:1]
	v_lshl_add_u64 v[2:3], v[2:3], 3, v[4:5]
	s_cbranch_vccnz .LBB222_31
; %bb.30:
	global_load_dwordx2 v[4:5], v[2:3], off
	s_mov_b32 s0, s7
	v_mov_b32_e32 v1, v7
	s_waitcnt vmcnt(0)
	v_pk_mul_f32 v[6:7], v[4:5], s[0:1] op_sel:[1,0] op_sel_hi:[0,0]
	v_pk_fma_f32 v[8:9], v[4:5], s[6:7], v[6:7] neg_lo:[0,0,1] neg_hi:[0,0,1]
	v_pk_fma_f32 v[4:5], v[4:5], s[6:7], v[6:7] op_sel_hi:[1,0,1]
	s_nop 0
	v_mov_b32_e32 v9, v5
	v_pk_add_f32 v[0:1], v[0:1], v[8:9]
	s_nop 0
	v_mov_b32_e32 v7, v1
.LBB222_31:
	v_mov_b32_e32 v1, v7
	global_store_dwordx2 v[2:3], v[0:1], off
.LBB222_32:
	s_endpgm
	.section	.rodata,"a",@progbits
	.p2align	6, 0x0
	.amdhsa_kernel _ZL29rocblas_internal_gemmt_kernelIlLi16ELi32ELi8ELc67ELc78ELc85ELb1ELb0E19rocblas_complex_numIfEPKS1_S3_PS1_EviT_T9_T10_S5_lS7_S5_lS6_T11_S5_li
		.amdhsa_group_segment_fixed_size 4096
		.amdhsa_private_segment_fixed_size 0
		.amdhsa_kernarg_size 108
		.amdhsa_user_sgpr_count 2
		.amdhsa_user_sgpr_dispatch_ptr 0
		.amdhsa_user_sgpr_queue_ptr 0
		.amdhsa_user_sgpr_kernarg_segment_ptr 1
		.amdhsa_user_sgpr_dispatch_id 0
		.amdhsa_user_sgpr_kernarg_preload_length 0
		.amdhsa_user_sgpr_kernarg_preload_offset 0
		.amdhsa_user_sgpr_private_segment_size 0
		.amdhsa_uses_dynamic_stack 0
		.amdhsa_enable_private_segment 0
		.amdhsa_system_sgpr_workgroup_id_x 1
		.amdhsa_system_sgpr_workgroup_id_y 1
		.amdhsa_system_sgpr_workgroup_id_z 1
		.amdhsa_system_sgpr_workgroup_info 0
		.amdhsa_system_vgpr_workitem_id 1
		.amdhsa_next_free_vgpr 53
		.amdhsa_next_free_sgpr 40
		.amdhsa_accum_offset 56
		.amdhsa_reserve_vcc 1
		.amdhsa_float_round_mode_32 0
		.amdhsa_float_round_mode_16_64 0
		.amdhsa_float_denorm_mode_32 3
		.amdhsa_float_denorm_mode_16_64 3
		.amdhsa_dx10_clamp 1
		.amdhsa_ieee_mode 1
		.amdhsa_fp16_overflow 0
		.amdhsa_tg_split 0
		.amdhsa_exception_fp_ieee_invalid_op 0
		.amdhsa_exception_fp_denorm_src 0
		.amdhsa_exception_fp_ieee_div_zero 0
		.amdhsa_exception_fp_ieee_overflow 0
		.amdhsa_exception_fp_ieee_underflow 0
		.amdhsa_exception_fp_ieee_inexact 0
		.amdhsa_exception_int_div_zero 0
	.end_amdhsa_kernel
	.section	.text._ZL29rocblas_internal_gemmt_kernelIlLi16ELi32ELi8ELc67ELc78ELc85ELb1ELb0E19rocblas_complex_numIfEPKS1_S3_PS1_EviT_T9_T10_S5_lS7_S5_lS6_T11_S5_li,"axG",@progbits,_ZL29rocblas_internal_gemmt_kernelIlLi16ELi32ELi8ELc67ELc78ELc85ELb1ELb0E19rocblas_complex_numIfEPKS1_S3_PS1_EviT_T9_T10_S5_lS7_S5_lS6_T11_S5_li,comdat
.Lfunc_end222:
	.size	_ZL29rocblas_internal_gemmt_kernelIlLi16ELi32ELi8ELc67ELc78ELc85ELb1ELb0E19rocblas_complex_numIfEPKS1_S3_PS1_EviT_T9_T10_S5_lS7_S5_lS6_T11_S5_li, .Lfunc_end222-_ZL29rocblas_internal_gemmt_kernelIlLi16ELi32ELi8ELc67ELc78ELc85ELb1ELb0E19rocblas_complex_numIfEPKS1_S3_PS1_EviT_T9_T10_S5_lS7_S5_lS6_T11_S5_li
                                        ; -- End function
	.set _ZL29rocblas_internal_gemmt_kernelIlLi16ELi32ELi8ELc67ELc78ELc85ELb1ELb0E19rocblas_complex_numIfEPKS1_S3_PS1_EviT_T9_T10_S5_lS7_S5_lS6_T11_S5_li.num_vgpr, 53
	.set _ZL29rocblas_internal_gemmt_kernelIlLi16ELi32ELi8ELc67ELc78ELc85ELb1ELb0E19rocblas_complex_numIfEPKS1_S3_PS1_EviT_T9_T10_S5_lS7_S5_lS6_T11_S5_li.num_agpr, 0
	.set _ZL29rocblas_internal_gemmt_kernelIlLi16ELi32ELi8ELc67ELc78ELc85ELb1ELb0E19rocblas_complex_numIfEPKS1_S3_PS1_EviT_T9_T10_S5_lS7_S5_lS6_T11_S5_li.numbered_sgpr, 40
	.set _ZL29rocblas_internal_gemmt_kernelIlLi16ELi32ELi8ELc67ELc78ELc85ELb1ELb0E19rocblas_complex_numIfEPKS1_S3_PS1_EviT_T9_T10_S5_lS7_S5_lS6_T11_S5_li.num_named_barrier, 0
	.set _ZL29rocblas_internal_gemmt_kernelIlLi16ELi32ELi8ELc67ELc78ELc85ELb1ELb0E19rocblas_complex_numIfEPKS1_S3_PS1_EviT_T9_T10_S5_lS7_S5_lS6_T11_S5_li.private_seg_size, 0
	.set _ZL29rocblas_internal_gemmt_kernelIlLi16ELi32ELi8ELc67ELc78ELc85ELb1ELb0E19rocblas_complex_numIfEPKS1_S3_PS1_EviT_T9_T10_S5_lS7_S5_lS6_T11_S5_li.uses_vcc, 1
	.set _ZL29rocblas_internal_gemmt_kernelIlLi16ELi32ELi8ELc67ELc78ELc85ELb1ELb0E19rocblas_complex_numIfEPKS1_S3_PS1_EviT_T9_T10_S5_lS7_S5_lS6_T11_S5_li.uses_flat_scratch, 0
	.set _ZL29rocblas_internal_gemmt_kernelIlLi16ELi32ELi8ELc67ELc78ELc85ELb1ELb0E19rocblas_complex_numIfEPKS1_S3_PS1_EviT_T9_T10_S5_lS7_S5_lS6_T11_S5_li.has_dyn_sized_stack, 0
	.set _ZL29rocblas_internal_gemmt_kernelIlLi16ELi32ELi8ELc67ELc78ELc85ELb1ELb0E19rocblas_complex_numIfEPKS1_S3_PS1_EviT_T9_T10_S5_lS7_S5_lS6_T11_S5_li.has_recursion, 0
	.set _ZL29rocblas_internal_gemmt_kernelIlLi16ELi32ELi8ELc67ELc78ELc85ELb1ELb0E19rocblas_complex_numIfEPKS1_S3_PS1_EviT_T9_T10_S5_lS7_S5_lS6_T11_S5_li.has_indirect_call, 0
	.section	.AMDGPU.csdata,"",@progbits
; Kernel info:
; codeLenInByte = 2572
; TotalNumSgprs: 46
; NumVgprs: 53
; NumAgprs: 0
; TotalNumVgprs: 53
; ScratchSize: 0
; MemoryBound: 0
; FloatMode: 240
; IeeeMode: 1
; LDSByteSize: 4096 bytes/workgroup (compile time only)
; SGPRBlocks: 5
; VGPRBlocks: 6
; NumSGPRsForWavesPerEU: 46
; NumVGPRsForWavesPerEU: 53
; AccumOffset: 56
; Occupancy: 8
; WaveLimiterHint : 0
; COMPUTE_PGM_RSRC2:SCRATCH_EN: 0
; COMPUTE_PGM_RSRC2:USER_SGPR: 2
; COMPUTE_PGM_RSRC2:TRAP_HANDLER: 0
; COMPUTE_PGM_RSRC2:TGID_X_EN: 1
; COMPUTE_PGM_RSRC2:TGID_Y_EN: 1
; COMPUTE_PGM_RSRC2:TGID_Z_EN: 1
; COMPUTE_PGM_RSRC2:TIDIG_COMP_CNT: 1
; COMPUTE_PGM_RSRC3_GFX90A:ACCUM_OFFSET: 13
; COMPUTE_PGM_RSRC3_GFX90A:TG_SPLIT: 0
	.section	.text._ZL29rocblas_internal_gemmt_kernelIlLi16ELi32ELi8ELc67ELc84ELc85ELb1ELb0E19rocblas_complex_numIfEPKS1_S3_PS1_EviT_T9_T10_S5_lS7_S5_lS6_T11_S5_li,"axG",@progbits,_ZL29rocblas_internal_gemmt_kernelIlLi16ELi32ELi8ELc67ELc84ELc85ELb1ELb0E19rocblas_complex_numIfEPKS1_S3_PS1_EviT_T9_T10_S5_lS7_S5_lS6_T11_S5_li,comdat
	.globl	_ZL29rocblas_internal_gemmt_kernelIlLi16ELi32ELi8ELc67ELc84ELc85ELb1ELb0E19rocblas_complex_numIfEPKS1_S3_PS1_EviT_T9_T10_S5_lS7_S5_lS6_T11_S5_li ; -- Begin function _ZL29rocblas_internal_gemmt_kernelIlLi16ELi32ELi8ELc67ELc84ELc85ELb1ELb0E19rocblas_complex_numIfEPKS1_S3_PS1_EviT_T9_T10_S5_lS7_S5_lS6_T11_S5_li
	.p2align	8
	.type	_ZL29rocblas_internal_gemmt_kernelIlLi16ELi32ELi8ELc67ELc84ELc85ELb1ELb0E19rocblas_complex_numIfEPKS1_S3_PS1_EviT_T9_T10_S5_lS7_S5_lS6_T11_S5_li,@function
_ZL29rocblas_internal_gemmt_kernelIlLi16ELi32ELi8ELc67ELc84ELc85ELb1ELb0E19rocblas_complex_numIfEPKS1_S3_PS1_EviT_T9_T10_S5_lS7_S5_lS6_T11_S5_li: ; @_ZL29rocblas_internal_gemmt_kernelIlLi16ELi32ELi8ELc67ELc84ELc85ELb1ELb0E19rocblas_complex_numIfEPKS1_S3_PS1_EviT_T9_T10_S5_lS7_S5_lS6_T11_S5_li
; %bb.0:
	s_load_dwordx8 s[24:31], s[0:1], 0x48
	s_load_dwordx16 s[8:23], s[0:1], 0x8
	s_waitcnt lgkmcnt(0)
	s_load_dwordx2 s[6:7], s[24:25], 0x0
	s_load_dwordx2 s[34:35], s[10:11], 0x0
	s_waitcnt lgkmcnt(0)
	s_and_b32 s5, s7, 0x7fffffff
	s_cmp_eq_u32 s5, 0
	v_cmp_eq_f32_e64 s[24:25], s6, 1.0
	s_cselect_b64 s[10:11], -1, 0
	s_and_b64 s[24:25], s[24:25], s[10:11]
	s_and_b64 vcc, exec, s[24:25]
	s_cbranch_vccnz .LBB223_2
; %bb.1:
	s_mov_b64 s[24:25], -1
	s_cbranch_execz .LBB223_3
	s_branch .LBB223_4
.LBB223_2:
	s_mov_b64 s[24:25], 0
.LBB223_3:
	s_cmp_lg_u64 s[8:9], 0
	v_cmp_neq_f32_e64 s[36:37], s34, 0
	v_cmp_neq_f32_e64 s[38:39], s35, 0
	s_cselect_b64 s[24:25], -1, 0
	s_or_b64 s[36:37], s[36:37], s[38:39]
	s_and_b64 s[24:25], s[24:25], s[36:37]
.LBB223_4:
	s_andn2_b64 vcc, exec, s[24:25]
	s_cbranch_vccnz .LBB223_32
; %bb.5:
	s_load_dword s24, s[0:1], 0x0
	s_lshl_b32 s25, s2, 5
	s_lshl_b32 s33, s3, 5
	v_cmp_eq_f32_e64 s[0:1], s34, 0
	v_cmp_eq_f32_e64 s[2:3], s35, 0
	s_and_b64 s[0:1], s[0:1], s[2:3]
	v_cmp_lt_i64_e64 s[2:3], s[8:9], 1
	s_or_b64 s[0:1], s[0:1], s[2:3]
	v_and_b32_e32 v9, 0x3ff, v0
	v_bfe_u32 v11, v0, 10, 10
	v_mov_b32_e32 v32, 0
	s_and_b64 vcc, exec, s[0:1]
	v_mov_b32_e32 v34, 0
	v_mov_b32_e32 v28, 0
	;; [unrolled: 1-line block ×7, first 2 shown]
	s_cbranch_vccnz .LBB223_16
; %bb.6:
	s_mul_i32 s0, s23, s4
	s_mul_hi_u32 s1, s22, s4
	s_add_i32 s1, s1, s0
	s_mul_i32 s0, s22, s4
	s_lshl_b64 s[0:1], s[0:1], 3
	s_add_u32 s18, s18, s0
	s_addc_u32 s19, s19, s1
	s_mul_i32 s0, s17, s4
	s_mul_hi_u32 s1, s16, s4
	s_add_i32 s1, s1, s0
	s_mul_i32 s0, s16, s4
	v_lshl_add_u32 v1, v11, 4, v9
	s_lshl_b64 s[0:1], s[0:1], 3
	v_lshrrev_b32_e32 v10, 5, v1
	v_lshrrev_b32_e32 v4, 3, v1
	v_and_b32_e32 v1, 31, v1
	s_add_u32 s2, s12, s0
	v_or_b32_e32 v2, s25, v1
	s_addc_u32 s3, s13, s1
	v_lshlrev_b32_e32 v1, 3, v1
	s_ashr_i32 s5, s25, 31
	v_and_b32_e32 v8, 7, v9
	s_waitcnt lgkmcnt(0)
	v_cmp_gt_i32_e64 s[0:1], s24, v2
	v_cmp_le_i32_e64 s[12:13], s24, v2
	v_lshl_or_b32 v21, v10, 8, v1
	v_mul_lo_u32 v1, s15, v2
	v_mad_u64_u32 v[2:3], s[16:17], s14, v2, 0
	s_mul_i32 s5, s14, s5
	v_add3_u32 v3, v3, s5, v1
	v_lshlrev_b32_e32 v1, 3, v8
	v_add_u32_e32 v0, s33, v4
	v_lshl_or_b32 v1, v4, 6, v1
	v_add_u32_e32 v23, 0x800, v1
	v_ashrrev_i32_e32 v1, 31, v0
	v_lshl_add_u64 v[12:13], v[2:3], 3, s[2:3]
	v_cmp_gt_i32_e64 s[2:3], s24, v0
	v_lshl_add_u64 v[14:15], v[0:1], 3, s[18:19]
	v_mov_b32_e32 v0, 0x800
	v_lshlrev_b32_e32 v25, 3, v9
	v_lshl_add_u32 v27, v11, 6, v0
	v_mov_b32_e32 v17, 0
	s_mov_b64 s[14:15], 0
	v_mov_b32_e32 v22, 0
	v_mov_b32_e32 v20, 0
	;; [unrolled: 1-line block ×8, first 2 shown]
                                        ; implicit-def: $vgpr18_vgpr19
	s_branch .LBB223_8
.LBB223_7:                              ;   in Loop: Header=BB223_8 Depth=1
	s_or_b64 exec, exec, s[16:17]
	s_waitcnt vmcnt(0)
	ds_write_b64 v23, v[2:3]
	s_waitcnt lgkmcnt(0)
	s_barrier
	ds_read2_b64 v[36:39], v25 offset1:16
	ds_read_b128 v[40:43], v27
	ds_read_b128 v[44:47], v27 offset:16
	ds_read_b128 v[4:7], v27 offset:32
	;; [unrolled: 1-line block ×3, first 2 shown]
	s_add_u32 s14, s14, 8
	s_waitcnt lgkmcnt(3)
	v_mul_f32_e32 v16, v41, v37
	v_mul_f32_e32 v29, v40, v37
	v_fma_f32 v16, v40, v36, -v16
	v_fmac_f32_e32 v29, v41, v36
	v_add_f32_e32 v16, v32, v16
	v_add_f32_e32 v52, v34, v29
	ds_read_b128 v[32:35], v27 offset:1024
	v_mul_f32_e32 v29, v41, v39
	v_mul_f32_e32 v31, v40, v39
	v_fma_f32 v29, v40, v38, -v29
	v_fmac_f32_e32 v31, v41, v38
	v_add_f32_e32 v40, v28, v29
	v_add_f32_e32 v41, v30, v31
	ds_read_b128 v[28:31], v27 offset:1040
	s_waitcnt lgkmcnt(1)
	v_mul_f32_e32 v48, v33, v37
	v_fma_f32 v48, v32, v36, -v48
	v_add_f32_e32 v24, v24, v48
	ds_read2_b64 v[48:51], v25 offset0:32 offset1:48
	v_mul_f32_e32 v37, v32, v37
	v_fmac_f32_e32 v37, v33, v36
	v_mul_f32_e32 v36, v33, v39
	v_fma_f32 v36, v32, v38, -v36
	v_mul_f32_e32 v32, v32, v39
	v_fmac_f32_e32 v32, v33, v38
	v_add_f32_e32 v22, v22, v32
	s_waitcnt lgkmcnt(0)
	v_mul_f32_e32 v32, v43, v49
	v_mul_f32_e32 v33, v42, v49
	v_fma_f32 v32, v42, v48, -v32
	v_fmac_f32_e32 v33, v43, v48
	v_add_f32_e32 v20, v20, v36
	v_add_f32_e32 v16, v16, v32
	;; [unrolled: 1-line block ×3, first 2 shown]
	v_mul_f32_e32 v33, v43, v51
	v_mul_f32_e32 v36, v42, v51
	v_fma_f32 v33, v42, v50, -v33
	v_fmac_f32_e32 v36, v43, v50
	v_add_f32_e32 v33, v40, v33
	v_add_f32_e32 v40, v41, v36
	v_mul_f32_e32 v36, v35, v49
	v_add_f32_e32 v26, v26, v37
	v_fma_f32 v36, v34, v48, -v36
	v_mul_f32_e32 v37, v34, v49
	v_fmac_f32_e32 v37, v35, v48
	v_add_f32_e32 v24, v24, v36
	v_mul_f32_e32 v36, v35, v51
	v_add_f32_e32 v26, v26, v37
	v_fma_f32 v41, v34, v50, -v36
	ds_read2_b64 v[36:39], v25 offset0:64 offset1:80
	v_mul_f32_e32 v34, v34, v51
	v_fmac_f32_e32 v34, v35, v50
	v_add_f32_e32 v20, v20, v41
	v_add_f32_e32 v22, v22, v34
	s_waitcnt lgkmcnt(0)
	v_mul_f32_e32 v35, v44, v37
	v_fmac_f32_e32 v35, v45, v36
	v_add_f32_e32 v41, v32, v35
	v_mul_f32_e32 v32, v45, v39
	v_mul_f32_e32 v34, v45, v37
	v_fma_f32 v32, v44, v38, -v32
	v_fma_f32 v34, v44, v36, -v34
	v_add_f32_e32 v42, v33, v32
	v_mul_f32_e32 v32, v29, v37
	v_add_f32_e32 v16, v16, v34
	v_mul_f32_e32 v34, v44, v39
	v_fma_f32 v32, v28, v36, -v32
	v_mul_f32_e32 v33, v28, v37
	v_fmac_f32_e32 v34, v45, v38
	v_fmac_f32_e32 v33, v29, v36
	v_add_f32_e32 v24, v24, v32
	v_mul_f32_e32 v32, v29, v39
	v_add_f32_e32 v40, v40, v34
	v_add_f32_e32 v26, v26, v33
	v_fma_f32 v36, v28, v38, -v32
	ds_read2_b64 v[32:35], v25 offset0:96 offset1:112
	v_mul_f32_e32 v28, v28, v39
	v_fmac_f32_e32 v28, v29, v38
	v_add_f32_e32 v22, v22, v28
	v_add_f32_e32 v20, v20, v36
	s_waitcnt lgkmcnt(0)
	v_mul_f32_e32 v28, v47, v33
	v_mul_f32_e32 v29, v46, v33
	v_fma_f32 v28, v46, v32, -v28
	v_fmac_f32_e32 v29, v47, v32
	v_add_f32_e32 v16, v16, v28
	v_add_f32_e32 v28, v41, v29
	v_mul_f32_e32 v29, v47, v35
	v_mul_f32_e32 v36, v46, v35
	v_fma_f32 v29, v46, v34, -v29
	v_fmac_f32_e32 v36, v47, v34
	v_add_f32_e32 v41, v42, v29
	v_add_f32_e32 v40, v40, v36
	v_mul_f32_e32 v29, v31, v33
	ds_read2_b64 v[36:39], v25 offset0:128 offset1:144
	v_fma_f32 v29, v30, v32, -v29
	v_add_f32_e32 v24, v24, v29
	v_mul_f32_e32 v29, v31, v35
	v_mul_f32_e32 v33, v30, v33
	v_fma_f32 v29, v30, v34, -v29
	v_mul_f32_e32 v30, v30, v35
	v_fmac_f32_e32 v30, v31, v34
	v_add_f32_e32 v22, v22, v30
	s_waitcnt lgkmcnt(0)
	v_mul_f32_e32 v30, v4, v37
	v_add_f32_e32 v20, v20, v29
	v_mul_f32_e32 v29, v5, v37
	v_fmac_f32_e32 v30, v5, v36
	v_fma_f32 v29, v4, v36, -v29
	v_add_f32_e32 v44, v28, v30
	v_mul_f32_e32 v28, v5, v39
	v_fmac_f32_e32 v33, v31, v32
	v_add_f32_e32 v16, v16, v29
	v_fma_f32 v32, v4, v38, -v28
	ds_read_b128 v[28:31], v27 offset:1056
	v_mul_f32_e32 v4, v4, v39
	v_fmac_f32_e32 v4, v5, v38
	v_add_f32_e32 v5, v41, v32
	v_add_f32_e32 v4, v40, v4
	ds_read_b128 v[40:43], v27 offset:1072
	s_waitcnt lgkmcnt(1)
	v_mul_f32_e32 v32, v29, v37
	v_add_f32_e32 v26, v26, v33
	v_fma_f32 v32, v28, v36, -v32
	v_mul_f32_e32 v33, v28, v37
	v_fmac_f32_e32 v33, v29, v36
	v_add_f32_e32 v24, v24, v32
	v_mul_f32_e32 v32, v29, v39
	v_add_f32_e32 v26, v26, v33
	v_fma_f32 v36, v28, v38, -v32
	ds_read2_b64 v[32:35], v25 offset0:160 offset1:176
	v_mul_f32_e32 v28, v28, v39
	v_fmac_f32_e32 v28, v29, v38
	v_add_f32_e32 v22, v22, v28
	v_add_f32_e32 v20, v20, v36
	s_waitcnt lgkmcnt(0)
	v_mul_f32_e32 v28, v7, v33
	v_mul_f32_e32 v29, v6, v33
	v_fma_f32 v28, v6, v32, -v28
	v_fmac_f32_e32 v29, v7, v32
	v_add_f32_e32 v16, v16, v28
	v_add_f32_e32 v28, v44, v29
	v_mul_f32_e32 v29, v7, v35
	v_fma_f32 v29, v6, v34, -v29
	v_mul_f32_e32 v6, v6, v35
	v_fmac_f32_e32 v6, v7, v34
	v_add_f32_e32 v36, v4, v6
	v_mul_f32_e32 v4, v31, v33
	v_add_f32_e32 v29, v5, v29
	v_fma_f32 v4, v30, v32, -v4
	v_mul_f32_e32 v5, v30, v33
	v_fmac_f32_e32 v5, v31, v32
	v_add_f32_e32 v24, v24, v4
	v_mul_f32_e32 v4, v31, v35
	v_add_f32_e32 v26, v26, v5
	v_fma_f32 v32, v30, v34, -v4
	ds_read2_b64 v[4:7], v25 offset0:192 offset1:208
	v_mul_f32_e32 v30, v30, v35
	v_fmac_f32_e32 v30, v31, v34
	v_add_f32_e32 v22, v22, v30
	v_add_f32_e32 v20, v20, v32
	s_waitcnt lgkmcnt(0)
	v_mul_f32_e32 v30, v1, v5
	v_fma_f32 v30, v0, v4, -v30
	v_add_f32_e32 v16, v16, v30
	v_mul_f32_e32 v30, v1, v7
	v_mul_f32_e32 v31, v0, v5
	v_fma_f32 v30, v0, v6, -v30
	v_mul_f32_e32 v0, v0, v7
	v_fmac_f32_e32 v0, v1, v6
	v_add_f32_e32 v0, v36, v0
	ds_read2_b64 v[36:39], v25 offset0:224 offset1:240
	v_fmac_f32_e32 v31, v1, v4
	v_add_f32_e32 v1, v29, v30
	v_mul_f32_e32 v29, v41, v5
	v_fma_f32 v29, v40, v4, -v29
	v_mul_f32_e32 v5, v40, v5
	v_fmac_f32_e32 v5, v41, v4
	v_add_f32_e32 v4, v24, v29
	v_mul_f32_e32 v24, v41, v7
	v_fma_f32 v24, v40, v6, -v24
	v_mul_f32_e32 v7, v40, v7
	v_fmac_f32_e32 v7, v41, v6
	v_add_f32_e32 v6, v20, v24
	s_waitcnt lgkmcnt(0)
	v_mul_f32_e32 v20, v3, v37
	v_fma_f32 v20, v2, v36, -v20
	v_add_f32_e32 v32, v16, v20
	v_mul_f32_e32 v16, v3, v39
	v_add_f32_e32 v7, v22, v7
	v_mul_f32_e32 v22, v2, v37
	v_fma_f32 v16, v2, v38, -v16
	v_mul_f32_e32 v2, v2, v39
	v_add_f32_e32 v28, v28, v31
	v_fmac_f32_e32 v22, v3, v36
	v_fmac_f32_e32 v2, v3, v38
	v_add_f32_e32 v34, v28, v22
	v_add_f32_e32 v28, v1, v16
	;; [unrolled: 1-line block ×3, first 2 shown]
	v_mul_f32_e32 v0, v43, v37
	v_mul_f32_e32 v1, v42, v37
	v_add_f32_e32 v5, v26, v5
	v_fma_f32 v0, v42, v36, -v0
	v_fmac_f32_e32 v1, v43, v36
	v_add_f32_e32 v24, v4, v0
	v_add_f32_e32 v26, v5, v1
	v_mul_f32_e32 v0, v43, v39
	v_mul_f32_e32 v1, v42, v39
	v_fma_f32 v0, v42, v38, -v0
	v_fmac_f32_e32 v1, v43, v38
	s_addc_u32 s15, s15, 0
	v_add_f32_e32 v20, v6, v0
	v_add_f32_e32 v22, v7, v1
	v_mov_b64_e32 v[0:1], s[14:15]
	v_cmp_gt_i64_e32 vcc, s[8:9], v[0:1]
	s_barrier
	s_cbranch_vccz .LBB223_16
.LBB223_8:                              ; =>This Inner Loop Header: Depth=1
	s_mov_b64 s[22:23], s[12:13]
	s_mov_b64 s[16:17], 0
	s_and_saveexec_b64 s[18:19], s[0:1]
; %bb.9:                                ;   in Loop: Header=BB223_8 Depth=1
	v_add_u32_e32 v16, s14, v10
	v_cmp_le_u64_e32 vcc, s[8:9], v[16:17]
	s_andn2_b64 s[22:23], s[12:13], exec
	s_and_b64 s[36:37], vcc, exec
	s_mov_b64 s[16:17], exec
	s_or_b64 s[22:23], s[22:23], s[36:37]
	v_mov_b64_e32 v[18:19], v[16:17]
; %bb.10:                               ;   in Loop: Header=BB223_8 Depth=1
	s_or_b64 exec, exec, s[18:19]
	s_and_saveexec_b64 s[18:19], s[22:23]
	s_xor_b64 s[18:19], exec, s[18:19]
; %bb.11:                               ;   in Loop: Header=BB223_8 Depth=1
	ds_write_b32 v21, v17
	s_andn2_b64 s[16:17], s[16:17], exec
; %bb.12:                               ;   in Loop: Header=BB223_8 Depth=1
	s_or_b64 exec, exec, s[18:19]
	v_mov_b32_e32 v2, 0
	v_mov_b32_e32 v0, 0
	s_and_saveexec_b64 s[18:19], s[16:17]
	s_cbranch_execz .LBB223_14
; %bb.13:                               ;   in Loop: Header=BB223_8 Depth=1
	v_lshl_add_u64 v[0:1], v[18:19], 3, v[12:13]
	global_load_dwordx2 v[4:5], v[0:1], off
	s_waitcnt vmcnt(0)
	v_xor_b32_e32 v0, 0x80000000, v5
	ds_write_b32 v21, v4
.LBB223_14:                             ;   in Loop: Header=BB223_8 Depth=1
	s_or_b64 exec, exec, s[18:19]
	v_add_u32_e32 v16, s14, v8
	v_cmp_gt_u64_e32 vcc, s[8:9], v[16:17]
	s_and_b64 s[18:19], vcc, s[2:3]
	v_mov_b32_e32 v3, 0
	ds_write_b32 v21, v0 offset:4
	s_and_saveexec_b64 s[16:17], s[18:19]
	s_cbranch_execz .LBB223_7
; %bb.15:                               ;   in Loop: Header=BB223_8 Depth=1
	v_mad_u64_u32 v[0:1], s[18:19], s20, v16, 0
	v_mov_b32_e32 v2, v1
	v_mad_u64_u32 v[2:3], s[18:19], s21, v16, v[2:3]
	v_mov_b32_e32 v1, v2
	v_lshl_add_u64 v[0:1], v[0:1], 3, v[14:15]
	global_load_dwordx2 v[2:3], v[0:1], off
	s_branch .LBB223_7
.LBB223_16:
	s_mul_i32 s0, s31, s4
	s_mul_hi_u32 s1, s30, s4
	s_add_i32 s1, s1, s0
	s_mul_i32 s0, s30, s4
	s_lshl_b64 s[0:1], s[0:1], 3
	v_add_u32_e32 v10, s33, v11
	s_add_u32 s4, s26, s0
	v_ashrrev_i32_e32 v1, 31, v10
	s_addc_u32 s5, s27, s1
	v_cmp_neq_f32_e64 s[0:1], s6, 0
	s_xor_b64 s[8:9], s[10:11], -1
	v_mul_lo_u32 v1, s28, v1
	v_mul_lo_u32 v4, s29, v10
	v_mad_u64_u32 v[2:3], s[10:11], s28, v10, 0
	v_add_u32_e32 v0, s25, v9
	v_add3_u32 v3, v3, v1, v4
	s_or_b64 s[0:1], s[0:1], s[8:9]
	s_waitcnt lgkmcnt(0)
	v_cmp_gt_i32_e64 s[2:3], s24, v10
	v_lshl_add_u64 v[4:5], v[2:3], 3, s[4:5]
	v_cmp_le_i32_e32 vcc, v0, v10
	v_cndmask_b32_e64 v2, 0, 1, s[0:1]
	s_and_b64 s[10:11], s[2:3], vcc
	v_ashrrev_i32_e32 v1, 31, v0
	v_cmp_ne_u32_e64 s[0:1], 1, v2
	s_and_saveexec_b64 s[8:9], s[10:11]
	s_cbranch_execz .LBB223_20
; %bb.17:
	v_pk_mul_f32 v[6:7], v[34:35], s[34:35] op_sel:[0,1] op_sel_hi:[0,0]
	v_pk_fma_f32 v[2:3], v[32:33], s[34:35], v[6:7] op_sel_hi:[0,1,1] neg_lo:[0,0,1] neg_hi:[0,0,1]
	v_pk_fma_f32 v[8:9], v[32:33], s[34:35], v[6:7] op_sel_hi:[0,1,1]
	s_and_b64 vcc, exec, s[0:1]
	v_lshl_add_u64 v[6:7], v[0:1], 3, v[4:5]
	s_cbranch_vccnz .LBB223_19
; %bb.18:
	global_load_dwordx2 v[12:13], v[6:7], off
	s_mov_b32 s10, s7
	v_mov_b32_e32 v3, v9
	s_waitcnt vmcnt(0)
	v_pk_mul_f32 v[8:9], v[12:13], s[10:11] op_sel:[1,0] op_sel_hi:[0,0]
	v_pk_fma_f32 v[14:15], v[12:13], s[6:7], v[8:9] neg_lo:[0,0,1] neg_hi:[0,0,1]
	v_pk_fma_f32 v[8:9], v[12:13], s[6:7], v[8:9] op_sel_hi:[1,0,1]
	s_nop 0
	v_mov_b32_e32 v15, v9
	v_pk_add_f32 v[2:3], v[2:3], v[14:15]
	s_nop 0
	v_mov_b32_e32 v9, v3
.LBB223_19:
	v_mov_b32_e32 v3, v9
	global_store_dwordx2 v[6:7], v[2:3], off
.LBB223_20:
	s_or_b64 exec, exec, s[8:9]
	v_add_u32_e32 v2, 16, v0
	v_cmp_le_i32_e32 vcc, v2, v10
	s_and_b64 s[8:9], s[2:3], vcc
	v_ashrrev_i32_e32 v3, 31, v2
	s_and_saveexec_b64 s[2:3], s[8:9]
	s_cbranch_execz .LBB223_24
; %bb.21:
	v_pk_mul_f32 v[8:9], v[30:31], s[34:35] op_sel:[0,1] op_sel_hi:[0,0]
	v_pk_fma_f32 v[6:7], v[28:29], s[34:35], v[8:9] op_sel_hi:[0,1,1] neg_lo:[0,0,1] neg_hi:[0,0,1]
	v_pk_fma_f32 v[8:9], v[28:29], s[34:35], v[8:9] op_sel_hi:[0,1,1]
	s_and_b64 vcc, exec, s[0:1]
	v_lshl_add_u64 v[4:5], v[2:3], 3, v[4:5]
	s_cbranch_vccnz .LBB223_23
; %bb.22:
	global_load_dwordx2 v[12:13], v[4:5], off
	s_mov_b32 s8, s7
	v_mov_b32_e32 v7, v9
	s_waitcnt vmcnt(0)
	v_pk_mul_f32 v[8:9], v[12:13], s[8:9] op_sel:[1,0] op_sel_hi:[0,0]
	v_pk_fma_f32 v[14:15], v[12:13], s[6:7], v[8:9] neg_lo:[0,0,1] neg_hi:[0,0,1]
	v_pk_fma_f32 v[8:9], v[12:13], s[6:7], v[8:9] op_sel_hi:[1,0,1]
	s_nop 0
	v_mov_b32_e32 v15, v9
	v_pk_add_f32 v[6:7], v[6:7], v[14:15]
	s_nop 0
	v_mov_b32_e32 v9, v7
.LBB223_23:
	v_mov_b32_e32 v7, v9
	global_store_dwordx2 v[4:5], v[6:7], off
.LBB223_24:
	s_or_b64 exec, exec, s[2:3]
	v_add_u32_e32 v10, 16, v10
	v_ashrrev_i32_e32 v4, 31, v10
	v_mul_lo_u32 v6, s28, v4
	v_mul_lo_u32 v7, s29, v10
	v_mad_u64_u32 v[4:5], s[8:9], s28, v10, 0
	v_cmp_gt_i32_e64 s[2:3], s24, v10
	v_add3_u32 v5, v5, v6, v7
	v_cmp_le_i32_e32 vcc, v0, v10
	v_lshl_add_u64 v[4:5], v[4:5], 3, s[4:5]
	s_and_b64 s[8:9], s[2:3], vcc
	s_and_saveexec_b64 s[4:5], s[8:9]
	s_cbranch_execz .LBB223_28
; %bb.25:
	v_pk_mul_f32 v[8:9], v[26:27], s[34:35] op_sel:[0,1] op_sel_hi:[0,0]
	v_pk_fma_f32 v[6:7], v[24:25], s[34:35], v[8:9] op_sel_hi:[0,1,1] neg_lo:[0,0,1] neg_hi:[0,0,1]
	v_pk_fma_f32 v[8:9], v[24:25], s[34:35], v[8:9] op_sel_hi:[0,1,1]
	s_and_b64 vcc, exec, s[0:1]
	v_lshl_add_u64 v[0:1], v[0:1], 3, v[4:5]
	s_cbranch_vccnz .LBB223_27
; %bb.26:
	global_load_dwordx2 v[12:13], v[0:1], off
	s_mov_b32 s8, s7
	v_mov_b32_e32 v7, v9
	s_waitcnt vmcnt(0)
	v_pk_mul_f32 v[8:9], v[12:13], s[8:9] op_sel:[1,0] op_sel_hi:[0,0]
	v_pk_fma_f32 v[14:15], v[12:13], s[6:7], v[8:9] neg_lo:[0,0,1] neg_hi:[0,0,1]
	v_pk_fma_f32 v[8:9], v[12:13], s[6:7], v[8:9] op_sel_hi:[1,0,1]
	s_nop 0
	v_mov_b32_e32 v15, v9
	v_pk_add_f32 v[6:7], v[6:7], v[14:15]
	s_nop 0
	v_mov_b32_e32 v9, v7
.LBB223_27:
	v_mov_b32_e32 v7, v9
	global_store_dwordx2 v[0:1], v[6:7], off
.LBB223_28:
	s_or_b64 exec, exec, s[4:5]
	v_cmp_le_i32_e32 vcc, v2, v10
	s_and_b64 s[2:3], s[2:3], vcc
	s_and_saveexec_b64 s[4:5], s[2:3]
	s_cbranch_execz .LBB223_32
; %bb.29:
	v_pk_mul_f32 v[6:7], v[22:23], s[34:35] op_sel:[0,1] op_sel_hi:[0,0]
	v_pk_fma_f32 v[0:1], v[20:21], s[34:35], v[6:7] op_sel_hi:[0,1,1] neg_lo:[0,0,1] neg_hi:[0,0,1]
	v_pk_fma_f32 v[6:7], v[20:21], s[34:35], v[6:7] op_sel_hi:[0,1,1]
	s_and_b64 vcc, exec, s[0:1]
	v_lshl_add_u64 v[2:3], v[2:3], 3, v[4:5]
	s_cbranch_vccnz .LBB223_31
; %bb.30:
	global_load_dwordx2 v[4:5], v[2:3], off
	s_mov_b32 s0, s7
	v_mov_b32_e32 v1, v7
	s_waitcnt vmcnt(0)
	v_pk_mul_f32 v[6:7], v[4:5], s[0:1] op_sel:[1,0] op_sel_hi:[0,0]
	v_pk_fma_f32 v[8:9], v[4:5], s[6:7], v[6:7] neg_lo:[0,0,1] neg_hi:[0,0,1]
	v_pk_fma_f32 v[4:5], v[4:5], s[6:7], v[6:7] op_sel_hi:[1,0,1]
	s_nop 0
	v_mov_b32_e32 v9, v5
	v_pk_add_f32 v[0:1], v[0:1], v[8:9]
	s_nop 0
	v_mov_b32_e32 v7, v1
.LBB223_31:
	v_mov_b32_e32 v1, v7
	global_store_dwordx2 v[2:3], v[0:1], off
.LBB223_32:
	s_endpgm
	.section	.rodata,"a",@progbits
	.p2align	6, 0x0
	.amdhsa_kernel _ZL29rocblas_internal_gemmt_kernelIlLi16ELi32ELi8ELc67ELc84ELc85ELb1ELb0E19rocblas_complex_numIfEPKS1_S3_PS1_EviT_T9_T10_S5_lS7_S5_lS6_T11_S5_li
		.amdhsa_group_segment_fixed_size 4096
		.amdhsa_private_segment_fixed_size 0
		.amdhsa_kernarg_size 108
		.amdhsa_user_sgpr_count 2
		.amdhsa_user_sgpr_dispatch_ptr 0
		.amdhsa_user_sgpr_queue_ptr 0
		.amdhsa_user_sgpr_kernarg_segment_ptr 1
		.amdhsa_user_sgpr_dispatch_id 0
		.amdhsa_user_sgpr_kernarg_preload_length 0
		.amdhsa_user_sgpr_kernarg_preload_offset 0
		.amdhsa_user_sgpr_private_segment_size 0
		.amdhsa_uses_dynamic_stack 0
		.amdhsa_enable_private_segment 0
		.amdhsa_system_sgpr_workgroup_id_x 1
		.amdhsa_system_sgpr_workgroup_id_y 1
		.amdhsa_system_sgpr_workgroup_id_z 1
		.amdhsa_system_sgpr_workgroup_info 0
		.amdhsa_system_vgpr_workitem_id 1
		.amdhsa_next_free_vgpr 53
		.amdhsa_next_free_sgpr 40
		.amdhsa_accum_offset 56
		.amdhsa_reserve_vcc 1
		.amdhsa_float_round_mode_32 0
		.amdhsa_float_round_mode_16_64 0
		.amdhsa_float_denorm_mode_32 3
		.amdhsa_float_denorm_mode_16_64 3
		.amdhsa_dx10_clamp 1
		.amdhsa_ieee_mode 1
		.amdhsa_fp16_overflow 0
		.amdhsa_tg_split 0
		.amdhsa_exception_fp_ieee_invalid_op 0
		.amdhsa_exception_fp_denorm_src 0
		.amdhsa_exception_fp_ieee_div_zero 0
		.amdhsa_exception_fp_ieee_overflow 0
		.amdhsa_exception_fp_ieee_underflow 0
		.amdhsa_exception_fp_ieee_inexact 0
		.amdhsa_exception_int_div_zero 0
	.end_amdhsa_kernel
	.section	.text._ZL29rocblas_internal_gemmt_kernelIlLi16ELi32ELi8ELc67ELc84ELc85ELb1ELb0E19rocblas_complex_numIfEPKS1_S3_PS1_EviT_T9_T10_S5_lS7_S5_lS6_T11_S5_li,"axG",@progbits,_ZL29rocblas_internal_gemmt_kernelIlLi16ELi32ELi8ELc67ELc84ELc85ELb1ELb0E19rocblas_complex_numIfEPKS1_S3_PS1_EviT_T9_T10_S5_lS7_S5_lS6_T11_S5_li,comdat
.Lfunc_end223:
	.size	_ZL29rocblas_internal_gemmt_kernelIlLi16ELi32ELi8ELc67ELc84ELc85ELb1ELb0E19rocblas_complex_numIfEPKS1_S3_PS1_EviT_T9_T10_S5_lS7_S5_lS6_T11_S5_li, .Lfunc_end223-_ZL29rocblas_internal_gemmt_kernelIlLi16ELi32ELi8ELc67ELc84ELc85ELb1ELb0E19rocblas_complex_numIfEPKS1_S3_PS1_EviT_T9_T10_S5_lS7_S5_lS6_T11_S5_li
                                        ; -- End function
	.set _ZL29rocblas_internal_gemmt_kernelIlLi16ELi32ELi8ELc67ELc84ELc85ELb1ELb0E19rocblas_complex_numIfEPKS1_S3_PS1_EviT_T9_T10_S5_lS7_S5_lS6_T11_S5_li.num_vgpr, 53
	.set _ZL29rocblas_internal_gemmt_kernelIlLi16ELi32ELi8ELc67ELc84ELc85ELb1ELb0E19rocblas_complex_numIfEPKS1_S3_PS1_EviT_T9_T10_S5_lS7_S5_lS6_T11_S5_li.num_agpr, 0
	.set _ZL29rocblas_internal_gemmt_kernelIlLi16ELi32ELi8ELc67ELc84ELc85ELb1ELb0E19rocblas_complex_numIfEPKS1_S3_PS1_EviT_T9_T10_S5_lS7_S5_lS6_T11_S5_li.numbered_sgpr, 40
	.set _ZL29rocblas_internal_gemmt_kernelIlLi16ELi32ELi8ELc67ELc84ELc85ELb1ELb0E19rocblas_complex_numIfEPKS1_S3_PS1_EviT_T9_T10_S5_lS7_S5_lS6_T11_S5_li.num_named_barrier, 0
	.set _ZL29rocblas_internal_gemmt_kernelIlLi16ELi32ELi8ELc67ELc84ELc85ELb1ELb0E19rocblas_complex_numIfEPKS1_S3_PS1_EviT_T9_T10_S5_lS7_S5_lS6_T11_S5_li.private_seg_size, 0
	.set _ZL29rocblas_internal_gemmt_kernelIlLi16ELi32ELi8ELc67ELc84ELc85ELb1ELb0E19rocblas_complex_numIfEPKS1_S3_PS1_EviT_T9_T10_S5_lS7_S5_lS6_T11_S5_li.uses_vcc, 1
	.set _ZL29rocblas_internal_gemmt_kernelIlLi16ELi32ELi8ELc67ELc84ELc85ELb1ELb0E19rocblas_complex_numIfEPKS1_S3_PS1_EviT_T9_T10_S5_lS7_S5_lS6_T11_S5_li.uses_flat_scratch, 0
	.set _ZL29rocblas_internal_gemmt_kernelIlLi16ELi32ELi8ELc67ELc84ELc85ELb1ELb0E19rocblas_complex_numIfEPKS1_S3_PS1_EviT_T9_T10_S5_lS7_S5_lS6_T11_S5_li.has_dyn_sized_stack, 0
	.set _ZL29rocblas_internal_gemmt_kernelIlLi16ELi32ELi8ELc67ELc84ELc85ELb1ELb0E19rocblas_complex_numIfEPKS1_S3_PS1_EviT_T9_T10_S5_lS7_S5_lS6_T11_S5_li.has_recursion, 0
	.set _ZL29rocblas_internal_gemmt_kernelIlLi16ELi32ELi8ELc67ELc84ELc85ELb1ELb0E19rocblas_complex_numIfEPKS1_S3_PS1_EviT_T9_T10_S5_lS7_S5_lS6_T11_S5_li.has_indirect_call, 0
	.section	.AMDGPU.csdata,"",@progbits
; Kernel info:
; codeLenInByte = 2564
; TotalNumSgprs: 46
; NumVgprs: 53
; NumAgprs: 0
; TotalNumVgprs: 53
; ScratchSize: 0
; MemoryBound: 0
; FloatMode: 240
; IeeeMode: 1
; LDSByteSize: 4096 bytes/workgroup (compile time only)
; SGPRBlocks: 5
; VGPRBlocks: 6
; NumSGPRsForWavesPerEU: 46
; NumVGPRsForWavesPerEU: 53
; AccumOffset: 56
; Occupancy: 8
; WaveLimiterHint : 0
; COMPUTE_PGM_RSRC2:SCRATCH_EN: 0
; COMPUTE_PGM_RSRC2:USER_SGPR: 2
; COMPUTE_PGM_RSRC2:TRAP_HANDLER: 0
; COMPUTE_PGM_RSRC2:TGID_X_EN: 1
; COMPUTE_PGM_RSRC2:TGID_Y_EN: 1
; COMPUTE_PGM_RSRC2:TGID_Z_EN: 1
; COMPUTE_PGM_RSRC2:TIDIG_COMP_CNT: 1
; COMPUTE_PGM_RSRC3_GFX90A:ACCUM_OFFSET: 13
; COMPUTE_PGM_RSRC3_GFX90A:TG_SPLIT: 0
	.section	.text._ZL29rocblas_internal_gemmt_kernelIlLi16ELi32ELi8ELc67ELc67ELc85ELb1ELb1E19rocblas_complex_numIfEPKS1_S3_PS1_EviT_T9_T10_S5_lS7_S5_lS6_T11_S5_li,"axG",@progbits,_ZL29rocblas_internal_gemmt_kernelIlLi16ELi32ELi8ELc67ELc67ELc85ELb1ELb1E19rocblas_complex_numIfEPKS1_S3_PS1_EviT_T9_T10_S5_lS7_S5_lS6_T11_S5_li,comdat
	.globl	_ZL29rocblas_internal_gemmt_kernelIlLi16ELi32ELi8ELc67ELc67ELc85ELb1ELb1E19rocblas_complex_numIfEPKS1_S3_PS1_EviT_T9_T10_S5_lS7_S5_lS6_T11_S5_li ; -- Begin function _ZL29rocblas_internal_gemmt_kernelIlLi16ELi32ELi8ELc67ELc67ELc85ELb1ELb1E19rocblas_complex_numIfEPKS1_S3_PS1_EviT_T9_T10_S5_lS7_S5_lS6_T11_S5_li
	.p2align	8
	.type	_ZL29rocblas_internal_gemmt_kernelIlLi16ELi32ELi8ELc67ELc67ELc85ELb1ELb1E19rocblas_complex_numIfEPKS1_S3_PS1_EviT_T9_T10_S5_lS7_S5_lS6_T11_S5_li,@function
_ZL29rocblas_internal_gemmt_kernelIlLi16ELi32ELi8ELc67ELc67ELc85ELb1ELb1E19rocblas_complex_numIfEPKS1_S3_PS1_EviT_T9_T10_S5_lS7_S5_lS6_T11_S5_li: ; @_ZL29rocblas_internal_gemmt_kernelIlLi16ELi32ELi8ELc67ELc67ELc85ELb1ELb1E19rocblas_complex_numIfEPKS1_S3_PS1_EviT_T9_T10_S5_lS7_S5_lS6_T11_S5_li
; %bb.0:
	s_load_dwordx8 s[24:31], s[0:1], 0x48
	s_load_dwordx16 s[8:23], s[0:1], 0x8
	s_waitcnt lgkmcnt(0)
	s_load_dwordx2 s[6:7], s[24:25], 0x0
	s_load_dwordx2 s[34:35], s[10:11], 0x0
	s_waitcnt lgkmcnt(0)
	s_and_b32 s5, s7, 0x7fffffff
	s_cmp_eq_u32 s5, 0
	v_cmp_eq_f32_e64 s[24:25], s6, 1.0
	s_cselect_b64 s[10:11], -1, 0
	s_and_b64 s[24:25], s[24:25], s[10:11]
	s_and_b64 vcc, exec, s[24:25]
	s_cbranch_vccnz .LBB224_2
; %bb.1:
	s_mov_b64 s[24:25], -1
	s_cbranch_execz .LBB224_3
	s_branch .LBB224_4
.LBB224_2:
	s_mov_b64 s[24:25], 0
.LBB224_3:
	s_cmp_lg_u64 s[8:9], 0
	v_cmp_neq_f32_e64 s[36:37], s34, 0
	v_cmp_neq_f32_e64 s[38:39], s35, 0
	s_cselect_b64 s[24:25], -1, 0
	s_or_b64 s[36:37], s[36:37], s[38:39]
	s_and_b64 s[24:25], s[24:25], s[36:37]
.LBB224_4:
	s_andn2_b64 vcc, exec, s[24:25]
	s_cbranch_vccnz .LBB224_34
; %bb.5:
	s_load_dword s24, s[0:1], 0x0
	s_lshl_b32 s25, s2, 5
	s_lshl_b32 s33, s3, 5
	v_cmp_eq_f32_e64 s[0:1], s34, 0
	v_cmp_eq_f32_e64 s[2:3], s35, 0
	s_and_b64 s[0:1], s[0:1], s[2:3]
	v_cmp_lt_i64_e64 s[2:3], s[8:9], 1
	s_or_b64 s[0:1], s[0:1], s[2:3]
	v_and_b32_e32 v9, 0x3ff, v0
	v_bfe_u32 v11, v0, 10, 10
	v_mov_b32_e32 v32, 0
	s_and_b64 vcc, exec, s[0:1]
	v_mov_b32_e32 v34, 0
	v_mov_b32_e32 v28, 0
	;; [unrolled: 1-line block ×7, first 2 shown]
	s_cbranch_vccnz .LBB224_18
; %bb.6:
	s_mul_i32 s0, s23, s4
	s_mul_hi_u32 s1, s22, s4
	s_add_i32 s1, s1, s0
	s_mul_i32 s0, s22, s4
	s_lshl_b64 s[0:1], s[0:1], 3
	s_add_u32 s18, s18, s0
	s_addc_u32 s19, s19, s1
	s_mul_i32 s0, s17, s4
	s_mul_hi_u32 s1, s16, s4
	s_add_i32 s1, s1, s0
	s_mul_i32 s0, s16, s4
	v_lshl_add_u32 v1, v11, 4, v9
	s_lshl_b64 s[0:1], s[0:1], 3
	v_lshrrev_b32_e32 v10, 5, v1
	v_lshrrev_b32_e32 v4, 3, v1
	v_and_b32_e32 v1, 31, v1
	s_add_u32 s12, s12, s0
	v_or_b32_e32 v2, s25, v1
	s_addc_u32 s13, s13, s1
	v_lshlrev_b32_e32 v1, 3, v1
	s_ashr_i32 s5, s25, 31
	v_and_b32_e32 v8, 7, v9
	s_waitcnt lgkmcnt(0)
	v_cmp_gt_i32_e64 s[0:1], s24, v2
	v_cmp_le_i32_e64 s[2:3], s24, v2
	v_lshl_or_b32 v21, v10, 8, v1
	v_mul_lo_u32 v1, s15, v2
	v_mad_u64_u32 v[2:3], s[16:17], s14, v2, 0
	s_mul_i32 s5, s14, s5
	v_add3_u32 v3, v3, s5, v1
	v_lshlrev_b32_e32 v1, 3, v8
	v_add_u32_e32 v0, s33, v4
	v_lshl_or_b32 v1, v4, 6, v1
	v_add_u32_e32 v23, 0x800, v1
	v_ashrrev_i32_e32 v1, 31, v0
	v_cmp_gt_i32_e32 vcc, s24, v0
	v_lshl_add_u64 v[14:15], v[0:1], 3, s[18:19]
	v_mov_b32_e32 v0, 0x800
	v_lshl_add_u64 v[12:13], v[2:3], 3, s[12:13]
	v_lshlrev_b32_e32 v25, 3, v9
	v_lshl_add_u32 v27, v11, 6, v0
	v_mov_b32_e32 v17, 0
	s_mov_b64 s[12:13], 0
	s_xor_b64 s[14:15], vcc, -1
	v_mov_b32_e32 v22, 0
	v_mov_b32_e32 v20, 0
	;; [unrolled: 1-line block ×8, first 2 shown]
                                        ; implicit-def: $vgpr18_vgpr19
	s_branch .LBB224_8
.LBB224_7:                              ;   in Loop: Header=BB224_8 Depth=1
	s_or_b64 exec, exec, s[16:17]
	ds_write_b32 v23, v0 offset:4
	s_waitcnt lgkmcnt(0)
	s_barrier
	ds_read2_b64 v[36:39], v25 offset1:16
	ds_read_b128 v[40:43], v27
	ds_read_b128 v[44:47], v27 offset:16
	ds_read_b128 v[4:7], v27 offset:32
	;; [unrolled: 1-line block ×3, first 2 shown]
	s_add_u32 s12, s12, 8
	s_waitcnt lgkmcnt(3)
	v_mul_f32_e32 v16, v41, v37
	v_mul_f32_e32 v29, v40, v37
	v_fma_f32 v16, v40, v36, -v16
	v_fmac_f32_e32 v29, v41, v36
	v_add_f32_e32 v16, v32, v16
	v_add_f32_e32 v52, v34, v29
	ds_read_b128 v[32:35], v27 offset:1024
	v_mul_f32_e32 v29, v41, v39
	v_mul_f32_e32 v31, v40, v39
	v_fma_f32 v29, v40, v38, -v29
	v_fmac_f32_e32 v31, v41, v38
	v_add_f32_e32 v40, v28, v29
	v_add_f32_e32 v41, v30, v31
	ds_read_b128 v[28:31], v27 offset:1040
	s_waitcnt lgkmcnt(1)
	v_mul_f32_e32 v48, v33, v37
	v_fma_f32 v48, v32, v36, -v48
	v_add_f32_e32 v24, v24, v48
	ds_read2_b64 v[48:51], v25 offset0:32 offset1:48
	v_mul_f32_e32 v37, v32, v37
	v_fmac_f32_e32 v37, v33, v36
	v_mul_f32_e32 v36, v33, v39
	v_fma_f32 v36, v32, v38, -v36
	v_mul_f32_e32 v32, v32, v39
	v_fmac_f32_e32 v32, v33, v38
	v_add_f32_e32 v22, v22, v32
	s_waitcnt lgkmcnt(0)
	v_mul_f32_e32 v32, v43, v49
	v_mul_f32_e32 v33, v42, v49
	v_fma_f32 v32, v42, v48, -v32
	v_fmac_f32_e32 v33, v43, v48
	v_add_f32_e32 v20, v20, v36
	v_add_f32_e32 v16, v16, v32
	;; [unrolled: 1-line block ×3, first 2 shown]
	v_mul_f32_e32 v33, v43, v51
	v_mul_f32_e32 v36, v42, v51
	v_fma_f32 v33, v42, v50, -v33
	v_fmac_f32_e32 v36, v43, v50
	v_add_f32_e32 v33, v40, v33
	v_add_f32_e32 v40, v41, v36
	v_mul_f32_e32 v36, v35, v49
	v_add_f32_e32 v26, v26, v37
	v_fma_f32 v36, v34, v48, -v36
	v_mul_f32_e32 v37, v34, v49
	v_fmac_f32_e32 v37, v35, v48
	v_add_f32_e32 v24, v24, v36
	v_mul_f32_e32 v36, v35, v51
	v_add_f32_e32 v26, v26, v37
	v_fma_f32 v41, v34, v50, -v36
	ds_read2_b64 v[36:39], v25 offset0:64 offset1:80
	v_mul_f32_e32 v34, v34, v51
	v_fmac_f32_e32 v34, v35, v50
	v_add_f32_e32 v20, v20, v41
	v_add_f32_e32 v22, v22, v34
	s_waitcnt lgkmcnt(0)
	v_mul_f32_e32 v35, v44, v37
	v_fmac_f32_e32 v35, v45, v36
	v_add_f32_e32 v41, v32, v35
	v_mul_f32_e32 v32, v45, v39
	v_mul_f32_e32 v34, v45, v37
	v_fma_f32 v32, v44, v38, -v32
	v_fma_f32 v34, v44, v36, -v34
	v_add_f32_e32 v42, v33, v32
	v_mul_f32_e32 v32, v29, v37
	v_add_f32_e32 v16, v16, v34
	v_mul_f32_e32 v34, v44, v39
	v_fma_f32 v32, v28, v36, -v32
	v_mul_f32_e32 v33, v28, v37
	v_fmac_f32_e32 v34, v45, v38
	v_fmac_f32_e32 v33, v29, v36
	v_add_f32_e32 v24, v24, v32
	v_mul_f32_e32 v32, v29, v39
	v_add_f32_e32 v40, v40, v34
	v_add_f32_e32 v26, v26, v33
	v_fma_f32 v36, v28, v38, -v32
	ds_read2_b64 v[32:35], v25 offset0:96 offset1:112
	v_mul_f32_e32 v28, v28, v39
	v_fmac_f32_e32 v28, v29, v38
	v_add_f32_e32 v22, v22, v28
	v_add_f32_e32 v20, v20, v36
	s_waitcnt lgkmcnt(0)
	v_mul_f32_e32 v28, v47, v33
	v_mul_f32_e32 v29, v46, v33
	v_fma_f32 v28, v46, v32, -v28
	v_fmac_f32_e32 v29, v47, v32
	v_add_f32_e32 v16, v16, v28
	v_add_f32_e32 v28, v41, v29
	v_mul_f32_e32 v29, v47, v35
	v_mul_f32_e32 v36, v46, v35
	v_fma_f32 v29, v46, v34, -v29
	v_fmac_f32_e32 v36, v47, v34
	v_add_f32_e32 v41, v42, v29
	v_add_f32_e32 v40, v40, v36
	v_mul_f32_e32 v29, v31, v33
	ds_read2_b64 v[36:39], v25 offset0:128 offset1:144
	v_fma_f32 v29, v30, v32, -v29
	v_add_f32_e32 v24, v24, v29
	v_mul_f32_e32 v29, v31, v35
	v_mul_f32_e32 v33, v30, v33
	v_fma_f32 v29, v30, v34, -v29
	v_mul_f32_e32 v30, v30, v35
	v_fmac_f32_e32 v30, v31, v34
	v_add_f32_e32 v22, v22, v30
	s_waitcnt lgkmcnt(0)
	v_mul_f32_e32 v30, v4, v37
	v_add_f32_e32 v20, v20, v29
	v_mul_f32_e32 v29, v5, v37
	v_fmac_f32_e32 v30, v5, v36
	v_fma_f32 v29, v4, v36, -v29
	v_add_f32_e32 v44, v28, v30
	v_mul_f32_e32 v28, v5, v39
	v_fmac_f32_e32 v33, v31, v32
	v_add_f32_e32 v16, v16, v29
	v_fma_f32 v32, v4, v38, -v28
	ds_read_b128 v[28:31], v27 offset:1056
	v_mul_f32_e32 v4, v4, v39
	v_fmac_f32_e32 v4, v5, v38
	v_add_f32_e32 v5, v41, v32
	v_add_f32_e32 v4, v40, v4
	ds_read_b128 v[40:43], v27 offset:1072
	s_waitcnt lgkmcnt(1)
	v_mul_f32_e32 v32, v29, v37
	v_add_f32_e32 v26, v26, v33
	v_fma_f32 v32, v28, v36, -v32
	v_mul_f32_e32 v33, v28, v37
	v_fmac_f32_e32 v33, v29, v36
	v_add_f32_e32 v24, v24, v32
	v_mul_f32_e32 v32, v29, v39
	v_add_f32_e32 v26, v26, v33
	v_fma_f32 v36, v28, v38, -v32
	ds_read2_b64 v[32:35], v25 offset0:160 offset1:176
	v_mul_f32_e32 v28, v28, v39
	v_fmac_f32_e32 v28, v29, v38
	v_add_f32_e32 v22, v22, v28
	v_add_f32_e32 v20, v20, v36
	s_waitcnt lgkmcnt(0)
	v_mul_f32_e32 v28, v7, v33
	v_mul_f32_e32 v29, v6, v33
	v_fma_f32 v28, v6, v32, -v28
	v_fmac_f32_e32 v29, v7, v32
	v_add_f32_e32 v16, v16, v28
	v_add_f32_e32 v28, v44, v29
	v_mul_f32_e32 v29, v7, v35
	v_fma_f32 v29, v6, v34, -v29
	v_mul_f32_e32 v6, v6, v35
	v_fmac_f32_e32 v6, v7, v34
	v_add_f32_e32 v36, v4, v6
	v_mul_f32_e32 v4, v31, v33
	v_add_f32_e32 v29, v5, v29
	v_fma_f32 v4, v30, v32, -v4
	v_mul_f32_e32 v5, v30, v33
	v_fmac_f32_e32 v5, v31, v32
	v_add_f32_e32 v24, v24, v4
	v_mul_f32_e32 v4, v31, v35
	v_add_f32_e32 v26, v26, v5
	v_fma_f32 v32, v30, v34, -v4
	ds_read2_b64 v[4:7], v25 offset0:192 offset1:208
	v_mul_f32_e32 v30, v30, v35
	v_fmac_f32_e32 v30, v31, v34
	v_add_f32_e32 v22, v22, v30
	v_add_f32_e32 v20, v20, v32
	s_waitcnt lgkmcnt(0)
	v_mul_f32_e32 v30, v1, v5
	v_fma_f32 v30, v0, v4, -v30
	v_add_f32_e32 v16, v16, v30
	v_mul_f32_e32 v30, v1, v7
	v_mul_f32_e32 v31, v0, v5
	v_fma_f32 v30, v0, v6, -v30
	v_mul_f32_e32 v0, v0, v7
	v_fmac_f32_e32 v0, v1, v6
	v_add_f32_e32 v0, v36, v0
	ds_read2_b64 v[36:39], v25 offset0:224 offset1:240
	v_fmac_f32_e32 v31, v1, v4
	v_add_f32_e32 v1, v29, v30
	v_mul_f32_e32 v29, v41, v5
	v_fma_f32 v29, v40, v4, -v29
	v_mul_f32_e32 v5, v40, v5
	v_fmac_f32_e32 v5, v41, v4
	v_add_f32_e32 v4, v24, v29
	v_mul_f32_e32 v24, v41, v7
	v_fma_f32 v24, v40, v6, -v24
	v_mul_f32_e32 v7, v40, v7
	v_fmac_f32_e32 v7, v41, v6
	v_add_f32_e32 v6, v20, v24
	s_waitcnt lgkmcnt(0)
	v_mul_f32_e32 v20, v3, v37
	v_fma_f32 v20, v2, v36, -v20
	v_add_f32_e32 v32, v16, v20
	v_mul_f32_e32 v16, v3, v39
	v_add_f32_e32 v7, v22, v7
	v_mul_f32_e32 v22, v2, v37
	v_fma_f32 v16, v2, v38, -v16
	v_mul_f32_e32 v2, v2, v39
	v_add_f32_e32 v28, v28, v31
	v_fmac_f32_e32 v22, v3, v36
	v_fmac_f32_e32 v2, v3, v38
	v_add_f32_e32 v34, v28, v22
	v_add_f32_e32 v28, v1, v16
	;; [unrolled: 1-line block ×3, first 2 shown]
	v_mul_f32_e32 v0, v43, v37
	v_mul_f32_e32 v1, v42, v37
	v_add_f32_e32 v5, v26, v5
	v_fma_f32 v0, v42, v36, -v0
	v_fmac_f32_e32 v1, v43, v36
	v_add_f32_e32 v24, v4, v0
	v_add_f32_e32 v26, v5, v1
	v_mul_f32_e32 v0, v43, v39
	v_mul_f32_e32 v1, v42, v39
	v_fma_f32 v0, v42, v38, -v0
	v_fmac_f32_e32 v1, v43, v38
	s_addc_u32 s13, s13, 0
	v_add_f32_e32 v20, v6, v0
	v_add_f32_e32 v22, v7, v1
	v_mov_b64_e32 v[0:1], s[12:13]
	v_cmp_gt_i64_e32 vcc, s[8:9], v[0:1]
	s_barrier
	s_cbranch_vccz .LBB224_18
.LBB224_8:                              ; =>This Inner Loop Header: Depth=1
	s_mov_b64 s[22:23], s[2:3]
	s_mov_b64 s[16:17], 0
	s_and_saveexec_b64 s[18:19], s[0:1]
	s_cbranch_execnz .LBB224_16
; %bb.9:                                ;   in Loop: Header=BB224_8 Depth=1
	s_or_b64 exec, exec, s[18:19]
	s_and_saveexec_b64 s[18:19], s[22:23]
	s_xor_b64 s[18:19], exec, s[18:19]
	s_cbranch_execnz .LBB224_17
.LBB224_10:                             ;   in Loop: Header=BB224_8 Depth=1
	s_or_b64 exec, exec, s[18:19]
	v_mov_b32_e32 v0, 0
	s_and_saveexec_b64 s[18:19], s[16:17]
	s_cbranch_execz .LBB224_12
.LBB224_11:                             ;   in Loop: Header=BB224_8 Depth=1
	v_lshl_add_u64 v[0:1], v[18:19], 3, v[12:13]
	global_load_dwordx2 v[2:3], v[0:1], off
	s_waitcnt vmcnt(0)
	v_xor_b32_e32 v0, 0x80000000, v3
	ds_write_b32 v21, v2
.LBB224_12:                             ;   in Loop: Header=BB224_8 Depth=1
	s_or_b64 exec, exec, s[18:19]
	v_add_u32_e32 v16, s12, v8
	v_cmp_le_u64_e32 vcc, s[8:9], v[16:17]
	s_or_b64 s[16:17], vcc, s[14:15]
	ds_write_b32 v21, v0 offset:4
	s_and_saveexec_b64 s[18:19], s[16:17]
	s_xor_b64 s[16:17], exec, s[18:19]
; %bb.13:                               ;   in Loop: Header=BB224_8 Depth=1
	ds_write_b32 v23, v17
; %bb.14:                               ;   in Loop: Header=BB224_8 Depth=1
	s_or_saveexec_b64 s[16:17], s[16:17]
	v_mov_b32_e32 v0, 0
	s_xor_b64 exec, exec, s[16:17]
	s_cbranch_execz .LBB224_7
; %bb.15:                               ;   in Loop: Header=BB224_8 Depth=1
	v_mad_u64_u32 v[0:1], s[18:19], s20, v16, 0
	v_mov_b32_e32 v2, v1
	v_mad_u64_u32 v[2:3], s[18:19], s21, v16, v[2:3]
	v_mov_b32_e32 v1, v2
	v_lshl_add_u64 v[0:1], v[0:1], 3, v[14:15]
	global_load_dwordx2 v[2:3], v[0:1], off
	s_waitcnt vmcnt(0)
	v_xor_b32_e32 v0, 0x80000000, v3
	ds_write_b32 v23, v2
	s_branch .LBB224_7
.LBB224_16:                             ;   in Loop: Header=BB224_8 Depth=1
	v_add_u32_e32 v16, s12, v10
	v_cmp_le_u64_e32 vcc, s[8:9], v[16:17]
	s_andn2_b64 s[22:23], s[2:3], exec
	s_and_b64 s[36:37], vcc, exec
	s_mov_b64 s[16:17], exec
	s_or_b64 s[22:23], s[22:23], s[36:37]
	v_mov_b64_e32 v[18:19], v[16:17]
	s_or_b64 exec, exec, s[18:19]
	s_and_saveexec_b64 s[18:19], s[22:23]
	s_xor_b64 s[18:19], exec, s[18:19]
	s_cbranch_execz .LBB224_10
.LBB224_17:                             ;   in Loop: Header=BB224_8 Depth=1
	ds_write_b32 v21, v17
	s_andn2_b64 s[16:17], s[16:17], exec
	s_or_b64 exec, exec, s[18:19]
	v_mov_b32_e32 v0, 0
	s_and_saveexec_b64 s[18:19], s[16:17]
	s_cbranch_execnz .LBB224_11
	s_branch .LBB224_12
.LBB224_18:
	s_mul_i32 s0, s31, s4
	s_mul_hi_u32 s1, s30, s4
	s_add_i32 s1, s1, s0
	s_mul_i32 s0, s30, s4
	s_lshl_b64 s[0:1], s[0:1], 3
	v_add_u32_e32 v10, s33, v11
	s_add_u32 s4, s26, s0
	v_ashrrev_i32_e32 v1, 31, v10
	s_addc_u32 s5, s27, s1
	v_cmp_neq_f32_e64 s[0:1], s6, 0
	s_xor_b64 s[8:9], s[10:11], -1
	v_mul_lo_u32 v1, s28, v1
	v_mul_lo_u32 v4, s29, v10
	v_mad_u64_u32 v[2:3], s[10:11], s28, v10, 0
	v_add_u32_e32 v0, s25, v9
	v_add3_u32 v3, v3, v1, v4
	s_or_b64 s[0:1], s[0:1], s[8:9]
	s_waitcnt lgkmcnt(0)
	v_cmp_gt_i32_e64 s[2:3], s24, v10
	v_lshl_add_u64 v[4:5], v[2:3], 3, s[4:5]
	v_cmp_le_i32_e32 vcc, v0, v10
	v_cndmask_b32_e64 v2, 0, 1, s[0:1]
	s_and_b64 s[10:11], s[2:3], vcc
	v_ashrrev_i32_e32 v1, 31, v0
	v_cmp_ne_u32_e64 s[0:1], 1, v2
	s_and_saveexec_b64 s[8:9], s[10:11]
	s_cbranch_execz .LBB224_22
; %bb.19:
	v_pk_mul_f32 v[6:7], v[34:35], s[34:35] op_sel:[0,1] op_sel_hi:[0,0]
	v_pk_fma_f32 v[2:3], v[32:33], s[34:35], v[6:7] op_sel_hi:[0,1,1] neg_lo:[0,0,1] neg_hi:[0,0,1]
	v_pk_fma_f32 v[8:9], v[32:33], s[34:35], v[6:7] op_sel_hi:[0,1,1]
	s_and_b64 vcc, exec, s[0:1]
	v_lshl_add_u64 v[6:7], v[0:1], 3, v[4:5]
	s_cbranch_vccnz .LBB224_21
; %bb.20:
	global_load_dwordx2 v[12:13], v[6:7], off
	s_mov_b32 s10, s7
	v_mov_b32_e32 v3, v9
	s_waitcnt vmcnt(0)
	v_pk_mul_f32 v[8:9], v[12:13], s[10:11] op_sel:[1,0] op_sel_hi:[0,0]
	v_pk_fma_f32 v[14:15], v[12:13], s[6:7], v[8:9] neg_lo:[0,0,1] neg_hi:[0,0,1]
	v_pk_fma_f32 v[8:9], v[12:13], s[6:7], v[8:9] op_sel_hi:[1,0,1]
	s_nop 0
	v_mov_b32_e32 v15, v9
	v_pk_add_f32 v[2:3], v[2:3], v[14:15]
	s_nop 0
	v_mov_b32_e32 v9, v3
.LBB224_21:
	v_mov_b32_e32 v3, v9
	global_store_dwordx2 v[6:7], v[2:3], off
.LBB224_22:
	s_or_b64 exec, exec, s[8:9]
	v_add_u32_e32 v2, 16, v0
	v_cmp_le_i32_e32 vcc, v2, v10
	s_and_b64 s[8:9], s[2:3], vcc
	v_ashrrev_i32_e32 v3, 31, v2
	s_and_saveexec_b64 s[2:3], s[8:9]
	s_cbranch_execz .LBB224_26
; %bb.23:
	v_pk_mul_f32 v[8:9], v[30:31], s[34:35] op_sel:[0,1] op_sel_hi:[0,0]
	v_pk_fma_f32 v[6:7], v[28:29], s[34:35], v[8:9] op_sel_hi:[0,1,1] neg_lo:[0,0,1] neg_hi:[0,0,1]
	v_pk_fma_f32 v[8:9], v[28:29], s[34:35], v[8:9] op_sel_hi:[0,1,1]
	s_and_b64 vcc, exec, s[0:1]
	v_lshl_add_u64 v[4:5], v[2:3], 3, v[4:5]
	s_cbranch_vccnz .LBB224_25
; %bb.24:
	global_load_dwordx2 v[12:13], v[4:5], off
	s_mov_b32 s8, s7
	v_mov_b32_e32 v7, v9
	s_waitcnt vmcnt(0)
	v_pk_mul_f32 v[8:9], v[12:13], s[8:9] op_sel:[1,0] op_sel_hi:[0,0]
	v_pk_fma_f32 v[14:15], v[12:13], s[6:7], v[8:9] neg_lo:[0,0,1] neg_hi:[0,0,1]
	v_pk_fma_f32 v[8:9], v[12:13], s[6:7], v[8:9] op_sel_hi:[1,0,1]
	s_nop 0
	v_mov_b32_e32 v15, v9
	v_pk_add_f32 v[6:7], v[6:7], v[14:15]
	s_nop 0
	v_mov_b32_e32 v9, v7
.LBB224_25:
	v_mov_b32_e32 v7, v9
	global_store_dwordx2 v[4:5], v[6:7], off
.LBB224_26:
	s_or_b64 exec, exec, s[2:3]
	v_add_u32_e32 v10, 16, v10
	v_ashrrev_i32_e32 v4, 31, v10
	v_mul_lo_u32 v6, s28, v4
	v_mul_lo_u32 v7, s29, v10
	v_mad_u64_u32 v[4:5], s[8:9], s28, v10, 0
	v_cmp_gt_i32_e64 s[2:3], s24, v10
	v_add3_u32 v5, v5, v6, v7
	v_cmp_le_i32_e32 vcc, v0, v10
	v_lshl_add_u64 v[4:5], v[4:5], 3, s[4:5]
	s_and_b64 s[8:9], s[2:3], vcc
	s_and_saveexec_b64 s[4:5], s[8:9]
	s_cbranch_execz .LBB224_30
; %bb.27:
	v_pk_mul_f32 v[8:9], v[26:27], s[34:35] op_sel:[0,1] op_sel_hi:[0,0]
	v_pk_fma_f32 v[6:7], v[24:25], s[34:35], v[8:9] op_sel_hi:[0,1,1] neg_lo:[0,0,1] neg_hi:[0,0,1]
	v_pk_fma_f32 v[8:9], v[24:25], s[34:35], v[8:9] op_sel_hi:[0,1,1]
	s_and_b64 vcc, exec, s[0:1]
	v_lshl_add_u64 v[0:1], v[0:1], 3, v[4:5]
	s_cbranch_vccnz .LBB224_29
; %bb.28:
	global_load_dwordx2 v[12:13], v[0:1], off
	s_mov_b32 s8, s7
	v_mov_b32_e32 v7, v9
	s_waitcnt vmcnt(0)
	v_pk_mul_f32 v[8:9], v[12:13], s[8:9] op_sel:[1,0] op_sel_hi:[0,0]
	v_pk_fma_f32 v[14:15], v[12:13], s[6:7], v[8:9] neg_lo:[0,0,1] neg_hi:[0,0,1]
	v_pk_fma_f32 v[8:9], v[12:13], s[6:7], v[8:9] op_sel_hi:[1,0,1]
	s_nop 0
	v_mov_b32_e32 v15, v9
	v_pk_add_f32 v[6:7], v[6:7], v[14:15]
	s_nop 0
	v_mov_b32_e32 v9, v7
.LBB224_29:
	v_mov_b32_e32 v7, v9
	global_store_dwordx2 v[0:1], v[6:7], off
.LBB224_30:
	s_or_b64 exec, exec, s[4:5]
	v_cmp_le_i32_e32 vcc, v2, v10
	s_and_b64 s[2:3], s[2:3], vcc
	s_and_saveexec_b64 s[4:5], s[2:3]
	s_cbranch_execz .LBB224_34
; %bb.31:
	v_pk_mul_f32 v[6:7], v[22:23], s[34:35] op_sel:[0,1] op_sel_hi:[0,0]
	v_pk_fma_f32 v[0:1], v[20:21], s[34:35], v[6:7] op_sel_hi:[0,1,1] neg_lo:[0,0,1] neg_hi:[0,0,1]
	v_pk_fma_f32 v[6:7], v[20:21], s[34:35], v[6:7] op_sel_hi:[0,1,1]
	s_and_b64 vcc, exec, s[0:1]
	v_lshl_add_u64 v[2:3], v[2:3], 3, v[4:5]
	s_cbranch_vccnz .LBB224_33
; %bb.32:
	global_load_dwordx2 v[4:5], v[2:3], off
	s_mov_b32 s0, s7
	v_mov_b32_e32 v1, v7
	s_waitcnt vmcnt(0)
	v_pk_mul_f32 v[6:7], v[4:5], s[0:1] op_sel:[1,0] op_sel_hi:[0,0]
	v_pk_fma_f32 v[8:9], v[4:5], s[6:7], v[6:7] neg_lo:[0,0,1] neg_hi:[0,0,1]
	v_pk_fma_f32 v[4:5], v[4:5], s[6:7], v[6:7] op_sel_hi:[1,0,1]
	s_nop 0
	v_mov_b32_e32 v9, v5
	v_pk_add_f32 v[0:1], v[0:1], v[8:9]
	s_nop 0
	v_mov_b32_e32 v7, v1
.LBB224_33:
	v_mov_b32_e32 v1, v7
	global_store_dwordx2 v[2:3], v[0:1], off
.LBB224_34:
	s_endpgm
	.section	.rodata,"a",@progbits
	.p2align	6, 0x0
	.amdhsa_kernel _ZL29rocblas_internal_gemmt_kernelIlLi16ELi32ELi8ELc67ELc67ELc85ELb1ELb1E19rocblas_complex_numIfEPKS1_S3_PS1_EviT_T9_T10_S5_lS7_S5_lS6_T11_S5_li
		.amdhsa_group_segment_fixed_size 4096
		.amdhsa_private_segment_fixed_size 0
		.amdhsa_kernarg_size 108
		.amdhsa_user_sgpr_count 2
		.amdhsa_user_sgpr_dispatch_ptr 0
		.amdhsa_user_sgpr_queue_ptr 0
		.amdhsa_user_sgpr_kernarg_segment_ptr 1
		.amdhsa_user_sgpr_dispatch_id 0
		.amdhsa_user_sgpr_kernarg_preload_length 0
		.amdhsa_user_sgpr_kernarg_preload_offset 0
		.amdhsa_user_sgpr_private_segment_size 0
		.amdhsa_uses_dynamic_stack 0
		.amdhsa_enable_private_segment 0
		.amdhsa_system_sgpr_workgroup_id_x 1
		.amdhsa_system_sgpr_workgroup_id_y 1
		.amdhsa_system_sgpr_workgroup_id_z 1
		.amdhsa_system_sgpr_workgroup_info 0
		.amdhsa_system_vgpr_workitem_id 1
		.amdhsa_next_free_vgpr 53
		.amdhsa_next_free_sgpr 40
		.amdhsa_accum_offset 56
		.amdhsa_reserve_vcc 1
		.amdhsa_float_round_mode_32 0
		.amdhsa_float_round_mode_16_64 0
		.amdhsa_float_denorm_mode_32 3
		.amdhsa_float_denorm_mode_16_64 3
		.amdhsa_dx10_clamp 1
		.amdhsa_ieee_mode 1
		.amdhsa_fp16_overflow 0
		.amdhsa_tg_split 0
		.amdhsa_exception_fp_ieee_invalid_op 0
		.amdhsa_exception_fp_denorm_src 0
		.amdhsa_exception_fp_ieee_div_zero 0
		.amdhsa_exception_fp_ieee_overflow 0
		.amdhsa_exception_fp_ieee_underflow 0
		.amdhsa_exception_fp_ieee_inexact 0
		.amdhsa_exception_int_div_zero 0
	.end_amdhsa_kernel
	.section	.text._ZL29rocblas_internal_gemmt_kernelIlLi16ELi32ELi8ELc67ELc67ELc85ELb1ELb1E19rocblas_complex_numIfEPKS1_S3_PS1_EviT_T9_T10_S5_lS7_S5_lS6_T11_S5_li,"axG",@progbits,_ZL29rocblas_internal_gemmt_kernelIlLi16ELi32ELi8ELc67ELc67ELc85ELb1ELb1E19rocblas_complex_numIfEPKS1_S3_PS1_EviT_T9_T10_S5_lS7_S5_lS6_T11_S5_li,comdat
.Lfunc_end224:
	.size	_ZL29rocblas_internal_gemmt_kernelIlLi16ELi32ELi8ELc67ELc67ELc85ELb1ELb1E19rocblas_complex_numIfEPKS1_S3_PS1_EviT_T9_T10_S5_lS7_S5_lS6_T11_S5_li, .Lfunc_end224-_ZL29rocblas_internal_gemmt_kernelIlLi16ELi32ELi8ELc67ELc67ELc85ELb1ELb1E19rocblas_complex_numIfEPKS1_S3_PS1_EviT_T9_T10_S5_lS7_S5_lS6_T11_S5_li
                                        ; -- End function
	.set _ZL29rocblas_internal_gemmt_kernelIlLi16ELi32ELi8ELc67ELc67ELc85ELb1ELb1E19rocblas_complex_numIfEPKS1_S3_PS1_EviT_T9_T10_S5_lS7_S5_lS6_T11_S5_li.num_vgpr, 53
	.set _ZL29rocblas_internal_gemmt_kernelIlLi16ELi32ELi8ELc67ELc67ELc85ELb1ELb1E19rocblas_complex_numIfEPKS1_S3_PS1_EviT_T9_T10_S5_lS7_S5_lS6_T11_S5_li.num_agpr, 0
	.set _ZL29rocblas_internal_gemmt_kernelIlLi16ELi32ELi8ELc67ELc67ELc85ELb1ELb1E19rocblas_complex_numIfEPKS1_S3_PS1_EviT_T9_T10_S5_lS7_S5_lS6_T11_S5_li.numbered_sgpr, 40
	.set _ZL29rocblas_internal_gemmt_kernelIlLi16ELi32ELi8ELc67ELc67ELc85ELb1ELb1E19rocblas_complex_numIfEPKS1_S3_PS1_EviT_T9_T10_S5_lS7_S5_lS6_T11_S5_li.num_named_barrier, 0
	.set _ZL29rocblas_internal_gemmt_kernelIlLi16ELi32ELi8ELc67ELc67ELc85ELb1ELb1E19rocblas_complex_numIfEPKS1_S3_PS1_EviT_T9_T10_S5_lS7_S5_lS6_T11_S5_li.private_seg_size, 0
	.set _ZL29rocblas_internal_gemmt_kernelIlLi16ELi32ELi8ELc67ELc67ELc85ELb1ELb1E19rocblas_complex_numIfEPKS1_S3_PS1_EviT_T9_T10_S5_lS7_S5_lS6_T11_S5_li.uses_vcc, 1
	.set _ZL29rocblas_internal_gemmt_kernelIlLi16ELi32ELi8ELc67ELc67ELc85ELb1ELb1E19rocblas_complex_numIfEPKS1_S3_PS1_EviT_T9_T10_S5_lS7_S5_lS6_T11_S5_li.uses_flat_scratch, 0
	.set _ZL29rocblas_internal_gemmt_kernelIlLi16ELi32ELi8ELc67ELc67ELc85ELb1ELb1E19rocblas_complex_numIfEPKS1_S3_PS1_EviT_T9_T10_S5_lS7_S5_lS6_T11_S5_li.has_dyn_sized_stack, 0
	.set _ZL29rocblas_internal_gemmt_kernelIlLi16ELi32ELi8ELc67ELc67ELc85ELb1ELb1E19rocblas_complex_numIfEPKS1_S3_PS1_EviT_T9_T10_S5_lS7_S5_lS6_T11_S5_li.has_recursion, 0
	.set _ZL29rocblas_internal_gemmt_kernelIlLi16ELi32ELi8ELc67ELc67ELc85ELb1ELb1E19rocblas_complex_numIfEPKS1_S3_PS1_EviT_T9_T10_S5_lS7_S5_lS6_T11_S5_li.has_indirect_call, 0
	.section	.AMDGPU.csdata,"",@progbits
; Kernel info:
; codeLenInByte = 2640
; TotalNumSgprs: 46
; NumVgprs: 53
; NumAgprs: 0
; TotalNumVgprs: 53
; ScratchSize: 0
; MemoryBound: 0
; FloatMode: 240
; IeeeMode: 1
; LDSByteSize: 4096 bytes/workgroup (compile time only)
; SGPRBlocks: 5
; VGPRBlocks: 6
; NumSGPRsForWavesPerEU: 46
; NumVGPRsForWavesPerEU: 53
; AccumOffset: 56
; Occupancy: 8
; WaveLimiterHint : 0
; COMPUTE_PGM_RSRC2:SCRATCH_EN: 0
; COMPUTE_PGM_RSRC2:USER_SGPR: 2
; COMPUTE_PGM_RSRC2:TRAP_HANDLER: 0
; COMPUTE_PGM_RSRC2:TGID_X_EN: 1
; COMPUTE_PGM_RSRC2:TGID_Y_EN: 1
; COMPUTE_PGM_RSRC2:TGID_Z_EN: 1
; COMPUTE_PGM_RSRC2:TIDIG_COMP_CNT: 1
; COMPUTE_PGM_RSRC3_GFX90A:ACCUM_OFFSET: 13
; COMPUTE_PGM_RSRC3_GFX90A:TG_SPLIT: 0
	.section	.text._ZL29rocblas_internal_gemmt_kernelIlLi16ELi32ELi8ELc78ELc78ELc76ELb0ELb0E19rocblas_complex_numIfEPKS1_S3_PS1_EviT_T9_T10_S5_lS7_S5_lS6_T11_S5_li,"axG",@progbits,_ZL29rocblas_internal_gemmt_kernelIlLi16ELi32ELi8ELc78ELc78ELc76ELb0ELb0E19rocblas_complex_numIfEPKS1_S3_PS1_EviT_T9_T10_S5_lS7_S5_lS6_T11_S5_li,comdat
	.globl	_ZL29rocblas_internal_gemmt_kernelIlLi16ELi32ELi8ELc78ELc78ELc76ELb0ELb0E19rocblas_complex_numIfEPKS1_S3_PS1_EviT_T9_T10_S5_lS7_S5_lS6_T11_S5_li ; -- Begin function _ZL29rocblas_internal_gemmt_kernelIlLi16ELi32ELi8ELc78ELc78ELc76ELb0ELb0E19rocblas_complex_numIfEPKS1_S3_PS1_EviT_T9_T10_S5_lS7_S5_lS6_T11_S5_li
	.p2align	8
	.type	_ZL29rocblas_internal_gemmt_kernelIlLi16ELi32ELi8ELc78ELc78ELc76ELb0ELb0E19rocblas_complex_numIfEPKS1_S3_PS1_EviT_T9_T10_S5_lS7_S5_lS6_T11_S5_li,@function
_ZL29rocblas_internal_gemmt_kernelIlLi16ELi32ELi8ELc78ELc78ELc76ELb0ELb0E19rocblas_complex_numIfEPKS1_S3_PS1_EviT_T9_T10_S5_lS7_S5_lS6_T11_S5_li: ; @_ZL29rocblas_internal_gemmt_kernelIlLi16ELi32ELi8ELc78ELc78ELc76ELb0ELb0E19rocblas_complex_numIfEPKS1_S3_PS1_EviT_T9_T10_S5_lS7_S5_lS6_T11_S5_li
; %bb.0:
	s_load_dwordx8 s[24:31], s[0:1], 0x48
	s_load_dwordx16 s[8:23], s[0:1], 0x8
	s_waitcnt lgkmcnt(0)
	s_load_dwordx2 s[6:7], s[24:25], 0x0
	s_load_dwordx2 s[34:35], s[10:11], 0x0
	s_waitcnt lgkmcnt(0)
	s_and_b32 s5, s7, 0x7fffffff
	s_cmp_eq_u32 s5, 0
	v_cmp_eq_f32_e64 s[24:25], s6, 1.0
	s_cselect_b64 s[10:11], -1, 0
	s_and_b64 s[24:25], s[24:25], s[10:11]
	s_and_b64 vcc, exec, s[24:25]
	s_cbranch_vccnz .LBB225_2
; %bb.1:
	s_mov_b64 s[24:25], -1
	s_cbranch_execz .LBB225_3
	s_branch .LBB225_4
.LBB225_2:
	s_mov_b64 s[24:25], 0
.LBB225_3:
	s_cmp_lg_u64 s[8:9], 0
	v_cmp_neq_f32_e64 s[36:37], s34, 0
	v_cmp_neq_f32_e64 s[38:39], s35, 0
	s_cselect_b64 s[24:25], -1, 0
	s_or_b64 s[36:37], s[36:37], s[38:39]
	s_and_b64 s[24:25], s[24:25], s[36:37]
.LBB225_4:
	s_andn2_b64 vcc, exec, s[24:25]
	s_cbranch_vccnz .LBB225_30
; %bb.5:
	s_load_dword s24, s[0:1], 0x0
	s_lshl_b32 s5, s2, 5
	s_lshl_b32 s25, s3, 5
	v_cmp_eq_f32_e64 s[0:1], s34, 0
	v_cmp_eq_f32_e64 s[2:3], s35, 0
	s_and_b64 s[0:1], s[0:1], s[2:3]
	v_cmp_lt_i64_e64 s[2:3], s[8:9], 1
	s_or_b64 s[0:1], s[0:1], s[2:3]
	v_and_b32_e32 v9, 0x3ff, v0
	v_bfe_u32 v11, v0, 10, 10
	v_mov_b32_e32 v30, 0
	s_and_b64 vcc, exec, s[0:1]
	v_mov_b32_e32 v32, 0
	v_mov_b32_e32 v26, 0
	;; [unrolled: 1-line block ×7, first 2 shown]
	s_cbranch_vccnz .LBB225_14
; %bb.6:
	s_mul_i32 s0, s23, s4
	s_mul_hi_u32 s1, s22, s4
	s_add_i32 s1, s1, s0
	s_mul_i32 s0, s22, s4
	s_lshl_b64 s[0:1], s[0:1], 3
	s_add_u32 s18, s18, s0
	s_addc_u32 s19, s19, s1
	s_mul_i32 s0, s17, s4
	s_mul_hi_u32 s1, s16, s4
	v_lshl_add_u32 v0, v11, 4, v9
	s_add_i32 s1, s1, s0
	s_mul_i32 s0, s16, s4
	v_and_b32_e32 v1, 31, v0
	s_lshl_b64 s[0:1], s[0:1], 3
	v_lshrrev_b32_e32 v10, 5, v0
	v_lshrrev_b32_e32 v2, 3, v0
	v_or_b32_e32 v0, s5, v1
	s_add_u32 s2, s12, s0
	v_lshlrev_b32_e32 v1, 3, v1
	v_and_b32_e32 v8, 7, v9
	s_addc_u32 s3, s13, s1
	v_lshl_or_b32 v19, v10, 8, v1
	v_ashrrev_i32_e32 v1, 31, v0
	s_waitcnt lgkmcnt(0)
	v_cmp_gt_i32_e64 s[0:1], s24, v0
	v_lshl_add_u64 v[12:13], v[0:1], 3, s[2:3]
	v_lshlrev_b32_e32 v0, 3, v8
	v_add_u32_e32 v3, s25, v2
	v_lshl_or_b32 v0, v2, 6, v0
	v_add_u32_e32 v21, 0x800, v0
	v_ashrrev_i32_e32 v0, 31, v3
	v_mul_lo_u32 v2, s20, v0
	v_mul_lo_u32 v4, s21, v3
	v_mad_u64_u32 v[0:1], s[12:13], s20, v3, 0
	v_add3_u32 v1, v1, v2, v4
	v_lshl_add_u64 v[14:15], v[0:1], 3, s[18:19]
	v_mov_b32_e32 v0, 0x800
	v_cmp_gt_i32_e64 s[2:3], s24, v3
	v_lshlrev_b32_e32 v23, 3, v9
	v_lshl_add_u32 v25, v11, 6, v0
	v_mov_b32_e32 v17, 0
	s_mov_b64 s[12:13], 0
	v_mov_b32_e32 v20, 0
	v_mov_b32_e32 v18, 0
	v_mov_b32_e32 v24, 0
	v_mov_b32_e32 v22, 0
	v_mov_b32_e32 v28, 0
	v_mov_b32_e32 v26, 0
	v_mov_b32_e32 v32, 0
	v_mov_b32_e32 v30, 0
	s_branch .LBB225_8
.LBB225_7:                              ;   in Loop: Header=BB225_8 Depth=1
	s_or_b64 exec, exec, s[16:17]
	s_waitcnt vmcnt(0)
	ds_write_b64 v21, v[0:1]
	s_waitcnt lgkmcnt(0)
	s_barrier
	ds_read2_b64 v[34:37], v23 offset1:16
	ds_read_b128 v[38:41], v25
	ds_read_b128 v[42:45], v25 offset:16
	ds_read_b128 v[4:7], v25 offset:32
	;; [unrolled: 1-line block ×3, first 2 shown]
	s_add_u32 s12, s12, 8
	s_waitcnt lgkmcnt(3)
	v_mul_f32_e32 v16, v39, v35
	v_mul_f32_e32 v27, v38, v35
	v_fma_f32 v16, v38, v34, -v16
	v_fmac_f32_e32 v27, v39, v34
	v_add_f32_e32 v16, v30, v16
	v_add_f32_e32 v50, v32, v27
	ds_read_b128 v[30:33], v25 offset:1024
	v_mul_f32_e32 v27, v39, v37
	v_mul_f32_e32 v29, v38, v37
	v_fma_f32 v27, v38, v36, -v27
	v_fmac_f32_e32 v29, v39, v36
	v_add_f32_e32 v38, v26, v27
	v_add_f32_e32 v39, v28, v29
	ds_read_b128 v[26:29], v25 offset:1040
	s_waitcnt lgkmcnt(1)
	v_mul_f32_e32 v46, v31, v35
	v_fma_f32 v46, v30, v34, -v46
	v_add_f32_e32 v22, v22, v46
	ds_read2_b64 v[46:49], v23 offset0:32 offset1:48
	v_mul_f32_e32 v35, v30, v35
	v_fmac_f32_e32 v35, v31, v34
	v_mul_f32_e32 v34, v31, v37
	v_fma_f32 v34, v30, v36, -v34
	v_mul_f32_e32 v30, v30, v37
	v_fmac_f32_e32 v30, v31, v36
	v_add_f32_e32 v20, v20, v30
	s_waitcnt lgkmcnt(0)
	v_mul_f32_e32 v30, v41, v47
	v_mul_f32_e32 v31, v40, v47
	v_fma_f32 v30, v40, v46, -v30
	v_fmac_f32_e32 v31, v41, v46
	v_add_f32_e32 v18, v18, v34
	v_add_f32_e32 v16, v16, v30
	;; [unrolled: 1-line block ×3, first 2 shown]
	v_mul_f32_e32 v31, v41, v49
	v_mul_f32_e32 v34, v40, v49
	v_fma_f32 v31, v40, v48, -v31
	v_fmac_f32_e32 v34, v41, v48
	v_add_f32_e32 v31, v38, v31
	v_add_f32_e32 v38, v39, v34
	v_mul_f32_e32 v34, v33, v47
	v_add_f32_e32 v24, v24, v35
	v_fma_f32 v34, v32, v46, -v34
	v_mul_f32_e32 v35, v32, v47
	v_fmac_f32_e32 v35, v33, v46
	v_add_f32_e32 v22, v22, v34
	v_mul_f32_e32 v34, v33, v49
	v_add_f32_e32 v24, v24, v35
	v_fma_f32 v39, v32, v48, -v34
	ds_read2_b64 v[34:37], v23 offset0:64 offset1:80
	v_mul_f32_e32 v32, v32, v49
	v_fmac_f32_e32 v32, v33, v48
	v_add_f32_e32 v18, v18, v39
	v_add_f32_e32 v20, v20, v32
	s_waitcnt lgkmcnt(0)
	v_mul_f32_e32 v33, v42, v35
	v_fmac_f32_e32 v33, v43, v34
	v_add_f32_e32 v39, v30, v33
	v_mul_f32_e32 v30, v43, v37
	v_mul_f32_e32 v32, v43, v35
	v_fma_f32 v30, v42, v36, -v30
	v_fma_f32 v32, v42, v34, -v32
	v_add_f32_e32 v40, v31, v30
	v_mul_f32_e32 v30, v27, v35
	v_add_f32_e32 v16, v16, v32
	v_mul_f32_e32 v32, v42, v37
	v_fma_f32 v30, v26, v34, -v30
	v_mul_f32_e32 v31, v26, v35
	v_fmac_f32_e32 v32, v43, v36
	v_fmac_f32_e32 v31, v27, v34
	v_add_f32_e32 v22, v22, v30
	v_mul_f32_e32 v30, v27, v37
	v_add_f32_e32 v38, v38, v32
	v_add_f32_e32 v24, v24, v31
	v_fma_f32 v34, v26, v36, -v30
	ds_read2_b64 v[30:33], v23 offset0:96 offset1:112
	v_mul_f32_e32 v26, v26, v37
	v_fmac_f32_e32 v26, v27, v36
	v_add_f32_e32 v20, v20, v26
	v_add_f32_e32 v18, v18, v34
	s_waitcnt lgkmcnt(0)
	v_mul_f32_e32 v26, v45, v31
	v_mul_f32_e32 v27, v44, v31
	v_fma_f32 v26, v44, v30, -v26
	v_fmac_f32_e32 v27, v45, v30
	v_add_f32_e32 v16, v16, v26
	v_add_f32_e32 v26, v39, v27
	v_mul_f32_e32 v27, v45, v33
	v_mul_f32_e32 v34, v44, v33
	v_fma_f32 v27, v44, v32, -v27
	v_fmac_f32_e32 v34, v45, v32
	v_add_f32_e32 v39, v40, v27
	v_add_f32_e32 v38, v38, v34
	v_mul_f32_e32 v27, v29, v31
	ds_read2_b64 v[34:37], v23 offset0:128 offset1:144
	v_fma_f32 v27, v28, v30, -v27
	v_add_f32_e32 v22, v22, v27
	v_mul_f32_e32 v27, v29, v33
	v_mul_f32_e32 v31, v28, v31
	v_fma_f32 v27, v28, v32, -v27
	v_mul_f32_e32 v28, v28, v33
	v_fmac_f32_e32 v28, v29, v32
	v_add_f32_e32 v20, v20, v28
	s_waitcnt lgkmcnt(0)
	v_mul_f32_e32 v28, v4, v35
	v_add_f32_e32 v18, v18, v27
	v_mul_f32_e32 v27, v5, v35
	v_fmac_f32_e32 v28, v5, v34
	v_fma_f32 v27, v4, v34, -v27
	v_add_f32_e32 v42, v26, v28
	v_mul_f32_e32 v26, v5, v37
	v_fmac_f32_e32 v31, v29, v30
	v_add_f32_e32 v16, v16, v27
	v_fma_f32 v30, v4, v36, -v26
	ds_read_b128 v[26:29], v25 offset:1056
	v_mul_f32_e32 v4, v4, v37
	v_fmac_f32_e32 v4, v5, v36
	v_add_f32_e32 v5, v39, v30
	v_add_f32_e32 v4, v38, v4
	ds_read_b128 v[38:41], v25 offset:1072
	s_waitcnt lgkmcnt(1)
	v_mul_f32_e32 v30, v27, v35
	v_add_f32_e32 v24, v24, v31
	v_fma_f32 v30, v26, v34, -v30
	v_mul_f32_e32 v31, v26, v35
	v_fmac_f32_e32 v31, v27, v34
	v_add_f32_e32 v22, v22, v30
	v_mul_f32_e32 v30, v27, v37
	v_add_f32_e32 v24, v24, v31
	v_fma_f32 v34, v26, v36, -v30
	ds_read2_b64 v[30:33], v23 offset0:160 offset1:176
	v_mul_f32_e32 v26, v26, v37
	v_fmac_f32_e32 v26, v27, v36
	v_add_f32_e32 v20, v20, v26
	v_add_f32_e32 v18, v18, v34
	s_waitcnt lgkmcnt(0)
	v_mul_f32_e32 v26, v7, v31
	v_mul_f32_e32 v27, v6, v31
	v_fma_f32 v26, v6, v30, -v26
	v_fmac_f32_e32 v27, v7, v30
	v_add_f32_e32 v16, v16, v26
	v_add_f32_e32 v26, v42, v27
	v_mul_f32_e32 v27, v7, v33
	v_fma_f32 v27, v6, v32, -v27
	v_mul_f32_e32 v6, v6, v33
	v_fmac_f32_e32 v6, v7, v32
	v_add_f32_e32 v34, v4, v6
	v_mul_f32_e32 v4, v29, v31
	v_add_f32_e32 v27, v5, v27
	v_fma_f32 v4, v28, v30, -v4
	v_mul_f32_e32 v5, v28, v31
	v_fmac_f32_e32 v5, v29, v30
	v_add_f32_e32 v22, v22, v4
	v_mul_f32_e32 v4, v29, v33
	v_add_f32_e32 v24, v24, v5
	v_fma_f32 v30, v28, v32, -v4
	ds_read2_b64 v[4:7], v23 offset0:192 offset1:208
	v_mul_f32_e32 v28, v28, v33
	v_fmac_f32_e32 v28, v29, v32
	v_add_f32_e32 v20, v20, v28
	v_add_f32_e32 v18, v18, v30
	s_waitcnt lgkmcnt(0)
	v_mul_f32_e32 v28, v1, v5
	v_fma_f32 v28, v0, v4, -v28
	v_add_f32_e32 v16, v16, v28
	v_mul_f32_e32 v28, v1, v7
	v_mul_f32_e32 v29, v0, v5
	v_fma_f32 v28, v0, v6, -v28
	v_mul_f32_e32 v0, v0, v7
	v_fmac_f32_e32 v0, v1, v6
	v_add_f32_e32 v0, v34, v0
	ds_read2_b64 v[34:37], v23 offset0:224 offset1:240
	v_fmac_f32_e32 v29, v1, v4
	v_add_f32_e32 v1, v27, v28
	v_mul_f32_e32 v27, v39, v5
	v_fma_f32 v27, v38, v4, -v27
	v_mul_f32_e32 v5, v38, v5
	v_fmac_f32_e32 v5, v39, v4
	v_add_f32_e32 v4, v22, v27
	v_mul_f32_e32 v22, v39, v7
	v_fma_f32 v22, v38, v6, -v22
	v_mul_f32_e32 v7, v38, v7
	v_fmac_f32_e32 v7, v39, v6
	v_add_f32_e32 v6, v18, v22
	s_waitcnt lgkmcnt(0)
	v_mul_f32_e32 v18, v3, v35
	v_fma_f32 v18, v2, v34, -v18
	v_add_f32_e32 v30, v16, v18
	v_mul_f32_e32 v16, v3, v37
	v_add_f32_e32 v7, v20, v7
	v_mul_f32_e32 v20, v2, v35
	v_fma_f32 v16, v2, v36, -v16
	v_mul_f32_e32 v2, v2, v37
	v_add_f32_e32 v26, v26, v29
	v_fmac_f32_e32 v20, v3, v34
	v_fmac_f32_e32 v2, v3, v36
	v_add_f32_e32 v32, v26, v20
	v_add_f32_e32 v26, v1, v16
	;; [unrolled: 1-line block ×3, first 2 shown]
	v_mul_f32_e32 v0, v41, v35
	v_mul_f32_e32 v1, v40, v35
	v_add_f32_e32 v5, v24, v5
	v_fma_f32 v0, v40, v34, -v0
	v_fmac_f32_e32 v1, v41, v34
	v_add_f32_e32 v22, v4, v0
	v_add_f32_e32 v24, v5, v1
	v_mul_f32_e32 v0, v41, v37
	v_mul_f32_e32 v1, v40, v37
	v_fma_f32 v0, v40, v36, -v0
	v_fmac_f32_e32 v1, v41, v36
	s_addc_u32 s13, s13, 0
	v_add_f32_e32 v18, v6, v0
	v_add_f32_e32 v20, v7, v1
	v_mov_b64_e32 v[0:1], s[12:13]
	v_cmp_gt_i64_e32 vcc, s[8:9], v[0:1]
	s_barrier
	s_cbranch_vccz .LBB225_14
.LBB225_8:                              ; =>This Inner Loop Header: Depth=1
	v_mov_b32_e32 v0, 0
	v_mov_b32_e32 v1, 0
	s_and_saveexec_b64 s[16:17], s[0:1]
	s_cbranch_execz .LBB225_12
; %bb.9:                                ;   in Loop: Header=BB225_8 Depth=1
	v_add_u32_e32 v16, s12, v10
	v_cmp_gt_u64_e32 vcc, s[8:9], v[16:17]
	v_mov_b32_e32 v1, 0
	v_mov_b32_e32 v0, 0
	s_and_saveexec_b64 s[18:19], vcc
	s_cbranch_execz .LBB225_11
; %bb.10:                               ;   in Loop: Header=BB225_8 Depth=1
	v_mad_u64_u32 v[0:1], s[20:21], s14, v16, 0
	v_mov_b32_e32 v2, v1
	v_mad_u64_u32 v[2:3], s[20:21], s15, v16, v[2:3]
	v_mov_b32_e32 v1, v2
	v_lshl_add_u64 v[0:1], v[0:1], 3, v[12:13]
	global_load_dwordx2 v[0:1], v[0:1], off
.LBB225_11:                             ;   in Loop: Header=BB225_8 Depth=1
	s_or_b64 exec, exec, s[18:19]
.LBB225_12:                             ;   in Loop: Header=BB225_8 Depth=1
	s_or_b64 exec, exec, s[16:17]
	v_add_u32_e32 v16, s12, v8
	v_cmp_gt_u64_e32 vcc, s[8:9], v[16:17]
	s_waitcnt vmcnt(0)
	ds_write_b64 v19, v[0:1]
	s_and_b64 s[18:19], vcc, s[2:3]
	v_mov_b32_e32 v0, 0
	v_mov_b32_e32 v1, 0
	s_and_saveexec_b64 s[16:17], s[18:19]
	s_cbranch_execz .LBB225_7
; %bb.13:                               ;   in Loop: Header=BB225_8 Depth=1
	v_lshl_add_u64 v[0:1], v[16:17], 3, v[14:15]
	global_load_dwordx2 v[0:1], v[0:1], off
	s_branch .LBB225_7
.LBB225_14:
	s_mul_i32 s0, s31, s4
	s_mul_hi_u32 s1, s30, s4
	s_add_i32 s1, s1, s0
	s_mul_i32 s0, s30, s4
	s_lshl_b64 s[0:1], s[0:1], 3
	v_add_u32_e32 v10, s25, v11
	s_add_u32 s8, s26, s0
	v_ashrrev_i32_e32 v1, 31, v10
	s_addc_u32 s9, s27, s1
	v_add_u32_e32 v0, s5, v9
	v_cmp_neq_f32_e64 s[0:1], s6, 0
	s_xor_b64 s[4:5], s[10:11], -1
	v_mul_lo_u32 v1, s28, v1
	v_mul_lo_u32 v4, s29, v10
	v_mad_u64_u32 v[2:3], s[2:3], s28, v10, 0
	v_add3_u32 v3, v3, v1, v4
	s_or_b64 s[0:1], s[0:1], s[4:5]
	v_lshl_add_u64 v[4:5], v[2:3], 3, s[8:9]
	v_cmp_le_i32_e32 vcc, v10, v0
	s_waitcnt lgkmcnt(0)
	v_cmp_gt_i32_e64 s[2:3], s24, v0
	v_cndmask_b32_e64 v2, 0, 1, s[0:1]
	s_and_b64 s[10:11], vcc, s[2:3]
	v_ashrrev_i32_e32 v1, 31, v0
	v_cmp_ne_u32_e64 s[0:1], 1, v2
	s_and_saveexec_b64 s[4:5], s[10:11]
	s_cbranch_execz .LBB225_18
; %bb.15:
	v_pk_mul_f32 v[6:7], v[32:33], s[34:35] op_sel:[0,1] op_sel_hi:[0,0]
	v_pk_fma_f32 v[2:3], v[30:31], s[34:35], v[6:7] op_sel_hi:[0,1,1] neg_lo:[0,0,1] neg_hi:[0,0,1]
	v_pk_fma_f32 v[8:9], v[30:31], s[34:35], v[6:7] op_sel_hi:[0,1,1]
	s_and_b64 vcc, exec, s[0:1]
	v_lshl_add_u64 v[6:7], v[0:1], 3, v[4:5]
	s_cbranch_vccnz .LBB225_17
; %bb.16:
	global_load_dwordx2 v[12:13], v[6:7], off
	s_mov_b32 s10, s7
	v_mov_b32_e32 v3, v9
	s_waitcnt vmcnt(0)
	v_pk_mul_f32 v[8:9], v[12:13], s[10:11] op_sel:[1,0] op_sel_hi:[0,0]
	v_pk_fma_f32 v[14:15], v[12:13], s[6:7], v[8:9] neg_lo:[0,0,1] neg_hi:[0,0,1]
	v_pk_fma_f32 v[8:9], v[12:13], s[6:7], v[8:9] op_sel_hi:[1,0,1]
	s_nop 0
	v_mov_b32_e32 v15, v9
	v_pk_add_f32 v[2:3], v[2:3], v[14:15]
	s_nop 0
	v_mov_b32_e32 v9, v3
.LBB225_17:
	v_mov_b32_e32 v3, v9
	global_store_dwordx2 v[6:7], v[2:3], off
.LBB225_18:
	s_or_b64 exec, exec, s[4:5]
	v_add_u32_e32 v2, 16, v0
	v_cmp_le_i32_e32 vcc, v10, v2
	v_cmp_gt_i32_e64 s[4:5], s24, v2
	s_and_b64 s[12:13], vcc, s[4:5]
	v_ashrrev_i32_e32 v3, 31, v2
	s_and_saveexec_b64 s[10:11], s[12:13]
	s_cbranch_execz .LBB225_22
; %bb.19:
	v_pk_mul_f32 v[8:9], v[28:29], s[34:35] op_sel:[0,1] op_sel_hi:[0,0]
	v_pk_fma_f32 v[6:7], v[26:27], s[34:35], v[8:9] op_sel_hi:[0,1,1] neg_lo:[0,0,1] neg_hi:[0,0,1]
	v_pk_fma_f32 v[8:9], v[26:27], s[34:35], v[8:9] op_sel_hi:[0,1,1]
	s_and_b64 vcc, exec, s[0:1]
	v_lshl_add_u64 v[4:5], v[2:3], 3, v[4:5]
	s_cbranch_vccnz .LBB225_21
; %bb.20:
	global_load_dwordx2 v[12:13], v[4:5], off
	s_mov_b32 s12, s7
	v_mov_b32_e32 v7, v9
	s_waitcnt vmcnt(0)
	v_pk_mul_f32 v[8:9], v[12:13], s[12:13] op_sel:[1,0] op_sel_hi:[0,0]
	v_pk_fma_f32 v[14:15], v[12:13], s[6:7], v[8:9] neg_lo:[0,0,1] neg_hi:[0,0,1]
	v_pk_fma_f32 v[8:9], v[12:13], s[6:7], v[8:9] op_sel_hi:[1,0,1]
	s_nop 0
	v_mov_b32_e32 v15, v9
	v_pk_add_f32 v[6:7], v[6:7], v[14:15]
	s_nop 0
	v_mov_b32_e32 v9, v7
.LBB225_21:
	v_mov_b32_e32 v7, v9
	global_store_dwordx2 v[4:5], v[6:7], off
.LBB225_22:
	s_or_b64 exec, exec, s[10:11]
	v_add_u32_e32 v10, 16, v10
	v_ashrrev_i32_e32 v4, 31, v10
	v_mul_lo_u32 v6, s28, v4
	v_mul_lo_u32 v7, s29, v10
	v_mad_u64_u32 v[4:5], s[10:11], s28, v10, 0
	v_add3_u32 v5, v5, v6, v7
	v_cmp_le_i32_e32 vcc, v10, v0
	v_lshl_add_u64 v[4:5], v[4:5], 3, s[8:9]
	s_and_b64 s[8:9], vcc, s[2:3]
	s_and_saveexec_b64 s[2:3], s[8:9]
	s_cbranch_execz .LBB225_26
; %bb.23:
	v_pk_mul_f32 v[8:9], v[24:25], s[34:35] op_sel:[0,1] op_sel_hi:[0,0]
	v_pk_fma_f32 v[6:7], v[22:23], s[34:35], v[8:9] op_sel_hi:[0,1,1] neg_lo:[0,0,1] neg_hi:[0,0,1]
	v_pk_fma_f32 v[8:9], v[22:23], s[34:35], v[8:9] op_sel_hi:[0,1,1]
	s_and_b64 vcc, exec, s[0:1]
	v_lshl_add_u64 v[0:1], v[0:1], 3, v[4:5]
	s_cbranch_vccnz .LBB225_25
; %bb.24:
	global_load_dwordx2 v[12:13], v[0:1], off
	s_mov_b32 s8, s7
	v_mov_b32_e32 v7, v9
	s_waitcnt vmcnt(0)
	v_pk_mul_f32 v[8:9], v[12:13], s[8:9] op_sel:[1,0] op_sel_hi:[0,0]
	v_pk_fma_f32 v[14:15], v[12:13], s[6:7], v[8:9] neg_lo:[0,0,1] neg_hi:[0,0,1]
	v_pk_fma_f32 v[8:9], v[12:13], s[6:7], v[8:9] op_sel_hi:[1,0,1]
	s_nop 0
	v_mov_b32_e32 v15, v9
	v_pk_add_f32 v[6:7], v[6:7], v[14:15]
	s_nop 0
	v_mov_b32_e32 v9, v7
.LBB225_25:
	v_mov_b32_e32 v7, v9
	global_store_dwordx2 v[0:1], v[6:7], off
.LBB225_26:
	s_or_b64 exec, exec, s[2:3]
	v_cmp_le_i32_e32 vcc, v10, v2
	s_and_b64 s[2:3], vcc, s[4:5]
	s_and_saveexec_b64 s[4:5], s[2:3]
	s_cbranch_execz .LBB225_30
; %bb.27:
	v_pk_mul_f32 v[6:7], v[20:21], s[34:35] op_sel:[0,1] op_sel_hi:[0,0]
	v_pk_fma_f32 v[0:1], v[18:19], s[34:35], v[6:7] op_sel_hi:[0,1,1] neg_lo:[0,0,1] neg_hi:[0,0,1]
	v_pk_fma_f32 v[6:7], v[18:19], s[34:35], v[6:7] op_sel_hi:[0,1,1]
	s_and_b64 vcc, exec, s[0:1]
	v_lshl_add_u64 v[2:3], v[2:3], 3, v[4:5]
	s_cbranch_vccnz .LBB225_29
; %bb.28:
	global_load_dwordx2 v[4:5], v[2:3], off
	s_mov_b32 s0, s7
	v_mov_b32_e32 v1, v7
	s_waitcnt vmcnt(0)
	v_pk_mul_f32 v[6:7], v[4:5], s[0:1] op_sel:[1,0] op_sel_hi:[0,0]
	v_pk_fma_f32 v[8:9], v[4:5], s[6:7], v[6:7] neg_lo:[0,0,1] neg_hi:[0,0,1]
	v_pk_fma_f32 v[4:5], v[4:5], s[6:7], v[6:7] op_sel_hi:[1,0,1]
	s_nop 0
	v_mov_b32_e32 v9, v5
	v_pk_add_f32 v[0:1], v[0:1], v[8:9]
	s_nop 0
	v_mov_b32_e32 v7, v1
.LBB225_29:
	v_mov_b32_e32 v1, v7
	global_store_dwordx2 v[2:3], v[0:1], off
.LBB225_30:
	s_endpgm
	.section	.rodata,"a",@progbits
	.p2align	6, 0x0
	.amdhsa_kernel _ZL29rocblas_internal_gemmt_kernelIlLi16ELi32ELi8ELc78ELc78ELc76ELb0ELb0E19rocblas_complex_numIfEPKS1_S3_PS1_EviT_T9_T10_S5_lS7_S5_lS6_T11_S5_li
		.amdhsa_group_segment_fixed_size 4096
		.amdhsa_private_segment_fixed_size 0
		.amdhsa_kernarg_size 108
		.amdhsa_user_sgpr_count 2
		.amdhsa_user_sgpr_dispatch_ptr 0
		.amdhsa_user_sgpr_queue_ptr 0
		.amdhsa_user_sgpr_kernarg_segment_ptr 1
		.amdhsa_user_sgpr_dispatch_id 0
		.amdhsa_user_sgpr_kernarg_preload_length 0
		.amdhsa_user_sgpr_kernarg_preload_offset 0
		.amdhsa_user_sgpr_private_segment_size 0
		.amdhsa_uses_dynamic_stack 0
		.amdhsa_enable_private_segment 0
		.amdhsa_system_sgpr_workgroup_id_x 1
		.amdhsa_system_sgpr_workgroup_id_y 1
		.amdhsa_system_sgpr_workgroup_id_z 1
		.amdhsa_system_sgpr_workgroup_info 0
		.amdhsa_system_vgpr_workitem_id 1
		.amdhsa_next_free_vgpr 51
		.amdhsa_next_free_sgpr 40
		.amdhsa_accum_offset 52
		.amdhsa_reserve_vcc 1
		.amdhsa_float_round_mode_32 0
		.amdhsa_float_round_mode_16_64 0
		.amdhsa_float_denorm_mode_32 3
		.amdhsa_float_denorm_mode_16_64 3
		.amdhsa_dx10_clamp 1
		.amdhsa_ieee_mode 1
		.amdhsa_fp16_overflow 0
		.amdhsa_tg_split 0
		.amdhsa_exception_fp_ieee_invalid_op 0
		.amdhsa_exception_fp_denorm_src 0
		.amdhsa_exception_fp_ieee_div_zero 0
		.amdhsa_exception_fp_ieee_overflow 0
		.amdhsa_exception_fp_ieee_underflow 0
		.amdhsa_exception_fp_ieee_inexact 0
		.amdhsa_exception_int_div_zero 0
	.end_amdhsa_kernel
	.section	.text._ZL29rocblas_internal_gemmt_kernelIlLi16ELi32ELi8ELc78ELc78ELc76ELb0ELb0E19rocblas_complex_numIfEPKS1_S3_PS1_EviT_T9_T10_S5_lS7_S5_lS6_T11_S5_li,"axG",@progbits,_ZL29rocblas_internal_gemmt_kernelIlLi16ELi32ELi8ELc78ELc78ELc76ELb0ELb0E19rocblas_complex_numIfEPKS1_S3_PS1_EviT_T9_T10_S5_lS7_S5_lS6_T11_S5_li,comdat
.Lfunc_end225:
	.size	_ZL29rocblas_internal_gemmt_kernelIlLi16ELi32ELi8ELc78ELc78ELc76ELb0ELb0E19rocblas_complex_numIfEPKS1_S3_PS1_EviT_T9_T10_S5_lS7_S5_lS6_T11_S5_li, .Lfunc_end225-_ZL29rocblas_internal_gemmt_kernelIlLi16ELi32ELi8ELc78ELc78ELc76ELb0ELb0E19rocblas_complex_numIfEPKS1_S3_PS1_EviT_T9_T10_S5_lS7_S5_lS6_T11_S5_li
                                        ; -- End function
	.set _ZL29rocblas_internal_gemmt_kernelIlLi16ELi32ELi8ELc78ELc78ELc76ELb0ELb0E19rocblas_complex_numIfEPKS1_S3_PS1_EviT_T9_T10_S5_lS7_S5_lS6_T11_S5_li.num_vgpr, 51
	.set _ZL29rocblas_internal_gemmt_kernelIlLi16ELi32ELi8ELc78ELc78ELc76ELb0ELb0E19rocblas_complex_numIfEPKS1_S3_PS1_EviT_T9_T10_S5_lS7_S5_lS6_T11_S5_li.num_agpr, 0
	.set _ZL29rocblas_internal_gemmt_kernelIlLi16ELi32ELi8ELc78ELc78ELc76ELb0ELb0E19rocblas_complex_numIfEPKS1_S3_PS1_EviT_T9_T10_S5_lS7_S5_lS6_T11_S5_li.numbered_sgpr, 40
	.set _ZL29rocblas_internal_gemmt_kernelIlLi16ELi32ELi8ELc78ELc78ELc76ELb0ELb0E19rocblas_complex_numIfEPKS1_S3_PS1_EviT_T9_T10_S5_lS7_S5_lS6_T11_S5_li.num_named_barrier, 0
	.set _ZL29rocblas_internal_gemmt_kernelIlLi16ELi32ELi8ELc78ELc78ELc76ELb0ELb0E19rocblas_complex_numIfEPKS1_S3_PS1_EviT_T9_T10_S5_lS7_S5_lS6_T11_S5_li.private_seg_size, 0
	.set _ZL29rocblas_internal_gemmt_kernelIlLi16ELi32ELi8ELc78ELc78ELc76ELb0ELb0E19rocblas_complex_numIfEPKS1_S3_PS1_EviT_T9_T10_S5_lS7_S5_lS6_T11_S5_li.uses_vcc, 1
	.set _ZL29rocblas_internal_gemmt_kernelIlLi16ELi32ELi8ELc78ELc78ELc76ELb0ELb0E19rocblas_complex_numIfEPKS1_S3_PS1_EviT_T9_T10_S5_lS7_S5_lS6_T11_S5_li.uses_flat_scratch, 0
	.set _ZL29rocblas_internal_gemmt_kernelIlLi16ELi32ELi8ELc78ELc78ELc76ELb0ELb0E19rocblas_complex_numIfEPKS1_S3_PS1_EviT_T9_T10_S5_lS7_S5_lS6_T11_S5_li.has_dyn_sized_stack, 0
	.set _ZL29rocblas_internal_gemmt_kernelIlLi16ELi32ELi8ELc78ELc78ELc76ELb0ELb0E19rocblas_complex_numIfEPKS1_S3_PS1_EviT_T9_T10_S5_lS7_S5_lS6_T11_S5_li.has_recursion, 0
	.set _ZL29rocblas_internal_gemmt_kernelIlLi16ELi32ELi8ELc78ELc78ELc76ELb0ELb0E19rocblas_complex_numIfEPKS1_S3_PS1_EviT_T9_T10_S5_lS7_S5_lS6_T11_S5_li.has_indirect_call, 0
	.section	.AMDGPU.csdata,"",@progbits
; Kernel info:
; codeLenInByte = 2508
; TotalNumSgprs: 46
; NumVgprs: 51
; NumAgprs: 0
; TotalNumVgprs: 51
; ScratchSize: 0
; MemoryBound: 0
; FloatMode: 240
; IeeeMode: 1
; LDSByteSize: 4096 bytes/workgroup (compile time only)
; SGPRBlocks: 5
; VGPRBlocks: 6
; NumSGPRsForWavesPerEU: 46
; NumVGPRsForWavesPerEU: 51
; AccumOffset: 52
; Occupancy: 8
; WaveLimiterHint : 0
; COMPUTE_PGM_RSRC2:SCRATCH_EN: 0
; COMPUTE_PGM_RSRC2:USER_SGPR: 2
; COMPUTE_PGM_RSRC2:TRAP_HANDLER: 0
; COMPUTE_PGM_RSRC2:TGID_X_EN: 1
; COMPUTE_PGM_RSRC2:TGID_Y_EN: 1
; COMPUTE_PGM_RSRC2:TGID_Z_EN: 1
; COMPUTE_PGM_RSRC2:TIDIG_COMP_CNT: 1
; COMPUTE_PGM_RSRC3_GFX90A:ACCUM_OFFSET: 12
; COMPUTE_PGM_RSRC3_GFX90A:TG_SPLIT: 0
	.section	.text._ZL29rocblas_internal_gemmt_kernelIlLi16ELi32ELi8ELc78ELc84ELc76ELb0ELb0E19rocblas_complex_numIfEPKS1_S3_PS1_EviT_T9_T10_S5_lS7_S5_lS6_T11_S5_li,"axG",@progbits,_ZL29rocblas_internal_gemmt_kernelIlLi16ELi32ELi8ELc78ELc84ELc76ELb0ELb0E19rocblas_complex_numIfEPKS1_S3_PS1_EviT_T9_T10_S5_lS7_S5_lS6_T11_S5_li,comdat
	.globl	_ZL29rocblas_internal_gemmt_kernelIlLi16ELi32ELi8ELc78ELc84ELc76ELb0ELb0E19rocblas_complex_numIfEPKS1_S3_PS1_EviT_T9_T10_S5_lS7_S5_lS6_T11_S5_li ; -- Begin function _ZL29rocblas_internal_gemmt_kernelIlLi16ELi32ELi8ELc78ELc84ELc76ELb0ELb0E19rocblas_complex_numIfEPKS1_S3_PS1_EviT_T9_T10_S5_lS7_S5_lS6_T11_S5_li
	.p2align	8
	.type	_ZL29rocblas_internal_gemmt_kernelIlLi16ELi32ELi8ELc78ELc84ELc76ELb0ELb0E19rocblas_complex_numIfEPKS1_S3_PS1_EviT_T9_T10_S5_lS7_S5_lS6_T11_S5_li,@function
_ZL29rocblas_internal_gemmt_kernelIlLi16ELi32ELi8ELc78ELc84ELc76ELb0ELb0E19rocblas_complex_numIfEPKS1_S3_PS1_EviT_T9_T10_S5_lS7_S5_lS6_T11_S5_li: ; @_ZL29rocblas_internal_gemmt_kernelIlLi16ELi32ELi8ELc78ELc84ELc76ELb0ELb0E19rocblas_complex_numIfEPKS1_S3_PS1_EviT_T9_T10_S5_lS7_S5_lS6_T11_S5_li
; %bb.0:
	s_load_dwordx8 s[24:31], s[0:1], 0x48
	s_load_dwordx16 s[8:23], s[0:1], 0x8
	s_waitcnt lgkmcnt(0)
	s_load_dwordx2 s[6:7], s[24:25], 0x0
	s_load_dwordx2 s[34:35], s[10:11], 0x0
	s_waitcnt lgkmcnt(0)
	s_and_b32 s5, s7, 0x7fffffff
	s_cmp_eq_u32 s5, 0
	v_cmp_eq_f32_e64 s[24:25], s6, 1.0
	s_cselect_b64 s[10:11], -1, 0
	s_and_b64 s[24:25], s[24:25], s[10:11]
	s_and_b64 vcc, exec, s[24:25]
	s_cbranch_vccnz .LBB226_2
; %bb.1:
	s_mov_b64 s[24:25], -1
	s_cbranch_execz .LBB226_3
	s_branch .LBB226_4
.LBB226_2:
	s_mov_b64 s[24:25], 0
.LBB226_3:
	s_cmp_lg_u64 s[8:9], 0
	v_cmp_neq_f32_e64 s[36:37], s34, 0
	v_cmp_neq_f32_e64 s[38:39], s35, 0
	s_cselect_b64 s[24:25], -1, 0
	s_or_b64 s[36:37], s[36:37], s[38:39]
	s_and_b64 s[24:25], s[24:25], s[36:37]
.LBB226_4:
	s_andn2_b64 vcc, exec, s[24:25]
	s_cbranch_vccnz .LBB226_30
; %bb.5:
	s_load_dword s24, s[0:1], 0x0
	s_lshl_b32 s5, s2, 5
	s_lshl_b32 s25, s3, 5
	v_cmp_eq_f32_e64 s[0:1], s34, 0
	v_cmp_eq_f32_e64 s[2:3], s35, 0
	s_and_b64 s[0:1], s[0:1], s[2:3]
	v_cmp_lt_i64_e64 s[2:3], s[8:9], 1
	s_or_b64 s[0:1], s[0:1], s[2:3]
	v_and_b32_e32 v9, 0x3ff, v0
	v_bfe_u32 v11, v0, 10, 10
	v_mov_b32_e32 v30, 0
	s_and_b64 vcc, exec, s[0:1]
	v_mov_b32_e32 v32, 0
	v_mov_b32_e32 v26, 0
	;; [unrolled: 1-line block ×7, first 2 shown]
	s_cbranch_vccnz .LBB226_14
; %bb.6:
	s_mul_i32 s0, s23, s4
	s_mul_hi_u32 s1, s22, s4
	s_add_i32 s1, s1, s0
	s_mul_i32 s0, s22, s4
	s_lshl_b64 s[0:1], s[0:1], 3
	v_lshl_add_u32 v1, v11, 4, v9
	s_add_u32 s18, s18, s0
	v_lshrrev_b32_e32 v10, 5, v1
	v_lshrrev_b32_e32 v4, 3, v1
	v_and_b32_e32 v1, 31, v1
	s_addc_u32 s19, s19, s1
	s_mul_i32 s0, s17, s4
	s_mul_hi_u32 s1, s16, s4
	v_and_b32_e32 v8, 7, v9
	v_or_b32_e32 v2, s5, v1
	s_add_i32 s1, s1, s0
	s_mul_i32 s0, s16, s4
	v_lshlrev_b32_e32 v1, 3, v1
	s_lshl_b64 s[0:1], s[0:1], 3
	v_lshl_or_b32 v19, v10, 8, v1
	v_lshlrev_b32_e32 v1, 3, v8
	v_add_u32_e32 v0, s25, v4
	s_add_u32 s2, s12, s0
	v_lshl_or_b32 v1, v4, 6, v1
	s_addc_u32 s3, s13, s1
	v_ashrrev_i32_e32 v3, 31, v2
	v_add_u32_e32 v21, 0x800, v1
	v_ashrrev_i32_e32 v1, 31, v0
	v_lshl_add_u64 v[12:13], v[2:3], 3, s[2:3]
	s_waitcnt lgkmcnt(0)
	v_cmp_gt_i32_e64 s[2:3], s24, v0
	v_lshl_add_u64 v[14:15], v[0:1], 3, s[18:19]
	v_mov_b32_e32 v0, 0x800
	v_cmp_gt_i32_e64 s[0:1], s24, v2
	v_lshlrev_b32_e32 v23, 3, v9
	v_lshl_add_u32 v25, v11, 6, v0
	v_mov_b32_e32 v17, 0
	s_mov_b64 s[12:13], 0
	v_mov_b32_e32 v20, 0
	v_mov_b32_e32 v18, 0
	;; [unrolled: 1-line block ×8, first 2 shown]
	s_branch .LBB226_8
.LBB226_7:                              ;   in Loop: Header=BB226_8 Depth=1
	s_or_b64 exec, exec, s[16:17]
	s_waitcnt vmcnt(0)
	ds_write_b64 v21, v[0:1]
	s_waitcnt lgkmcnt(0)
	s_barrier
	ds_read2_b64 v[34:37], v23 offset1:16
	ds_read_b128 v[38:41], v25
	ds_read_b128 v[42:45], v25 offset:16
	ds_read_b128 v[4:7], v25 offset:32
	;; [unrolled: 1-line block ×3, first 2 shown]
	s_add_u32 s12, s12, 8
	s_waitcnt lgkmcnt(3)
	v_mul_f32_e32 v16, v39, v35
	v_mul_f32_e32 v27, v38, v35
	v_fma_f32 v16, v38, v34, -v16
	v_fmac_f32_e32 v27, v39, v34
	v_add_f32_e32 v16, v30, v16
	v_add_f32_e32 v50, v32, v27
	ds_read_b128 v[30:33], v25 offset:1024
	v_mul_f32_e32 v27, v39, v37
	v_mul_f32_e32 v29, v38, v37
	v_fma_f32 v27, v38, v36, -v27
	v_fmac_f32_e32 v29, v39, v36
	v_add_f32_e32 v38, v26, v27
	v_add_f32_e32 v39, v28, v29
	ds_read_b128 v[26:29], v25 offset:1040
	s_waitcnt lgkmcnt(1)
	v_mul_f32_e32 v46, v31, v35
	v_fma_f32 v46, v30, v34, -v46
	v_add_f32_e32 v22, v22, v46
	ds_read2_b64 v[46:49], v23 offset0:32 offset1:48
	v_mul_f32_e32 v35, v30, v35
	v_fmac_f32_e32 v35, v31, v34
	v_mul_f32_e32 v34, v31, v37
	v_fma_f32 v34, v30, v36, -v34
	v_mul_f32_e32 v30, v30, v37
	v_fmac_f32_e32 v30, v31, v36
	v_add_f32_e32 v20, v20, v30
	s_waitcnt lgkmcnt(0)
	v_mul_f32_e32 v30, v41, v47
	v_mul_f32_e32 v31, v40, v47
	v_fma_f32 v30, v40, v46, -v30
	v_fmac_f32_e32 v31, v41, v46
	v_add_f32_e32 v18, v18, v34
	v_add_f32_e32 v16, v16, v30
	v_add_f32_e32 v30, v50, v31
	v_mul_f32_e32 v31, v41, v49
	v_mul_f32_e32 v34, v40, v49
	v_fma_f32 v31, v40, v48, -v31
	v_fmac_f32_e32 v34, v41, v48
	v_add_f32_e32 v31, v38, v31
	v_add_f32_e32 v38, v39, v34
	v_mul_f32_e32 v34, v33, v47
	v_add_f32_e32 v24, v24, v35
	v_fma_f32 v34, v32, v46, -v34
	v_mul_f32_e32 v35, v32, v47
	v_fmac_f32_e32 v35, v33, v46
	v_add_f32_e32 v22, v22, v34
	v_mul_f32_e32 v34, v33, v49
	v_add_f32_e32 v24, v24, v35
	v_fma_f32 v39, v32, v48, -v34
	ds_read2_b64 v[34:37], v23 offset0:64 offset1:80
	v_mul_f32_e32 v32, v32, v49
	v_fmac_f32_e32 v32, v33, v48
	v_add_f32_e32 v18, v18, v39
	v_add_f32_e32 v20, v20, v32
	s_waitcnt lgkmcnt(0)
	v_mul_f32_e32 v33, v42, v35
	v_fmac_f32_e32 v33, v43, v34
	v_add_f32_e32 v39, v30, v33
	v_mul_f32_e32 v30, v43, v37
	v_mul_f32_e32 v32, v43, v35
	v_fma_f32 v30, v42, v36, -v30
	v_fma_f32 v32, v42, v34, -v32
	v_add_f32_e32 v40, v31, v30
	v_mul_f32_e32 v30, v27, v35
	v_add_f32_e32 v16, v16, v32
	v_mul_f32_e32 v32, v42, v37
	v_fma_f32 v30, v26, v34, -v30
	v_mul_f32_e32 v31, v26, v35
	v_fmac_f32_e32 v32, v43, v36
	v_fmac_f32_e32 v31, v27, v34
	v_add_f32_e32 v22, v22, v30
	v_mul_f32_e32 v30, v27, v37
	v_add_f32_e32 v38, v38, v32
	v_add_f32_e32 v24, v24, v31
	v_fma_f32 v34, v26, v36, -v30
	ds_read2_b64 v[30:33], v23 offset0:96 offset1:112
	v_mul_f32_e32 v26, v26, v37
	v_fmac_f32_e32 v26, v27, v36
	v_add_f32_e32 v20, v20, v26
	v_add_f32_e32 v18, v18, v34
	s_waitcnt lgkmcnt(0)
	v_mul_f32_e32 v26, v45, v31
	v_mul_f32_e32 v27, v44, v31
	v_fma_f32 v26, v44, v30, -v26
	v_fmac_f32_e32 v27, v45, v30
	v_add_f32_e32 v16, v16, v26
	v_add_f32_e32 v26, v39, v27
	v_mul_f32_e32 v27, v45, v33
	v_mul_f32_e32 v34, v44, v33
	v_fma_f32 v27, v44, v32, -v27
	v_fmac_f32_e32 v34, v45, v32
	v_add_f32_e32 v39, v40, v27
	v_add_f32_e32 v38, v38, v34
	v_mul_f32_e32 v27, v29, v31
	ds_read2_b64 v[34:37], v23 offset0:128 offset1:144
	v_fma_f32 v27, v28, v30, -v27
	v_add_f32_e32 v22, v22, v27
	v_mul_f32_e32 v27, v29, v33
	v_mul_f32_e32 v31, v28, v31
	v_fma_f32 v27, v28, v32, -v27
	v_mul_f32_e32 v28, v28, v33
	v_fmac_f32_e32 v28, v29, v32
	v_add_f32_e32 v20, v20, v28
	s_waitcnt lgkmcnt(0)
	v_mul_f32_e32 v28, v4, v35
	v_add_f32_e32 v18, v18, v27
	v_mul_f32_e32 v27, v5, v35
	v_fmac_f32_e32 v28, v5, v34
	v_fma_f32 v27, v4, v34, -v27
	v_add_f32_e32 v42, v26, v28
	v_mul_f32_e32 v26, v5, v37
	v_fmac_f32_e32 v31, v29, v30
	v_add_f32_e32 v16, v16, v27
	v_fma_f32 v30, v4, v36, -v26
	ds_read_b128 v[26:29], v25 offset:1056
	v_mul_f32_e32 v4, v4, v37
	v_fmac_f32_e32 v4, v5, v36
	v_add_f32_e32 v5, v39, v30
	v_add_f32_e32 v4, v38, v4
	ds_read_b128 v[38:41], v25 offset:1072
	s_waitcnt lgkmcnt(1)
	v_mul_f32_e32 v30, v27, v35
	v_add_f32_e32 v24, v24, v31
	v_fma_f32 v30, v26, v34, -v30
	v_mul_f32_e32 v31, v26, v35
	v_fmac_f32_e32 v31, v27, v34
	v_add_f32_e32 v22, v22, v30
	v_mul_f32_e32 v30, v27, v37
	v_add_f32_e32 v24, v24, v31
	v_fma_f32 v34, v26, v36, -v30
	ds_read2_b64 v[30:33], v23 offset0:160 offset1:176
	v_mul_f32_e32 v26, v26, v37
	v_fmac_f32_e32 v26, v27, v36
	v_add_f32_e32 v20, v20, v26
	v_add_f32_e32 v18, v18, v34
	s_waitcnt lgkmcnt(0)
	v_mul_f32_e32 v26, v7, v31
	v_mul_f32_e32 v27, v6, v31
	v_fma_f32 v26, v6, v30, -v26
	v_fmac_f32_e32 v27, v7, v30
	v_add_f32_e32 v16, v16, v26
	v_add_f32_e32 v26, v42, v27
	v_mul_f32_e32 v27, v7, v33
	v_fma_f32 v27, v6, v32, -v27
	v_mul_f32_e32 v6, v6, v33
	v_fmac_f32_e32 v6, v7, v32
	v_add_f32_e32 v34, v4, v6
	v_mul_f32_e32 v4, v29, v31
	v_add_f32_e32 v27, v5, v27
	v_fma_f32 v4, v28, v30, -v4
	v_mul_f32_e32 v5, v28, v31
	v_fmac_f32_e32 v5, v29, v30
	v_add_f32_e32 v22, v22, v4
	v_mul_f32_e32 v4, v29, v33
	v_add_f32_e32 v24, v24, v5
	v_fma_f32 v30, v28, v32, -v4
	ds_read2_b64 v[4:7], v23 offset0:192 offset1:208
	v_mul_f32_e32 v28, v28, v33
	v_fmac_f32_e32 v28, v29, v32
	v_add_f32_e32 v20, v20, v28
	v_add_f32_e32 v18, v18, v30
	s_waitcnt lgkmcnt(0)
	v_mul_f32_e32 v28, v1, v5
	v_fma_f32 v28, v0, v4, -v28
	v_add_f32_e32 v16, v16, v28
	v_mul_f32_e32 v28, v1, v7
	v_mul_f32_e32 v29, v0, v5
	v_fma_f32 v28, v0, v6, -v28
	v_mul_f32_e32 v0, v0, v7
	v_fmac_f32_e32 v0, v1, v6
	v_add_f32_e32 v0, v34, v0
	ds_read2_b64 v[34:37], v23 offset0:224 offset1:240
	v_fmac_f32_e32 v29, v1, v4
	v_add_f32_e32 v1, v27, v28
	v_mul_f32_e32 v27, v39, v5
	v_fma_f32 v27, v38, v4, -v27
	v_mul_f32_e32 v5, v38, v5
	v_fmac_f32_e32 v5, v39, v4
	v_add_f32_e32 v4, v22, v27
	v_mul_f32_e32 v22, v39, v7
	v_fma_f32 v22, v38, v6, -v22
	v_mul_f32_e32 v7, v38, v7
	v_fmac_f32_e32 v7, v39, v6
	v_add_f32_e32 v6, v18, v22
	s_waitcnt lgkmcnt(0)
	v_mul_f32_e32 v18, v3, v35
	v_fma_f32 v18, v2, v34, -v18
	v_add_f32_e32 v30, v16, v18
	v_mul_f32_e32 v16, v3, v37
	v_add_f32_e32 v7, v20, v7
	v_mul_f32_e32 v20, v2, v35
	v_fma_f32 v16, v2, v36, -v16
	v_mul_f32_e32 v2, v2, v37
	v_add_f32_e32 v26, v26, v29
	v_fmac_f32_e32 v20, v3, v34
	v_fmac_f32_e32 v2, v3, v36
	v_add_f32_e32 v32, v26, v20
	v_add_f32_e32 v26, v1, v16
	;; [unrolled: 1-line block ×3, first 2 shown]
	v_mul_f32_e32 v0, v41, v35
	v_mul_f32_e32 v1, v40, v35
	v_add_f32_e32 v5, v24, v5
	v_fma_f32 v0, v40, v34, -v0
	v_fmac_f32_e32 v1, v41, v34
	v_add_f32_e32 v22, v4, v0
	v_add_f32_e32 v24, v5, v1
	v_mul_f32_e32 v0, v41, v37
	v_mul_f32_e32 v1, v40, v37
	v_fma_f32 v0, v40, v36, -v0
	v_fmac_f32_e32 v1, v41, v36
	s_addc_u32 s13, s13, 0
	v_add_f32_e32 v18, v6, v0
	v_add_f32_e32 v20, v7, v1
	v_mov_b64_e32 v[0:1], s[12:13]
	v_cmp_gt_i64_e32 vcc, s[8:9], v[0:1]
	s_barrier
	s_cbranch_vccz .LBB226_14
.LBB226_8:                              ; =>This Inner Loop Header: Depth=1
	v_mov_b32_e32 v0, 0
	v_mov_b32_e32 v1, 0
	s_and_saveexec_b64 s[16:17], s[0:1]
	s_cbranch_execz .LBB226_12
; %bb.9:                                ;   in Loop: Header=BB226_8 Depth=1
	v_add_u32_e32 v16, s12, v10
	v_cmp_gt_u64_e32 vcc, s[8:9], v[16:17]
	v_mov_b32_e32 v1, 0
	v_mov_b32_e32 v0, 0
	s_and_saveexec_b64 s[18:19], vcc
	s_cbranch_execz .LBB226_11
; %bb.10:                               ;   in Loop: Header=BB226_8 Depth=1
	v_mad_u64_u32 v[0:1], s[22:23], s14, v16, 0
	v_mov_b32_e32 v2, v1
	v_mad_u64_u32 v[2:3], s[22:23], s15, v16, v[2:3]
	v_mov_b32_e32 v1, v2
	v_lshl_add_u64 v[0:1], v[0:1], 3, v[12:13]
	global_load_dwordx2 v[0:1], v[0:1], off
.LBB226_11:                             ;   in Loop: Header=BB226_8 Depth=1
	s_or_b64 exec, exec, s[18:19]
.LBB226_12:                             ;   in Loop: Header=BB226_8 Depth=1
	s_or_b64 exec, exec, s[16:17]
	v_add_u32_e32 v16, s12, v8
	v_cmp_gt_u64_e32 vcc, s[8:9], v[16:17]
	s_waitcnt vmcnt(0)
	ds_write_b64 v19, v[0:1]
	s_and_b64 s[18:19], vcc, s[2:3]
	v_mov_b32_e32 v0, 0
	v_mov_b32_e32 v1, 0
	s_and_saveexec_b64 s[16:17], s[18:19]
	s_cbranch_execz .LBB226_7
; %bb.13:                               ;   in Loop: Header=BB226_8 Depth=1
	v_mad_u64_u32 v[0:1], s[18:19], s20, v16, 0
	v_mov_b32_e32 v2, v1
	v_mad_u64_u32 v[2:3], s[18:19], s21, v16, v[2:3]
	v_mov_b32_e32 v1, v2
	v_lshl_add_u64 v[0:1], v[0:1], 3, v[14:15]
	global_load_dwordx2 v[0:1], v[0:1], off
	s_branch .LBB226_7
.LBB226_14:
	s_mul_i32 s0, s31, s4
	s_mul_hi_u32 s1, s30, s4
	s_add_i32 s1, s1, s0
	s_mul_i32 s0, s30, s4
	s_lshl_b64 s[0:1], s[0:1], 3
	v_add_u32_e32 v10, s25, v11
	s_add_u32 s8, s26, s0
	v_ashrrev_i32_e32 v1, 31, v10
	s_addc_u32 s9, s27, s1
	v_add_u32_e32 v0, s5, v9
	v_cmp_neq_f32_e64 s[0:1], s6, 0
	s_xor_b64 s[4:5], s[10:11], -1
	v_mul_lo_u32 v1, s28, v1
	v_mul_lo_u32 v4, s29, v10
	v_mad_u64_u32 v[2:3], s[2:3], s28, v10, 0
	v_add3_u32 v3, v3, v1, v4
	s_or_b64 s[0:1], s[0:1], s[4:5]
	v_lshl_add_u64 v[4:5], v[2:3], 3, s[8:9]
	v_cmp_le_i32_e32 vcc, v10, v0
	s_waitcnt lgkmcnt(0)
	v_cmp_gt_i32_e64 s[2:3], s24, v0
	v_cndmask_b32_e64 v2, 0, 1, s[0:1]
	s_and_b64 s[10:11], vcc, s[2:3]
	v_ashrrev_i32_e32 v1, 31, v0
	v_cmp_ne_u32_e64 s[0:1], 1, v2
	s_and_saveexec_b64 s[4:5], s[10:11]
	s_cbranch_execz .LBB226_18
; %bb.15:
	v_pk_mul_f32 v[6:7], v[32:33], s[34:35] op_sel:[0,1] op_sel_hi:[0,0]
	v_pk_fma_f32 v[2:3], v[30:31], s[34:35], v[6:7] op_sel_hi:[0,1,1] neg_lo:[0,0,1] neg_hi:[0,0,1]
	v_pk_fma_f32 v[8:9], v[30:31], s[34:35], v[6:7] op_sel_hi:[0,1,1]
	s_and_b64 vcc, exec, s[0:1]
	v_lshl_add_u64 v[6:7], v[0:1], 3, v[4:5]
	s_cbranch_vccnz .LBB226_17
; %bb.16:
	global_load_dwordx2 v[12:13], v[6:7], off
	s_mov_b32 s10, s7
	v_mov_b32_e32 v3, v9
	s_waitcnt vmcnt(0)
	v_pk_mul_f32 v[8:9], v[12:13], s[10:11] op_sel:[1,0] op_sel_hi:[0,0]
	v_pk_fma_f32 v[14:15], v[12:13], s[6:7], v[8:9] neg_lo:[0,0,1] neg_hi:[0,0,1]
	v_pk_fma_f32 v[8:9], v[12:13], s[6:7], v[8:9] op_sel_hi:[1,0,1]
	s_nop 0
	v_mov_b32_e32 v15, v9
	v_pk_add_f32 v[2:3], v[2:3], v[14:15]
	s_nop 0
	v_mov_b32_e32 v9, v3
.LBB226_17:
	v_mov_b32_e32 v3, v9
	global_store_dwordx2 v[6:7], v[2:3], off
.LBB226_18:
	s_or_b64 exec, exec, s[4:5]
	v_add_u32_e32 v2, 16, v0
	v_cmp_le_i32_e32 vcc, v10, v2
	v_cmp_gt_i32_e64 s[4:5], s24, v2
	s_and_b64 s[12:13], vcc, s[4:5]
	v_ashrrev_i32_e32 v3, 31, v2
	s_and_saveexec_b64 s[10:11], s[12:13]
	s_cbranch_execz .LBB226_22
; %bb.19:
	v_pk_mul_f32 v[8:9], v[28:29], s[34:35] op_sel:[0,1] op_sel_hi:[0,0]
	v_pk_fma_f32 v[6:7], v[26:27], s[34:35], v[8:9] op_sel_hi:[0,1,1] neg_lo:[0,0,1] neg_hi:[0,0,1]
	v_pk_fma_f32 v[8:9], v[26:27], s[34:35], v[8:9] op_sel_hi:[0,1,1]
	s_and_b64 vcc, exec, s[0:1]
	v_lshl_add_u64 v[4:5], v[2:3], 3, v[4:5]
	s_cbranch_vccnz .LBB226_21
; %bb.20:
	global_load_dwordx2 v[12:13], v[4:5], off
	s_mov_b32 s12, s7
	v_mov_b32_e32 v7, v9
	s_waitcnt vmcnt(0)
	v_pk_mul_f32 v[8:9], v[12:13], s[12:13] op_sel:[1,0] op_sel_hi:[0,0]
	v_pk_fma_f32 v[14:15], v[12:13], s[6:7], v[8:9] neg_lo:[0,0,1] neg_hi:[0,0,1]
	v_pk_fma_f32 v[8:9], v[12:13], s[6:7], v[8:9] op_sel_hi:[1,0,1]
	s_nop 0
	v_mov_b32_e32 v15, v9
	v_pk_add_f32 v[6:7], v[6:7], v[14:15]
	s_nop 0
	v_mov_b32_e32 v9, v7
.LBB226_21:
	v_mov_b32_e32 v7, v9
	global_store_dwordx2 v[4:5], v[6:7], off
.LBB226_22:
	s_or_b64 exec, exec, s[10:11]
	v_add_u32_e32 v10, 16, v10
	v_ashrrev_i32_e32 v4, 31, v10
	v_mul_lo_u32 v6, s28, v4
	v_mul_lo_u32 v7, s29, v10
	v_mad_u64_u32 v[4:5], s[10:11], s28, v10, 0
	v_add3_u32 v5, v5, v6, v7
	v_cmp_le_i32_e32 vcc, v10, v0
	v_lshl_add_u64 v[4:5], v[4:5], 3, s[8:9]
	s_and_b64 s[8:9], vcc, s[2:3]
	s_and_saveexec_b64 s[2:3], s[8:9]
	s_cbranch_execz .LBB226_26
; %bb.23:
	v_pk_mul_f32 v[8:9], v[24:25], s[34:35] op_sel:[0,1] op_sel_hi:[0,0]
	v_pk_fma_f32 v[6:7], v[22:23], s[34:35], v[8:9] op_sel_hi:[0,1,1] neg_lo:[0,0,1] neg_hi:[0,0,1]
	v_pk_fma_f32 v[8:9], v[22:23], s[34:35], v[8:9] op_sel_hi:[0,1,1]
	s_and_b64 vcc, exec, s[0:1]
	v_lshl_add_u64 v[0:1], v[0:1], 3, v[4:5]
	s_cbranch_vccnz .LBB226_25
; %bb.24:
	global_load_dwordx2 v[12:13], v[0:1], off
	s_mov_b32 s8, s7
	v_mov_b32_e32 v7, v9
	s_waitcnt vmcnt(0)
	v_pk_mul_f32 v[8:9], v[12:13], s[8:9] op_sel:[1,0] op_sel_hi:[0,0]
	v_pk_fma_f32 v[14:15], v[12:13], s[6:7], v[8:9] neg_lo:[0,0,1] neg_hi:[0,0,1]
	v_pk_fma_f32 v[8:9], v[12:13], s[6:7], v[8:9] op_sel_hi:[1,0,1]
	s_nop 0
	v_mov_b32_e32 v15, v9
	v_pk_add_f32 v[6:7], v[6:7], v[14:15]
	s_nop 0
	v_mov_b32_e32 v9, v7
.LBB226_25:
	v_mov_b32_e32 v7, v9
	global_store_dwordx2 v[0:1], v[6:7], off
.LBB226_26:
	s_or_b64 exec, exec, s[2:3]
	v_cmp_le_i32_e32 vcc, v10, v2
	s_and_b64 s[2:3], vcc, s[4:5]
	s_and_saveexec_b64 s[4:5], s[2:3]
	s_cbranch_execz .LBB226_30
; %bb.27:
	v_pk_mul_f32 v[6:7], v[20:21], s[34:35] op_sel:[0,1] op_sel_hi:[0,0]
	v_pk_fma_f32 v[0:1], v[18:19], s[34:35], v[6:7] op_sel_hi:[0,1,1] neg_lo:[0,0,1] neg_hi:[0,0,1]
	v_pk_fma_f32 v[6:7], v[18:19], s[34:35], v[6:7] op_sel_hi:[0,1,1]
	s_and_b64 vcc, exec, s[0:1]
	v_lshl_add_u64 v[2:3], v[2:3], 3, v[4:5]
	s_cbranch_vccnz .LBB226_29
; %bb.28:
	global_load_dwordx2 v[4:5], v[2:3], off
	s_mov_b32 s0, s7
	v_mov_b32_e32 v1, v7
	s_waitcnt vmcnt(0)
	v_pk_mul_f32 v[6:7], v[4:5], s[0:1] op_sel:[1,0] op_sel_hi:[0,0]
	v_pk_fma_f32 v[8:9], v[4:5], s[6:7], v[6:7] neg_lo:[0,0,1] neg_hi:[0,0,1]
	v_pk_fma_f32 v[4:5], v[4:5], s[6:7], v[6:7] op_sel_hi:[1,0,1]
	s_nop 0
	v_mov_b32_e32 v9, v5
	v_pk_add_f32 v[0:1], v[0:1], v[8:9]
	s_nop 0
	v_mov_b32_e32 v7, v1
.LBB226_29:
	v_mov_b32_e32 v1, v7
	global_store_dwordx2 v[2:3], v[0:1], off
.LBB226_30:
	s_endpgm
	.section	.rodata,"a",@progbits
	.p2align	6, 0x0
	.amdhsa_kernel _ZL29rocblas_internal_gemmt_kernelIlLi16ELi32ELi8ELc78ELc84ELc76ELb0ELb0E19rocblas_complex_numIfEPKS1_S3_PS1_EviT_T9_T10_S5_lS7_S5_lS6_T11_S5_li
		.amdhsa_group_segment_fixed_size 4096
		.amdhsa_private_segment_fixed_size 0
		.amdhsa_kernarg_size 108
		.amdhsa_user_sgpr_count 2
		.amdhsa_user_sgpr_dispatch_ptr 0
		.amdhsa_user_sgpr_queue_ptr 0
		.amdhsa_user_sgpr_kernarg_segment_ptr 1
		.amdhsa_user_sgpr_dispatch_id 0
		.amdhsa_user_sgpr_kernarg_preload_length 0
		.amdhsa_user_sgpr_kernarg_preload_offset 0
		.amdhsa_user_sgpr_private_segment_size 0
		.amdhsa_uses_dynamic_stack 0
		.amdhsa_enable_private_segment 0
		.amdhsa_system_sgpr_workgroup_id_x 1
		.amdhsa_system_sgpr_workgroup_id_y 1
		.amdhsa_system_sgpr_workgroup_id_z 1
		.amdhsa_system_sgpr_workgroup_info 0
		.amdhsa_system_vgpr_workitem_id 1
		.amdhsa_next_free_vgpr 51
		.amdhsa_next_free_sgpr 40
		.amdhsa_accum_offset 52
		.amdhsa_reserve_vcc 1
		.amdhsa_float_round_mode_32 0
		.amdhsa_float_round_mode_16_64 0
		.amdhsa_float_denorm_mode_32 3
		.amdhsa_float_denorm_mode_16_64 3
		.amdhsa_dx10_clamp 1
		.amdhsa_ieee_mode 1
		.amdhsa_fp16_overflow 0
		.amdhsa_tg_split 0
		.amdhsa_exception_fp_ieee_invalid_op 0
		.amdhsa_exception_fp_denorm_src 0
		.amdhsa_exception_fp_ieee_div_zero 0
		.amdhsa_exception_fp_ieee_overflow 0
		.amdhsa_exception_fp_ieee_underflow 0
		.amdhsa_exception_fp_ieee_inexact 0
		.amdhsa_exception_int_div_zero 0
	.end_amdhsa_kernel
	.section	.text._ZL29rocblas_internal_gemmt_kernelIlLi16ELi32ELi8ELc78ELc84ELc76ELb0ELb0E19rocblas_complex_numIfEPKS1_S3_PS1_EviT_T9_T10_S5_lS7_S5_lS6_T11_S5_li,"axG",@progbits,_ZL29rocblas_internal_gemmt_kernelIlLi16ELi32ELi8ELc78ELc84ELc76ELb0ELb0E19rocblas_complex_numIfEPKS1_S3_PS1_EviT_T9_T10_S5_lS7_S5_lS6_T11_S5_li,comdat
.Lfunc_end226:
	.size	_ZL29rocblas_internal_gemmt_kernelIlLi16ELi32ELi8ELc78ELc84ELc76ELb0ELb0E19rocblas_complex_numIfEPKS1_S3_PS1_EviT_T9_T10_S5_lS7_S5_lS6_T11_S5_li, .Lfunc_end226-_ZL29rocblas_internal_gemmt_kernelIlLi16ELi32ELi8ELc78ELc84ELc76ELb0ELb0E19rocblas_complex_numIfEPKS1_S3_PS1_EviT_T9_T10_S5_lS7_S5_lS6_T11_S5_li
                                        ; -- End function
	.set _ZL29rocblas_internal_gemmt_kernelIlLi16ELi32ELi8ELc78ELc84ELc76ELb0ELb0E19rocblas_complex_numIfEPKS1_S3_PS1_EviT_T9_T10_S5_lS7_S5_lS6_T11_S5_li.num_vgpr, 51
	.set _ZL29rocblas_internal_gemmt_kernelIlLi16ELi32ELi8ELc78ELc84ELc76ELb0ELb0E19rocblas_complex_numIfEPKS1_S3_PS1_EviT_T9_T10_S5_lS7_S5_lS6_T11_S5_li.num_agpr, 0
	.set _ZL29rocblas_internal_gemmt_kernelIlLi16ELi32ELi8ELc78ELc84ELc76ELb0ELb0E19rocblas_complex_numIfEPKS1_S3_PS1_EviT_T9_T10_S5_lS7_S5_lS6_T11_S5_li.numbered_sgpr, 40
	.set _ZL29rocblas_internal_gemmt_kernelIlLi16ELi32ELi8ELc78ELc84ELc76ELb0ELb0E19rocblas_complex_numIfEPKS1_S3_PS1_EviT_T9_T10_S5_lS7_S5_lS6_T11_S5_li.num_named_barrier, 0
	.set _ZL29rocblas_internal_gemmt_kernelIlLi16ELi32ELi8ELc78ELc84ELc76ELb0ELb0E19rocblas_complex_numIfEPKS1_S3_PS1_EviT_T9_T10_S5_lS7_S5_lS6_T11_S5_li.private_seg_size, 0
	.set _ZL29rocblas_internal_gemmt_kernelIlLi16ELi32ELi8ELc78ELc84ELc76ELb0ELb0E19rocblas_complex_numIfEPKS1_S3_PS1_EviT_T9_T10_S5_lS7_S5_lS6_T11_S5_li.uses_vcc, 1
	.set _ZL29rocblas_internal_gemmt_kernelIlLi16ELi32ELi8ELc78ELc84ELc76ELb0ELb0E19rocblas_complex_numIfEPKS1_S3_PS1_EviT_T9_T10_S5_lS7_S5_lS6_T11_S5_li.uses_flat_scratch, 0
	.set _ZL29rocblas_internal_gemmt_kernelIlLi16ELi32ELi8ELc78ELc84ELc76ELb0ELb0E19rocblas_complex_numIfEPKS1_S3_PS1_EviT_T9_T10_S5_lS7_S5_lS6_T11_S5_li.has_dyn_sized_stack, 0
	.set _ZL29rocblas_internal_gemmt_kernelIlLi16ELi32ELi8ELc78ELc84ELc76ELb0ELb0E19rocblas_complex_numIfEPKS1_S3_PS1_EviT_T9_T10_S5_lS7_S5_lS6_T11_S5_li.has_recursion, 0
	.set _ZL29rocblas_internal_gemmt_kernelIlLi16ELi32ELi8ELc78ELc84ELc76ELb0ELb0E19rocblas_complex_numIfEPKS1_S3_PS1_EviT_T9_T10_S5_lS7_S5_lS6_T11_S5_li.has_indirect_call, 0
	.section	.AMDGPU.csdata,"",@progbits
; Kernel info:
; codeLenInByte = 2500
; TotalNumSgprs: 46
; NumVgprs: 51
; NumAgprs: 0
; TotalNumVgprs: 51
; ScratchSize: 0
; MemoryBound: 0
; FloatMode: 240
; IeeeMode: 1
; LDSByteSize: 4096 bytes/workgroup (compile time only)
; SGPRBlocks: 5
; VGPRBlocks: 6
; NumSGPRsForWavesPerEU: 46
; NumVGPRsForWavesPerEU: 51
; AccumOffset: 52
; Occupancy: 8
; WaveLimiterHint : 0
; COMPUTE_PGM_RSRC2:SCRATCH_EN: 0
; COMPUTE_PGM_RSRC2:USER_SGPR: 2
; COMPUTE_PGM_RSRC2:TRAP_HANDLER: 0
; COMPUTE_PGM_RSRC2:TGID_X_EN: 1
; COMPUTE_PGM_RSRC2:TGID_Y_EN: 1
; COMPUTE_PGM_RSRC2:TGID_Z_EN: 1
; COMPUTE_PGM_RSRC2:TIDIG_COMP_CNT: 1
; COMPUTE_PGM_RSRC3_GFX90A:ACCUM_OFFSET: 12
; COMPUTE_PGM_RSRC3_GFX90A:TG_SPLIT: 0
	.section	.text._ZL29rocblas_internal_gemmt_kernelIlLi16ELi32ELi8ELc78ELc67ELc76ELb0ELb1E19rocblas_complex_numIfEPKS1_S3_PS1_EviT_T9_T10_S5_lS7_S5_lS6_T11_S5_li,"axG",@progbits,_ZL29rocblas_internal_gemmt_kernelIlLi16ELi32ELi8ELc78ELc67ELc76ELb0ELb1E19rocblas_complex_numIfEPKS1_S3_PS1_EviT_T9_T10_S5_lS7_S5_lS6_T11_S5_li,comdat
	.globl	_ZL29rocblas_internal_gemmt_kernelIlLi16ELi32ELi8ELc78ELc67ELc76ELb0ELb1E19rocblas_complex_numIfEPKS1_S3_PS1_EviT_T9_T10_S5_lS7_S5_lS6_T11_S5_li ; -- Begin function _ZL29rocblas_internal_gemmt_kernelIlLi16ELi32ELi8ELc78ELc67ELc76ELb0ELb1E19rocblas_complex_numIfEPKS1_S3_PS1_EviT_T9_T10_S5_lS7_S5_lS6_T11_S5_li
	.p2align	8
	.type	_ZL29rocblas_internal_gemmt_kernelIlLi16ELi32ELi8ELc78ELc67ELc76ELb0ELb1E19rocblas_complex_numIfEPKS1_S3_PS1_EviT_T9_T10_S5_lS7_S5_lS6_T11_S5_li,@function
_ZL29rocblas_internal_gemmt_kernelIlLi16ELi32ELi8ELc78ELc67ELc76ELb0ELb1E19rocblas_complex_numIfEPKS1_S3_PS1_EviT_T9_T10_S5_lS7_S5_lS6_T11_S5_li: ; @_ZL29rocblas_internal_gemmt_kernelIlLi16ELi32ELi8ELc78ELc67ELc76ELb0ELb1E19rocblas_complex_numIfEPKS1_S3_PS1_EviT_T9_T10_S5_lS7_S5_lS6_T11_S5_li
; %bb.0:
	s_load_dwordx8 s[24:31], s[0:1], 0x48
	s_load_dwordx16 s[8:23], s[0:1], 0x8
	s_waitcnt lgkmcnt(0)
	s_load_dwordx2 s[6:7], s[24:25], 0x0
	s_load_dwordx2 s[34:35], s[10:11], 0x0
	s_waitcnt lgkmcnt(0)
	s_and_b32 s5, s7, 0x7fffffff
	s_cmp_eq_u32 s5, 0
	v_cmp_eq_f32_e64 s[24:25], s6, 1.0
	s_cselect_b64 s[10:11], -1, 0
	s_and_b64 s[24:25], s[24:25], s[10:11]
	s_and_b64 vcc, exec, s[24:25]
	s_cbranch_vccnz .LBB227_2
; %bb.1:
	s_mov_b64 s[24:25], -1
	s_cbranch_execz .LBB227_3
	s_branch .LBB227_4
.LBB227_2:
	s_mov_b64 s[24:25], 0
.LBB227_3:
	s_cmp_lg_u64 s[8:9], 0
	v_cmp_neq_f32_e64 s[36:37], s34, 0
	v_cmp_neq_f32_e64 s[38:39], s35, 0
	s_cselect_b64 s[24:25], -1, 0
	s_or_b64 s[36:37], s[36:37], s[38:39]
	s_and_b64 s[24:25], s[24:25], s[36:37]
.LBB227_4:
	s_andn2_b64 vcc, exec, s[24:25]
	s_cbranch_vccnz .LBB227_32
; %bb.5:
	s_load_dword s24, s[0:1], 0x0
	s_lshl_b32 s5, s2, 5
	s_lshl_b32 s25, s3, 5
	v_cmp_eq_f32_e64 s[0:1], s34, 0
	v_cmp_eq_f32_e64 s[2:3], s35, 0
	s_and_b64 s[0:1], s[0:1], s[2:3]
	v_cmp_lt_i64_e64 s[2:3], s[8:9], 1
	s_or_b64 s[0:1], s[0:1], s[2:3]
	v_and_b32_e32 v9, 0x3ff, v0
	v_bfe_u32 v11, v0, 10, 10
	v_mov_b32_e32 v30, 0
	s_and_b64 vcc, exec, s[0:1]
	v_mov_b32_e32 v32, 0
	v_mov_b32_e32 v26, 0
	;; [unrolled: 1-line block ×7, first 2 shown]
	s_cbranch_vccnz .LBB227_16
; %bb.6:
	s_mul_i32 s0, s23, s4
	s_mul_hi_u32 s1, s22, s4
	s_add_i32 s1, s1, s0
	s_mul_i32 s0, s22, s4
	v_lshl_add_u32 v1, v11, 4, v9
	s_lshl_b64 s[0:1], s[0:1], 3
	v_lshrrev_b32_e32 v10, 5, v1
	v_lshrrev_b32_e32 v4, 3, v1
	v_and_b32_e32 v1, 31, v1
	s_add_u32 s2, s18, s0
	v_and_b32_e32 v8, 7, v9
	v_or_b32_e32 v2, s5, v1
	s_addc_u32 s3, s19, s1
	s_mul_i32 s0, s17, s4
	s_mul_hi_u32 s1, s16, s4
	v_lshlrev_b32_e32 v1, 3, v1
	s_add_i32 s1, s1, s0
	s_mul_i32 s0, s16, s4
	v_lshl_or_b32 v19, v10, 8, v1
	v_lshlrev_b32_e32 v1, 3, v8
	v_add_u32_e32 v0, s25, v4
	s_lshl_b64 s[0:1], s[0:1], 3
	v_lshl_or_b32 v1, v4, 6, v1
	s_add_u32 s12, s12, s0
	v_add_u32_e32 v21, 0x800, v1
	v_ashrrev_i32_e32 v1, 31, v0
	s_addc_u32 s13, s13, s1
	v_ashrrev_i32_e32 v3, 31, v2
	s_waitcnt lgkmcnt(0)
	v_cmp_gt_i32_e32 vcc, s24, v0
	v_lshl_add_u64 v[14:15], v[0:1], 3, s[2:3]
	v_mov_b32_e32 v0, 0x800
	v_cmp_gt_i32_e64 s[0:1], s24, v2
	v_lshl_add_u64 v[12:13], v[2:3], 3, s[12:13]
	v_lshlrev_b32_e32 v23, 3, v9
	v_lshl_add_u32 v25, v11, 6, v0
	v_mov_b32_e32 v17, 0
	s_mov_b64 s[2:3], 0
	s_xor_b64 s[12:13], vcc, -1
	v_mov_b32_e32 v20, 0
	v_mov_b32_e32 v18, 0
	;; [unrolled: 1-line block ×8, first 2 shown]
	s_branch .LBB227_8
.LBB227_7:                              ;   in Loop: Header=BB227_8 Depth=1
	s_or_b64 exec, exec, s[16:17]
	ds_write_b32 v21, v0 offset:4
	s_waitcnt lgkmcnt(0)
	s_barrier
	ds_read2_b64 v[34:37], v23 offset1:16
	ds_read_b128 v[38:41], v25
	ds_read_b128 v[42:45], v25 offset:16
	ds_read_b128 v[4:7], v25 offset:32
	;; [unrolled: 1-line block ×3, first 2 shown]
	s_add_u32 s2, s2, 8
	s_waitcnt lgkmcnt(3)
	v_mul_f32_e32 v16, v39, v35
	v_mul_f32_e32 v27, v38, v35
	v_fma_f32 v16, v38, v34, -v16
	v_fmac_f32_e32 v27, v39, v34
	v_add_f32_e32 v16, v30, v16
	v_add_f32_e32 v50, v32, v27
	ds_read_b128 v[30:33], v25 offset:1024
	v_mul_f32_e32 v27, v39, v37
	v_mul_f32_e32 v29, v38, v37
	v_fma_f32 v27, v38, v36, -v27
	v_fmac_f32_e32 v29, v39, v36
	v_add_f32_e32 v38, v26, v27
	v_add_f32_e32 v39, v28, v29
	ds_read_b128 v[26:29], v25 offset:1040
	s_waitcnt lgkmcnt(1)
	v_mul_f32_e32 v46, v31, v35
	v_fma_f32 v46, v30, v34, -v46
	v_add_f32_e32 v22, v22, v46
	ds_read2_b64 v[46:49], v23 offset0:32 offset1:48
	v_mul_f32_e32 v35, v30, v35
	v_fmac_f32_e32 v35, v31, v34
	v_mul_f32_e32 v34, v31, v37
	v_fma_f32 v34, v30, v36, -v34
	v_mul_f32_e32 v30, v30, v37
	v_fmac_f32_e32 v30, v31, v36
	v_add_f32_e32 v20, v20, v30
	s_waitcnt lgkmcnt(0)
	v_mul_f32_e32 v30, v41, v47
	v_mul_f32_e32 v31, v40, v47
	v_fma_f32 v30, v40, v46, -v30
	v_fmac_f32_e32 v31, v41, v46
	v_add_f32_e32 v18, v18, v34
	v_add_f32_e32 v16, v16, v30
	;; [unrolled: 1-line block ×3, first 2 shown]
	v_mul_f32_e32 v31, v41, v49
	v_mul_f32_e32 v34, v40, v49
	v_fma_f32 v31, v40, v48, -v31
	v_fmac_f32_e32 v34, v41, v48
	v_add_f32_e32 v31, v38, v31
	v_add_f32_e32 v38, v39, v34
	v_mul_f32_e32 v34, v33, v47
	v_add_f32_e32 v24, v24, v35
	v_fma_f32 v34, v32, v46, -v34
	v_mul_f32_e32 v35, v32, v47
	v_fmac_f32_e32 v35, v33, v46
	v_add_f32_e32 v22, v22, v34
	v_mul_f32_e32 v34, v33, v49
	v_add_f32_e32 v24, v24, v35
	v_fma_f32 v39, v32, v48, -v34
	ds_read2_b64 v[34:37], v23 offset0:64 offset1:80
	v_mul_f32_e32 v32, v32, v49
	v_fmac_f32_e32 v32, v33, v48
	v_add_f32_e32 v18, v18, v39
	v_add_f32_e32 v20, v20, v32
	s_waitcnt lgkmcnt(0)
	v_mul_f32_e32 v33, v42, v35
	v_fmac_f32_e32 v33, v43, v34
	v_add_f32_e32 v39, v30, v33
	v_mul_f32_e32 v30, v43, v37
	v_mul_f32_e32 v32, v43, v35
	v_fma_f32 v30, v42, v36, -v30
	v_fma_f32 v32, v42, v34, -v32
	v_add_f32_e32 v40, v31, v30
	v_mul_f32_e32 v30, v27, v35
	v_add_f32_e32 v16, v16, v32
	v_mul_f32_e32 v32, v42, v37
	v_fma_f32 v30, v26, v34, -v30
	v_mul_f32_e32 v31, v26, v35
	v_fmac_f32_e32 v32, v43, v36
	v_fmac_f32_e32 v31, v27, v34
	v_add_f32_e32 v22, v22, v30
	v_mul_f32_e32 v30, v27, v37
	v_add_f32_e32 v38, v38, v32
	v_add_f32_e32 v24, v24, v31
	v_fma_f32 v34, v26, v36, -v30
	ds_read2_b64 v[30:33], v23 offset0:96 offset1:112
	v_mul_f32_e32 v26, v26, v37
	v_fmac_f32_e32 v26, v27, v36
	v_add_f32_e32 v20, v20, v26
	v_add_f32_e32 v18, v18, v34
	s_waitcnt lgkmcnt(0)
	v_mul_f32_e32 v26, v45, v31
	v_mul_f32_e32 v27, v44, v31
	v_fma_f32 v26, v44, v30, -v26
	v_fmac_f32_e32 v27, v45, v30
	v_add_f32_e32 v16, v16, v26
	v_add_f32_e32 v26, v39, v27
	v_mul_f32_e32 v27, v45, v33
	v_mul_f32_e32 v34, v44, v33
	v_fma_f32 v27, v44, v32, -v27
	v_fmac_f32_e32 v34, v45, v32
	v_add_f32_e32 v39, v40, v27
	v_add_f32_e32 v38, v38, v34
	v_mul_f32_e32 v27, v29, v31
	ds_read2_b64 v[34:37], v23 offset0:128 offset1:144
	v_fma_f32 v27, v28, v30, -v27
	v_add_f32_e32 v22, v22, v27
	v_mul_f32_e32 v27, v29, v33
	v_mul_f32_e32 v31, v28, v31
	v_fma_f32 v27, v28, v32, -v27
	v_mul_f32_e32 v28, v28, v33
	v_fmac_f32_e32 v28, v29, v32
	v_add_f32_e32 v20, v20, v28
	s_waitcnt lgkmcnt(0)
	v_mul_f32_e32 v28, v4, v35
	v_add_f32_e32 v18, v18, v27
	v_mul_f32_e32 v27, v5, v35
	v_fmac_f32_e32 v28, v5, v34
	v_fma_f32 v27, v4, v34, -v27
	v_add_f32_e32 v42, v26, v28
	v_mul_f32_e32 v26, v5, v37
	v_fmac_f32_e32 v31, v29, v30
	v_add_f32_e32 v16, v16, v27
	v_fma_f32 v30, v4, v36, -v26
	ds_read_b128 v[26:29], v25 offset:1056
	v_mul_f32_e32 v4, v4, v37
	v_fmac_f32_e32 v4, v5, v36
	v_add_f32_e32 v5, v39, v30
	v_add_f32_e32 v4, v38, v4
	ds_read_b128 v[38:41], v25 offset:1072
	s_waitcnt lgkmcnt(1)
	v_mul_f32_e32 v30, v27, v35
	v_add_f32_e32 v24, v24, v31
	v_fma_f32 v30, v26, v34, -v30
	v_mul_f32_e32 v31, v26, v35
	v_fmac_f32_e32 v31, v27, v34
	v_add_f32_e32 v22, v22, v30
	v_mul_f32_e32 v30, v27, v37
	v_add_f32_e32 v24, v24, v31
	v_fma_f32 v34, v26, v36, -v30
	ds_read2_b64 v[30:33], v23 offset0:160 offset1:176
	v_mul_f32_e32 v26, v26, v37
	v_fmac_f32_e32 v26, v27, v36
	v_add_f32_e32 v20, v20, v26
	v_add_f32_e32 v18, v18, v34
	s_waitcnt lgkmcnt(0)
	v_mul_f32_e32 v26, v7, v31
	v_mul_f32_e32 v27, v6, v31
	v_fma_f32 v26, v6, v30, -v26
	v_fmac_f32_e32 v27, v7, v30
	v_add_f32_e32 v16, v16, v26
	v_add_f32_e32 v26, v42, v27
	v_mul_f32_e32 v27, v7, v33
	v_fma_f32 v27, v6, v32, -v27
	v_mul_f32_e32 v6, v6, v33
	v_fmac_f32_e32 v6, v7, v32
	v_add_f32_e32 v34, v4, v6
	v_mul_f32_e32 v4, v29, v31
	v_add_f32_e32 v27, v5, v27
	v_fma_f32 v4, v28, v30, -v4
	v_mul_f32_e32 v5, v28, v31
	v_fmac_f32_e32 v5, v29, v30
	v_add_f32_e32 v22, v22, v4
	v_mul_f32_e32 v4, v29, v33
	v_add_f32_e32 v24, v24, v5
	v_fma_f32 v30, v28, v32, -v4
	ds_read2_b64 v[4:7], v23 offset0:192 offset1:208
	v_mul_f32_e32 v28, v28, v33
	v_fmac_f32_e32 v28, v29, v32
	v_add_f32_e32 v20, v20, v28
	v_add_f32_e32 v18, v18, v30
	s_waitcnt lgkmcnt(0)
	v_mul_f32_e32 v28, v1, v5
	v_fma_f32 v28, v0, v4, -v28
	v_add_f32_e32 v16, v16, v28
	v_mul_f32_e32 v28, v1, v7
	v_mul_f32_e32 v29, v0, v5
	v_fma_f32 v28, v0, v6, -v28
	v_mul_f32_e32 v0, v0, v7
	v_fmac_f32_e32 v0, v1, v6
	v_add_f32_e32 v0, v34, v0
	ds_read2_b64 v[34:37], v23 offset0:224 offset1:240
	v_fmac_f32_e32 v29, v1, v4
	v_add_f32_e32 v1, v27, v28
	v_mul_f32_e32 v27, v39, v5
	v_fma_f32 v27, v38, v4, -v27
	v_mul_f32_e32 v5, v38, v5
	v_fmac_f32_e32 v5, v39, v4
	v_add_f32_e32 v4, v22, v27
	v_mul_f32_e32 v22, v39, v7
	v_fma_f32 v22, v38, v6, -v22
	v_mul_f32_e32 v7, v38, v7
	v_fmac_f32_e32 v7, v39, v6
	v_add_f32_e32 v6, v18, v22
	s_waitcnt lgkmcnt(0)
	v_mul_f32_e32 v18, v3, v35
	v_fma_f32 v18, v2, v34, -v18
	v_add_f32_e32 v30, v16, v18
	v_mul_f32_e32 v16, v3, v37
	v_add_f32_e32 v7, v20, v7
	v_mul_f32_e32 v20, v2, v35
	v_fma_f32 v16, v2, v36, -v16
	v_mul_f32_e32 v2, v2, v37
	v_add_f32_e32 v26, v26, v29
	v_fmac_f32_e32 v20, v3, v34
	v_fmac_f32_e32 v2, v3, v36
	v_add_f32_e32 v32, v26, v20
	v_add_f32_e32 v26, v1, v16
	;; [unrolled: 1-line block ×3, first 2 shown]
	v_mul_f32_e32 v0, v41, v35
	v_mul_f32_e32 v1, v40, v35
	v_add_f32_e32 v5, v24, v5
	v_fma_f32 v0, v40, v34, -v0
	v_fmac_f32_e32 v1, v41, v34
	v_add_f32_e32 v22, v4, v0
	v_add_f32_e32 v24, v5, v1
	v_mul_f32_e32 v0, v41, v37
	v_mul_f32_e32 v1, v40, v37
	v_fma_f32 v0, v40, v36, -v0
	v_fmac_f32_e32 v1, v41, v36
	s_addc_u32 s3, s3, 0
	v_add_f32_e32 v18, v6, v0
	v_add_f32_e32 v20, v7, v1
	v_mov_b64_e32 v[0:1], s[2:3]
	v_cmp_gt_i64_e32 vcc, s[8:9], v[0:1]
	s_barrier
	s_cbranch_vccz .LBB227_16
.LBB227_8:                              ; =>This Inner Loop Header: Depth=1
	v_mov_b32_e32 v0, 0
	v_mov_b32_e32 v1, 0
	s_and_saveexec_b64 s[16:17], s[0:1]
	s_cbranch_execz .LBB227_12
; %bb.9:                                ;   in Loop: Header=BB227_8 Depth=1
	v_add_u32_e32 v16, s2, v10
	v_cmp_gt_u64_e32 vcc, s[8:9], v[16:17]
	v_mov_b32_e32 v1, 0
	v_mov_b32_e32 v0, 0
	s_and_saveexec_b64 s[18:19], vcc
	s_cbranch_execz .LBB227_11
; %bb.10:                               ;   in Loop: Header=BB227_8 Depth=1
	v_mad_u64_u32 v[0:1], s[22:23], s14, v16, 0
	v_mov_b32_e32 v2, v1
	v_mad_u64_u32 v[2:3], s[22:23], s15, v16, v[2:3]
	v_mov_b32_e32 v1, v2
	v_lshl_add_u64 v[0:1], v[0:1], 3, v[12:13]
	global_load_dwordx2 v[0:1], v[0:1], off
.LBB227_11:                             ;   in Loop: Header=BB227_8 Depth=1
	s_or_b64 exec, exec, s[18:19]
.LBB227_12:                             ;   in Loop: Header=BB227_8 Depth=1
	s_or_b64 exec, exec, s[16:17]
	v_add_u32_e32 v16, s2, v8
	v_cmp_le_u64_e32 vcc, s[8:9], v[16:17]
	s_or_b64 s[16:17], vcc, s[12:13]
	s_waitcnt vmcnt(0)
	ds_write_b64 v19, v[0:1]
	s_and_saveexec_b64 s[18:19], s[16:17]
	s_xor_b64 s[16:17], exec, s[18:19]
; %bb.13:                               ;   in Loop: Header=BB227_8 Depth=1
	ds_write_b32 v21, v17
; %bb.14:                               ;   in Loop: Header=BB227_8 Depth=1
	s_or_saveexec_b64 s[16:17], s[16:17]
	v_mov_b32_e32 v0, 0
	s_xor_b64 exec, exec, s[16:17]
	s_cbranch_execz .LBB227_7
; %bb.15:                               ;   in Loop: Header=BB227_8 Depth=1
	v_mad_u64_u32 v[0:1], s[18:19], s20, v16, 0
	v_mov_b32_e32 v2, v1
	v_mad_u64_u32 v[2:3], s[18:19], s21, v16, v[2:3]
	v_mov_b32_e32 v1, v2
	v_lshl_add_u64 v[0:1], v[0:1], 3, v[14:15]
	global_load_dwordx2 v[2:3], v[0:1], off
	s_waitcnt vmcnt(0)
	v_xor_b32_e32 v0, 0x80000000, v3
	ds_write_b32 v21, v2
	s_branch .LBB227_7
.LBB227_16:
	s_mul_i32 s0, s31, s4
	s_mul_hi_u32 s1, s30, s4
	s_add_i32 s1, s1, s0
	s_mul_i32 s0, s30, s4
	s_lshl_b64 s[0:1], s[0:1], 3
	v_add_u32_e32 v10, s25, v11
	s_add_u32 s8, s26, s0
	v_ashrrev_i32_e32 v1, 31, v10
	s_addc_u32 s9, s27, s1
	v_add_u32_e32 v0, s5, v9
	v_cmp_neq_f32_e64 s[0:1], s6, 0
	s_xor_b64 s[4:5], s[10:11], -1
	v_mul_lo_u32 v1, s28, v1
	v_mul_lo_u32 v4, s29, v10
	v_mad_u64_u32 v[2:3], s[2:3], s28, v10, 0
	v_add3_u32 v3, v3, v1, v4
	s_or_b64 s[0:1], s[0:1], s[4:5]
	v_lshl_add_u64 v[4:5], v[2:3], 3, s[8:9]
	v_cmp_le_i32_e32 vcc, v10, v0
	s_waitcnt lgkmcnt(0)
	v_cmp_gt_i32_e64 s[2:3], s24, v0
	v_cndmask_b32_e64 v2, 0, 1, s[0:1]
	s_and_b64 s[10:11], vcc, s[2:3]
	v_ashrrev_i32_e32 v1, 31, v0
	v_cmp_ne_u32_e64 s[0:1], 1, v2
	s_and_saveexec_b64 s[4:5], s[10:11]
	s_cbranch_execz .LBB227_20
; %bb.17:
	v_pk_mul_f32 v[6:7], v[32:33], s[34:35] op_sel:[0,1] op_sel_hi:[0,0]
	v_pk_fma_f32 v[2:3], v[30:31], s[34:35], v[6:7] op_sel_hi:[0,1,1] neg_lo:[0,0,1] neg_hi:[0,0,1]
	v_pk_fma_f32 v[8:9], v[30:31], s[34:35], v[6:7] op_sel_hi:[0,1,1]
	s_and_b64 vcc, exec, s[0:1]
	v_lshl_add_u64 v[6:7], v[0:1], 3, v[4:5]
	s_cbranch_vccnz .LBB227_19
; %bb.18:
	global_load_dwordx2 v[12:13], v[6:7], off
	s_mov_b32 s10, s7
	v_mov_b32_e32 v3, v9
	s_waitcnt vmcnt(0)
	v_pk_mul_f32 v[8:9], v[12:13], s[10:11] op_sel:[1,0] op_sel_hi:[0,0]
	v_pk_fma_f32 v[14:15], v[12:13], s[6:7], v[8:9] neg_lo:[0,0,1] neg_hi:[0,0,1]
	v_pk_fma_f32 v[8:9], v[12:13], s[6:7], v[8:9] op_sel_hi:[1,0,1]
	s_nop 0
	v_mov_b32_e32 v15, v9
	v_pk_add_f32 v[2:3], v[2:3], v[14:15]
	s_nop 0
	v_mov_b32_e32 v9, v3
.LBB227_19:
	v_mov_b32_e32 v3, v9
	global_store_dwordx2 v[6:7], v[2:3], off
.LBB227_20:
	s_or_b64 exec, exec, s[4:5]
	v_add_u32_e32 v2, 16, v0
	v_cmp_le_i32_e32 vcc, v10, v2
	v_cmp_gt_i32_e64 s[4:5], s24, v2
	s_and_b64 s[12:13], vcc, s[4:5]
	v_ashrrev_i32_e32 v3, 31, v2
	s_and_saveexec_b64 s[10:11], s[12:13]
	s_cbranch_execz .LBB227_24
; %bb.21:
	v_pk_mul_f32 v[8:9], v[28:29], s[34:35] op_sel:[0,1] op_sel_hi:[0,0]
	v_pk_fma_f32 v[6:7], v[26:27], s[34:35], v[8:9] op_sel_hi:[0,1,1] neg_lo:[0,0,1] neg_hi:[0,0,1]
	v_pk_fma_f32 v[8:9], v[26:27], s[34:35], v[8:9] op_sel_hi:[0,1,1]
	s_and_b64 vcc, exec, s[0:1]
	v_lshl_add_u64 v[4:5], v[2:3], 3, v[4:5]
	s_cbranch_vccnz .LBB227_23
; %bb.22:
	global_load_dwordx2 v[12:13], v[4:5], off
	s_mov_b32 s12, s7
	v_mov_b32_e32 v7, v9
	s_waitcnt vmcnt(0)
	v_pk_mul_f32 v[8:9], v[12:13], s[12:13] op_sel:[1,0] op_sel_hi:[0,0]
	v_pk_fma_f32 v[14:15], v[12:13], s[6:7], v[8:9] neg_lo:[0,0,1] neg_hi:[0,0,1]
	v_pk_fma_f32 v[8:9], v[12:13], s[6:7], v[8:9] op_sel_hi:[1,0,1]
	s_nop 0
	v_mov_b32_e32 v15, v9
	v_pk_add_f32 v[6:7], v[6:7], v[14:15]
	s_nop 0
	v_mov_b32_e32 v9, v7
.LBB227_23:
	v_mov_b32_e32 v7, v9
	global_store_dwordx2 v[4:5], v[6:7], off
.LBB227_24:
	s_or_b64 exec, exec, s[10:11]
	v_add_u32_e32 v10, 16, v10
	v_ashrrev_i32_e32 v4, 31, v10
	v_mul_lo_u32 v6, s28, v4
	v_mul_lo_u32 v7, s29, v10
	v_mad_u64_u32 v[4:5], s[10:11], s28, v10, 0
	v_add3_u32 v5, v5, v6, v7
	v_cmp_le_i32_e32 vcc, v10, v0
	v_lshl_add_u64 v[4:5], v[4:5], 3, s[8:9]
	s_and_b64 s[8:9], vcc, s[2:3]
	s_and_saveexec_b64 s[2:3], s[8:9]
	s_cbranch_execz .LBB227_28
; %bb.25:
	v_pk_mul_f32 v[8:9], v[24:25], s[34:35] op_sel:[0,1] op_sel_hi:[0,0]
	v_pk_fma_f32 v[6:7], v[22:23], s[34:35], v[8:9] op_sel_hi:[0,1,1] neg_lo:[0,0,1] neg_hi:[0,0,1]
	v_pk_fma_f32 v[8:9], v[22:23], s[34:35], v[8:9] op_sel_hi:[0,1,1]
	s_and_b64 vcc, exec, s[0:1]
	v_lshl_add_u64 v[0:1], v[0:1], 3, v[4:5]
	s_cbranch_vccnz .LBB227_27
; %bb.26:
	global_load_dwordx2 v[12:13], v[0:1], off
	s_mov_b32 s8, s7
	v_mov_b32_e32 v7, v9
	s_waitcnt vmcnt(0)
	v_pk_mul_f32 v[8:9], v[12:13], s[8:9] op_sel:[1,0] op_sel_hi:[0,0]
	v_pk_fma_f32 v[14:15], v[12:13], s[6:7], v[8:9] neg_lo:[0,0,1] neg_hi:[0,0,1]
	v_pk_fma_f32 v[8:9], v[12:13], s[6:7], v[8:9] op_sel_hi:[1,0,1]
	s_nop 0
	v_mov_b32_e32 v15, v9
	v_pk_add_f32 v[6:7], v[6:7], v[14:15]
	s_nop 0
	v_mov_b32_e32 v9, v7
.LBB227_27:
	v_mov_b32_e32 v7, v9
	global_store_dwordx2 v[0:1], v[6:7], off
.LBB227_28:
	s_or_b64 exec, exec, s[2:3]
	v_cmp_le_i32_e32 vcc, v10, v2
	s_and_b64 s[2:3], vcc, s[4:5]
	s_and_saveexec_b64 s[4:5], s[2:3]
	s_cbranch_execz .LBB227_32
; %bb.29:
	v_pk_mul_f32 v[6:7], v[20:21], s[34:35] op_sel:[0,1] op_sel_hi:[0,0]
	v_pk_fma_f32 v[0:1], v[18:19], s[34:35], v[6:7] op_sel_hi:[0,1,1] neg_lo:[0,0,1] neg_hi:[0,0,1]
	v_pk_fma_f32 v[6:7], v[18:19], s[34:35], v[6:7] op_sel_hi:[0,1,1]
	s_and_b64 vcc, exec, s[0:1]
	v_lshl_add_u64 v[2:3], v[2:3], 3, v[4:5]
	s_cbranch_vccnz .LBB227_31
; %bb.30:
	global_load_dwordx2 v[4:5], v[2:3], off
	s_mov_b32 s0, s7
	v_mov_b32_e32 v1, v7
	s_waitcnt vmcnt(0)
	v_pk_mul_f32 v[6:7], v[4:5], s[0:1] op_sel:[1,0] op_sel_hi:[0,0]
	v_pk_fma_f32 v[8:9], v[4:5], s[6:7], v[6:7] neg_lo:[0,0,1] neg_hi:[0,0,1]
	v_pk_fma_f32 v[4:5], v[4:5], s[6:7], v[6:7] op_sel_hi:[1,0,1]
	s_nop 0
	v_mov_b32_e32 v9, v5
	v_pk_add_f32 v[0:1], v[0:1], v[8:9]
	s_nop 0
	v_mov_b32_e32 v7, v1
.LBB227_31:
	v_mov_b32_e32 v1, v7
	global_store_dwordx2 v[2:3], v[0:1], off
.LBB227_32:
	s_endpgm
	.section	.rodata,"a",@progbits
	.p2align	6, 0x0
	.amdhsa_kernel _ZL29rocblas_internal_gemmt_kernelIlLi16ELi32ELi8ELc78ELc67ELc76ELb0ELb1E19rocblas_complex_numIfEPKS1_S3_PS1_EviT_T9_T10_S5_lS7_S5_lS6_T11_S5_li
		.amdhsa_group_segment_fixed_size 4096
		.amdhsa_private_segment_fixed_size 0
		.amdhsa_kernarg_size 108
		.amdhsa_user_sgpr_count 2
		.amdhsa_user_sgpr_dispatch_ptr 0
		.amdhsa_user_sgpr_queue_ptr 0
		.amdhsa_user_sgpr_kernarg_segment_ptr 1
		.amdhsa_user_sgpr_dispatch_id 0
		.amdhsa_user_sgpr_kernarg_preload_length 0
		.amdhsa_user_sgpr_kernarg_preload_offset 0
		.amdhsa_user_sgpr_private_segment_size 0
		.amdhsa_uses_dynamic_stack 0
		.amdhsa_enable_private_segment 0
		.amdhsa_system_sgpr_workgroup_id_x 1
		.amdhsa_system_sgpr_workgroup_id_y 1
		.amdhsa_system_sgpr_workgroup_id_z 1
		.amdhsa_system_sgpr_workgroup_info 0
		.amdhsa_system_vgpr_workitem_id 1
		.amdhsa_next_free_vgpr 51
		.amdhsa_next_free_sgpr 40
		.amdhsa_accum_offset 52
		.amdhsa_reserve_vcc 1
		.amdhsa_float_round_mode_32 0
		.amdhsa_float_round_mode_16_64 0
		.amdhsa_float_denorm_mode_32 3
		.amdhsa_float_denorm_mode_16_64 3
		.amdhsa_dx10_clamp 1
		.amdhsa_ieee_mode 1
		.amdhsa_fp16_overflow 0
		.amdhsa_tg_split 0
		.amdhsa_exception_fp_ieee_invalid_op 0
		.amdhsa_exception_fp_denorm_src 0
		.amdhsa_exception_fp_ieee_div_zero 0
		.amdhsa_exception_fp_ieee_overflow 0
		.amdhsa_exception_fp_ieee_underflow 0
		.amdhsa_exception_fp_ieee_inexact 0
		.amdhsa_exception_int_div_zero 0
	.end_amdhsa_kernel
	.section	.text._ZL29rocblas_internal_gemmt_kernelIlLi16ELi32ELi8ELc78ELc67ELc76ELb0ELb1E19rocblas_complex_numIfEPKS1_S3_PS1_EviT_T9_T10_S5_lS7_S5_lS6_T11_S5_li,"axG",@progbits,_ZL29rocblas_internal_gemmt_kernelIlLi16ELi32ELi8ELc78ELc67ELc76ELb0ELb1E19rocblas_complex_numIfEPKS1_S3_PS1_EviT_T9_T10_S5_lS7_S5_lS6_T11_S5_li,comdat
.Lfunc_end227:
	.size	_ZL29rocblas_internal_gemmt_kernelIlLi16ELi32ELi8ELc78ELc67ELc76ELb0ELb1E19rocblas_complex_numIfEPKS1_S3_PS1_EviT_T9_T10_S5_lS7_S5_lS6_T11_S5_li, .Lfunc_end227-_ZL29rocblas_internal_gemmt_kernelIlLi16ELi32ELi8ELc78ELc67ELc76ELb0ELb1E19rocblas_complex_numIfEPKS1_S3_PS1_EviT_T9_T10_S5_lS7_S5_lS6_T11_S5_li
                                        ; -- End function
	.set _ZL29rocblas_internal_gemmt_kernelIlLi16ELi32ELi8ELc78ELc67ELc76ELb0ELb1E19rocblas_complex_numIfEPKS1_S3_PS1_EviT_T9_T10_S5_lS7_S5_lS6_T11_S5_li.num_vgpr, 51
	.set _ZL29rocblas_internal_gemmt_kernelIlLi16ELi32ELi8ELc78ELc67ELc76ELb0ELb1E19rocblas_complex_numIfEPKS1_S3_PS1_EviT_T9_T10_S5_lS7_S5_lS6_T11_S5_li.num_agpr, 0
	.set _ZL29rocblas_internal_gemmt_kernelIlLi16ELi32ELi8ELc78ELc67ELc76ELb0ELb1E19rocblas_complex_numIfEPKS1_S3_PS1_EviT_T9_T10_S5_lS7_S5_lS6_T11_S5_li.numbered_sgpr, 40
	.set _ZL29rocblas_internal_gemmt_kernelIlLi16ELi32ELi8ELc78ELc67ELc76ELb0ELb1E19rocblas_complex_numIfEPKS1_S3_PS1_EviT_T9_T10_S5_lS7_S5_lS6_T11_S5_li.num_named_barrier, 0
	.set _ZL29rocblas_internal_gemmt_kernelIlLi16ELi32ELi8ELc78ELc67ELc76ELb0ELb1E19rocblas_complex_numIfEPKS1_S3_PS1_EviT_T9_T10_S5_lS7_S5_lS6_T11_S5_li.private_seg_size, 0
	.set _ZL29rocblas_internal_gemmt_kernelIlLi16ELi32ELi8ELc78ELc67ELc76ELb0ELb1E19rocblas_complex_numIfEPKS1_S3_PS1_EviT_T9_T10_S5_lS7_S5_lS6_T11_S5_li.uses_vcc, 1
	.set _ZL29rocblas_internal_gemmt_kernelIlLi16ELi32ELi8ELc78ELc67ELc76ELb0ELb1E19rocblas_complex_numIfEPKS1_S3_PS1_EviT_T9_T10_S5_lS7_S5_lS6_T11_S5_li.uses_flat_scratch, 0
	.set _ZL29rocblas_internal_gemmt_kernelIlLi16ELi32ELi8ELc78ELc67ELc76ELb0ELb1E19rocblas_complex_numIfEPKS1_S3_PS1_EviT_T9_T10_S5_lS7_S5_lS6_T11_S5_li.has_dyn_sized_stack, 0
	.set _ZL29rocblas_internal_gemmt_kernelIlLi16ELi32ELi8ELc78ELc67ELc76ELb0ELb1E19rocblas_complex_numIfEPKS1_S3_PS1_EviT_T9_T10_S5_lS7_S5_lS6_T11_S5_li.has_recursion, 0
	.set _ZL29rocblas_internal_gemmt_kernelIlLi16ELi32ELi8ELc78ELc67ELc76ELb0ELb1E19rocblas_complex_numIfEPKS1_S3_PS1_EviT_T9_T10_S5_lS7_S5_lS6_T11_S5_li.has_indirect_call, 0
	.section	.AMDGPU.csdata,"",@progbits
; Kernel info:
; codeLenInByte = 2532
; TotalNumSgprs: 46
; NumVgprs: 51
; NumAgprs: 0
; TotalNumVgprs: 51
; ScratchSize: 0
; MemoryBound: 0
; FloatMode: 240
; IeeeMode: 1
; LDSByteSize: 4096 bytes/workgroup (compile time only)
; SGPRBlocks: 5
; VGPRBlocks: 6
; NumSGPRsForWavesPerEU: 46
; NumVGPRsForWavesPerEU: 51
; AccumOffset: 52
; Occupancy: 8
; WaveLimiterHint : 0
; COMPUTE_PGM_RSRC2:SCRATCH_EN: 0
; COMPUTE_PGM_RSRC2:USER_SGPR: 2
; COMPUTE_PGM_RSRC2:TRAP_HANDLER: 0
; COMPUTE_PGM_RSRC2:TGID_X_EN: 1
; COMPUTE_PGM_RSRC2:TGID_Y_EN: 1
; COMPUTE_PGM_RSRC2:TGID_Z_EN: 1
; COMPUTE_PGM_RSRC2:TIDIG_COMP_CNT: 1
; COMPUTE_PGM_RSRC3_GFX90A:ACCUM_OFFSET: 12
; COMPUTE_PGM_RSRC3_GFX90A:TG_SPLIT: 0
	.section	.text._ZL29rocblas_internal_gemmt_kernelIlLi16ELi32ELi8ELc84ELc78ELc76ELb0ELb0E19rocblas_complex_numIfEPKS1_S3_PS1_EviT_T9_T10_S5_lS7_S5_lS6_T11_S5_li,"axG",@progbits,_ZL29rocblas_internal_gemmt_kernelIlLi16ELi32ELi8ELc84ELc78ELc76ELb0ELb0E19rocblas_complex_numIfEPKS1_S3_PS1_EviT_T9_T10_S5_lS7_S5_lS6_T11_S5_li,comdat
	.globl	_ZL29rocblas_internal_gemmt_kernelIlLi16ELi32ELi8ELc84ELc78ELc76ELb0ELb0E19rocblas_complex_numIfEPKS1_S3_PS1_EviT_T9_T10_S5_lS7_S5_lS6_T11_S5_li ; -- Begin function _ZL29rocblas_internal_gemmt_kernelIlLi16ELi32ELi8ELc84ELc78ELc76ELb0ELb0E19rocblas_complex_numIfEPKS1_S3_PS1_EviT_T9_T10_S5_lS7_S5_lS6_T11_S5_li
	.p2align	8
	.type	_ZL29rocblas_internal_gemmt_kernelIlLi16ELi32ELi8ELc84ELc78ELc76ELb0ELb0E19rocblas_complex_numIfEPKS1_S3_PS1_EviT_T9_T10_S5_lS7_S5_lS6_T11_S5_li,@function
_ZL29rocblas_internal_gemmt_kernelIlLi16ELi32ELi8ELc84ELc78ELc76ELb0ELb0E19rocblas_complex_numIfEPKS1_S3_PS1_EviT_T9_T10_S5_lS7_S5_lS6_T11_S5_li: ; @_ZL29rocblas_internal_gemmt_kernelIlLi16ELi32ELi8ELc84ELc78ELc76ELb0ELb0E19rocblas_complex_numIfEPKS1_S3_PS1_EviT_T9_T10_S5_lS7_S5_lS6_T11_S5_li
; %bb.0:
	s_load_dwordx8 s[24:31], s[0:1], 0x48
	s_load_dwordx16 s[8:23], s[0:1], 0x8
	s_waitcnt lgkmcnt(0)
	s_load_dwordx2 s[6:7], s[24:25], 0x0
	s_load_dwordx2 s[34:35], s[10:11], 0x0
	s_waitcnt lgkmcnt(0)
	s_and_b32 s5, s7, 0x7fffffff
	s_cmp_eq_u32 s5, 0
	v_cmp_eq_f32_e64 s[24:25], s6, 1.0
	s_cselect_b64 s[10:11], -1, 0
	s_and_b64 s[24:25], s[24:25], s[10:11]
	s_and_b64 vcc, exec, s[24:25]
	s_cbranch_vccnz .LBB228_2
; %bb.1:
	s_mov_b64 s[24:25], -1
	s_cbranch_execz .LBB228_3
	s_branch .LBB228_4
.LBB228_2:
	s_mov_b64 s[24:25], 0
.LBB228_3:
	s_cmp_lg_u64 s[8:9], 0
	v_cmp_neq_f32_e64 s[36:37], s34, 0
	v_cmp_neq_f32_e64 s[38:39], s35, 0
	s_cselect_b64 s[24:25], -1, 0
	s_or_b64 s[36:37], s[36:37], s[38:39]
	s_and_b64 s[24:25], s[24:25], s[36:37]
.LBB228_4:
	s_andn2_b64 vcc, exec, s[24:25]
	s_cbranch_vccnz .LBB228_30
; %bb.5:
	s_load_dword s24, s[0:1], 0x0
	s_lshl_b32 s5, s2, 5
	s_lshl_b32 s25, s3, 5
	v_cmp_eq_f32_e64 s[0:1], s34, 0
	v_cmp_eq_f32_e64 s[2:3], s35, 0
	s_and_b64 s[0:1], s[0:1], s[2:3]
	v_cmp_lt_i64_e64 s[2:3], s[8:9], 1
	s_or_b64 s[0:1], s[0:1], s[2:3]
	v_and_b32_e32 v9, 0x3ff, v0
	v_bfe_u32 v11, v0, 10, 10
	v_mov_b32_e32 v30, 0
	s_and_b64 vcc, exec, s[0:1]
	v_mov_b32_e32 v32, 0
	v_mov_b32_e32 v26, 0
	;; [unrolled: 1-line block ×7, first 2 shown]
	s_cbranch_vccnz .LBB228_14
; %bb.6:
	s_mul_i32 s0, s23, s4
	s_mul_hi_u32 s1, s22, s4
	s_add_i32 s1, s1, s0
	s_mul_i32 s0, s22, s4
	s_lshl_b64 s[0:1], s[0:1], 3
	s_add_u32 s18, s18, s0
	s_addc_u32 s19, s19, s1
	s_mul_i32 s0, s17, s4
	s_mul_hi_u32 s1, s16, s4
	v_lshl_add_u32 v0, v11, 4, v9
	s_add_i32 s1, s1, s0
	s_mul_i32 s0, s16, s4
	v_lshrrev_b32_e32 v10, 5, v0
	v_lshrrev_b32_e32 v2, 3, v0
	v_and_b32_e32 v0, 31, v0
	s_lshl_b64 s[0:1], s[0:1], 3
	v_or_b32_e32 v1, s5, v0
	s_add_u32 s2, s12, s0
	v_lshlrev_b32_e32 v0, 3, v0
	s_addc_u32 s3, s13, s1
	s_waitcnt lgkmcnt(0)
	v_cmp_gt_i32_e64 s[0:1], s24, v1
	v_lshl_or_b32 v19, v10, 8, v0
	s_ashr_i32 s16, s5, 31
	v_mul_lo_u32 v4, s15, v1
	v_mad_u64_u32 v[0:1], s[12:13], s14, v1, 0
	s_mul_i32 s12, s14, s16
	v_and_b32_e32 v8, 7, v9
	v_add3_u32 v1, v1, s12, v4
	v_lshl_add_u64 v[12:13], v[0:1], 3, s[2:3]
	v_lshlrev_b32_e32 v0, 3, v8
	v_add_u32_e32 v3, s25, v2
	v_lshl_or_b32 v0, v2, 6, v0
	v_add_u32_e32 v21, 0x800, v0
	v_ashrrev_i32_e32 v0, 31, v3
	v_mul_lo_u32 v2, s20, v0
	v_mul_lo_u32 v4, s21, v3
	v_mad_u64_u32 v[0:1], s[12:13], s20, v3, 0
	v_add3_u32 v1, v1, v2, v4
	v_lshl_add_u64 v[14:15], v[0:1], 3, s[18:19]
	v_mov_b32_e32 v0, 0x800
	v_cmp_gt_i32_e64 s[2:3], s24, v3
	v_lshlrev_b32_e32 v23, 3, v9
	v_lshl_add_u32 v25, v11, 6, v0
	v_mov_b32_e32 v17, 0
	s_mov_b64 s[12:13], 0
	v_mov_b32_e32 v20, 0
	v_mov_b32_e32 v18, 0
	;; [unrolled: 1-line block ×8, first 2 shown]
	s_branch .LBB228_8
.LBB228_7:                              ;   in Loop: Header=BB228_8 Depth=1
	s_or_b64 exec, exec, s[14:15]
	s_waitcnt vmcnt(0)
	ds_write_b64 v21, v[0:1]
	s_waitcnt lgkmcnt(0)
	s_barrier
	ds_read2_b64 v[34:37], v23 offset1:16
	ds_read_b128 v[38:41], v25
	ds_read_b128 v[42:45], v25 offset:16
	ds_read_b128 v[4:7], v25 offset:32
	;; [unrolled: 1-line block ×3, first 2 shown]
	s_add_u32 s12, s12, 8
	s_waitcnt lgkmcnt(3)
	v_mul_f32_e32 v16, v39, v35
	v_mul_f32_e32 v27, v38, v35
	v_fma_f32 v16, v38, v34, -v16
	v_fmac_f32_e32 v27, v39, v34
	v_add_f32_e32 v16, v30, v16
	v_add_f32_e32 v50, v32, v27
	ds_read_b128 v[30:33], v25 offset:1024
	v_mul_f32_e32 v27, v39, v37
	v_mul_f32_e32 v29, v38, v37
	v_fma_f32 v27, v38, v36, -v27
	v_fmac_f32_e32 v29, v39, v36
	v_add_f32_e32 v38, v26, v27
	v_add_f32_e32 v39, v28, v29
	ds_read_b128 v[26:29], v25 offset:1040
	s_waitcnt lgkmcnt(1)
	v_mul_f32_e32 v46, v31, v35
	v_fma_f32 v46, v30, v34, -v46
	v_add_f32_e32 v22, v22, v46
	ds_read2_b64 v[46:49], v23 offset0:32 offset1:48
	v_mul_f32_e32 v35, v30, v35
	v_fmac_f32_e32 v35, v31, v34
	v_mul_f32_e32 v34, v31, v37
	v_fma_f32 v34, v30, v36, -v34
	v_mul_f32_e32 v30, v30, v37
	v_fmac_f32_e32 v30, v31, v36
	v_add_f32_e32 v20, v20, v30
	s_waitcnt lgkmcnt(0)
	v_mul_f32_e32 v30, v41, v47
	v_mul_f32_e32 v31, v40, v47
	v_fma_f32 v30, v40, v46, -v30
	v_fmac_f32_e32 v31, v41, v46
	v_add_f32_e32 v18, v18, v34
	v_add_f32_e32 v16, v16, v30
	;; [unrolled: 1-line block ×3, first 2 shown]
	v_mul_f32_e32 v31, v41, v49
	v_mul_f32_e32 v34, v40, v49
	v_fma_f32 v31, v40, v48, -v31
	v_fmac_f32_e32 v34, v41, v48
	v_add_f32_e32 v31, v38, v31
	v_add_f32_e32 v38, v39, v34
	v_mul_f32_e32 v34, v33, v47
	v_add_f32_e32 v24, v24, v35
	v_fma_f32 v34, v32, v46, -v34
	v_mul_f32_e32 v35, v32, v47
	v_fmac_f32_e32 v35, v33, v46
	v_add_f32_e32 v22, v22, v34
	v_mul_f32_e32 v34, v33, v49
	v_add_f32_e32 v24, v24, v35
	v_fma_f32 v39, v32, v48, -v34
	ds_read2_b64 v[34:37], v23 offset0:64 offset1:80
	v_mul_f32_e32 v32, v32, v49
	v_fmac_f32_e32 v32, v33, v48
	v_add_f32_e32 v18, v18, v39
	v_add_f32_e32 v20, v20, v32
	s_waitcnt lgkmcnt(0)
	v_mul_f32_e32 v33, v42, v35
	v_fmac_f32_e32 v33, v43, v34
	v_add_f32_e32 v39, v30, v33
	v_mul_f32_e32 v30, v43, v37
	v_mul_f32_e32 v32, v43, v35
	v_fma_f32 v30, v42, v36, -v30
	v_fma_f32 v32, v42, v34, -v32
	v_add_f32_e32 v40, v31, v30
	v_mul_f32_e32 v30, v27, v35
	v_add_f32_e32 v16, v16, v32
	v_mul_f32_e32 v32, v42, v37
	v_fma_f32 v30, v26, v34, -v30
	v_mul_f32_e32 v31, v26, v35
	v_fmac_f32_e32 v32, v43, v36
	v_fmac_f32_e32 v31, v27, v34
	v_add_f32_e32 v22, v22, v30
	v_mul_f32_e32 v30, v27, v37
	v_add_f32_e32 v38, v38, v32
	v_add_f32_e32 v24, v24, v31
	v_fma_f32 v34, v26, v36, -v30
	ds_read2_b64 v[30:33], v23 offset0:96 offset1:112
	v_mul_f32_e32 v26, v26, v37
	v_fmac_f32_e32 v26, v27, v36
	v_add_f32_e32 v20, v20, v26
	v_add_f32_e32 v18, v18, v34
	s_waitcnt lgkmcnt(0)
	v_mul_f32_e32 v26, v45, v31
	v_mul_f32_e32 v27, v44, v31
	v_fma_f32 v26, v44, v30, -v26
	v_fmac_f32_e32 v27, v45, v30
	v_add_f32_e32 v16, v16, v26
	v_add_f32_e32 v26, v39, v27
	v_mul_f32_e32 v27, v45, v33
	v_mul_f32_e32 v34, v44, v33
	v_fma_f32 v27, v44, v32, -v27
	v_fmac_f32_e32 v34, v45, v32
	v_add_f32_e32 v39, v40, v27
	v_add_f32_e32 v38, v38, v34
	v_mul_f32_e32 v27, v29, v31
	ds_read2_b64 v[34:37], v23 offset0:128 offset1:144
	v_fma_f32 v27, v28, v30, -v27
	v_add_f32_e32 v22, v22, v27
	v_mul_f32_e32 v27, v29, v33
	v_mul_f32_e32 v31, v28, v31
	v_fma_f32 v27, v28, v32, -v27
	v_mul_f32_e32 v28, v28, v33
	v_fmac_f32_e32 v28, v29, v32
	v_add_f32_e32 v20, v20, v28
	s_waitcnt lgkmcnt(0)
	v_mul_f32_e32 v28, v4, v35
	v_add_f32_e32 v18, v18, v27
	v_mul_f32_e32 v27, v5, v35
	v_fmac_f32_e32 v28, v5, v34
	v_fma_f32 v27, v4, v34, -v27
	v_add_f32_e32 v42, v26, v28
	v_mul_f32_e32 v26, v5, v37
	v_fmac_f32_e32 v31, v29, v30
	v_add_f32_e32 v16, v16, v27
	v_fma_f32 v30, v4, v36, -v26
	ds_read_b128 v[26:29], v25 offset:1056
	v_mul_f32_e32 v4, v4, v37
	v_fmac_f32_e32 v4, v5, v36
	v_add_f32_e32 v5, v39, v30
	v_add_f32_e32 v4, v38, v4
	ds_read_b128 v[38:41], v25 offset:1072
	s_waitcnt lgkmcnt(1)
	v_mul_f32_e32 v30, v27, v35
	v_add_f32_e32 v24, v24, v31
	v_fma_f32 v30, v26, v34, -v30
	v_mul_f32_e32 v31, v26, v35
	v_fmac_f32_e32 v31, v27, v34
	v_add_f32_e32 v22, v22, v30
	v_mul_f32_e32 v30, v27, v37
	v_add_f32_e32 v24, v24, v31
	v_fma_f32 v34, v26, v36, -v30
	ds_read2_b64 v[30:33], v23 offset0:160 offset1:176
	v_mul_f32_e32 v26, v26, v37
	v_fmac_f32_e32 v26, v27, v36
	v_add_f32_e32 v20, v20, v26
	v_add_f32_e32 v18, v18, v34
	s_waitcnt lgkmcnt(0)
	v_mul_f32_e32 v26, v7, v31
	v_mul_f32_e32 v27, v6, v31
	v_fma_f32 v26, v6, v30, -v26
	v_fmac_f32_e32 v27, v7, v30
	v_add_f32_e32 v16, v16, v26
	v_add_f32_e32 v26, v42, v27
	v_mul_f32_e32 v27, v7, v33
	v_fma_f32 v27, v6, v32, -v27
	v_mul_f32_e32 v6, v6, v33
	v_fmac_f32_e32 v6, v7, v32
	v_add_f32_e32 v34, v4, v6
	v_mul_f32_e32 v4, v29, v31
	v_add_f32_e32 v27, v5, v27
	v_fma_f32 v4, v28, v30, -v4
	v_mul_f32_e32 v5, v28, v31
	v_fmac_f32_e32 v5, v29, v30
	v_add_f32_e32 v22, v22, v4
	v_mul_f32_e32 v4, v29, v33
	v_add_f32_e32 v24, v24, v5
	v_fma_f32 v30, v28, v32, -v4
	ds_read2_b64 v[4:7], v23 offset0:192 offset1:208
	v_mul_f32_e32 v28, v28, v33
	v_fmac_f32_e32 v28, v29, v32
	v_add_f32_e32 v20, v20, v28
	v_add_f32_e32 v18, v18, v30
	s_waitcnt lgkmcnt(0)
	v_mul_f32_e32 v28, v1, v5
	v_fma_f32 v28, v0, v4, -v28
	v_add_f32_e32 v16, v16, v28
	v_mul_f32_e32 v28, v1, v7
	v_mul_f32_e32 v29, v0, v5
	v_fma_f32 v28, v0, v6, -v28
	v_mul_f32_e32 v0, v0, v7
	v_fmac_f32_e32 v0, v1, v6
	v_add_f32_e32 v0, v34, v0
	ds_read2_b64 v[34:37], v23 offset0:224 offset1:240
	v_fmac_f32_e32 v29, v1, v4
	v_add_f32_e32 v1, v27, v28
	v_mul_f32_e32 v27, v39, v5
	v_fma_f32 v27, v38, v4, -v27
	v_mul_f32_e32 v5, v38, v5
	v_fmac_f32_e32 v5, v39, v4
	v_add_f32_e32 v4, v22, v27
	v_mul_f32_e32 v22, v39, v7
	v_fma_f32 v22, v38, v6, -v22
	v_mul_f32_e32 v7, v38, v7
	v_fmac_f32_e32 v7, v39, v6
	v_add_f32_e32 v6, v18, v22
	s_waitcnt lgkmcnt(0)
	v_mul_f32_e32 v18, v3, v35
	v_fma_f32 v18, v2, v34, -v18
	v_add_f32_e32 v30, v16, v18
	v_mul_f32_e32 v16, v3, v37
	v_add_f32_e32 v7, v20, v7
	v_mul_f32_e32 v20, v2, v35
	v_fma_f32 v16, v2, v36, -v16
	v_mul_f32_e32 v2, v2, v37
	v_add_f32_e32 v26, v26, v29
	v_fmac_f32_e32 v20, v3, v34
	v_fmac_f32_e32 v2, v3, v36
	v_add_f32_e32 v32, v26, v20
	v_add_f32_e32 v26, v1, v16
	;; [unrolled: 1-line block ×3, first 2 shown]
	v_mul_f32_e32 v0, v41, v35
	v_mul_f32_e32 v1, v40, v35
	v_add_f32_e32 v5, v24, v5
	v_fma_f32 v0, v40, v34, -v0
	v_fmac_f32_e32 v1, v41, v34
	v_add_f32_e32 v22, v4, v0
	v_add_f32_e32 v24, v5, v1
	v_mul_f32_e32 v0, v41, v37
	v_mul_f32_e32 v1, v40, v37
	v_fma_f32 v0, v40, v36, -v0
	v_fmac_f32_e32 v1, v41, v36
	s_addc_u32 s13, s13, 0
	v_add_f32_e32 v18, v6, v0
	v_add_f32_e32 v20, v7, v1
	v_mov_b64_e32 v[0:1], s[12:13]
	v_cmp_gt_i64_e32 vcc, s[8:9], v[0:1]
	s_barrier
	s_cbranch_vccz .LBB228_14
.LBB228_8:                              ; =>This Inner Loop Header: Depth=1
	v_mov_b32_e32 v0, 0
	v_mov_b32_e32 v1, 0
	s_and_saveexec_b64 s[14:15], s[0:1]
	s_cbranch_execz .LBB228_12
; %bb.9:                                ;   in Loop: Header=BB228_8 Depth=1
	v_add_u32_e32 v16, s12, v10
	v_cmp_gt_u64_e32 vcc, s[8:9], v[16:17]
	v_mov_b32_e32 v1, 0
	v_mov_b32_e32 v0, 0
	s_and_saveexec_b64 s[16:17], vcc
	s_cbranch_execz .LBB228_11
; %bb.10:                               ;   in Loop: Header=BB228_8 Depth=1
	v_lshl_add_u64 v[0:1], v[16:17], 3, v[12:13]
	global_load_dwordx2 v[0:1], v[0:1], off
.LBB228_11:                             ;   in Loop: Header=BB228_8 Depth=1
	s_or_b64 exec, exec, s[16:17]
.LBB228_12:                             ;   in Loop: Header=BB228_8 Depth=1
	s_or_b64 exec, exec, s[14:15]
	v_add_u32_e32 v16, s12, v8
	v_cmp_gt_u64_e32 vcc, s[8:9], v[16:17]
	s_waitcnt vmcnt(0)
	ds_write_b64 v19, v[0:1]
	s_and_b64 s[16:17], vcc, s[2:3]
	v_mov_b32_e32 v0, 0
	v_mov_b32_e32 v1, 0
	s_and_saveexec_b64 s[14:15], s[16:17]
	s_cbranch_execz .LBB228_7
; %bb.13:                               ;   in Loop: Header=BB228_8 Depth=1
	v_lshl_add_u64 v[0:1], v[16:17], 3, v[14:15]
	global_load_dwordx2 v[0:1], v[0:1], off
	s_branch .LBB228_7
.LBB228_14:
	s_mul_i32 s0, s31, s4
	s_mul_hi_u32 s1, s30, s4
	s_add_i32 s1, s1, s0
	s_mul_i32 s0, s30, s4
	s_lshl_b64 s[0:1], s[0:1], 3
	v_add_u32_e32 v10, s25, v11
	s_add_u32 s8, s26, s0
	v_ashrrev_i32_e32 v1, 31, v10
	s_addc_u32 s9, s27, s1
	v_add_u32_e32 v0, s5, v9
	v_cmp_neq_f32_e64 s[0:1], s6, 0
	s_xor_b64 s[4:5], s[10:11], -1
	v_mul_lo_u32 v1, s28, v1
	v_mul_lo_u32 v4, s29, v10
	v_mad_u64_u32 v[2:3], s[2:3], s28, v10, 0
	v_add3_u32 v3, v3, v1, v4
	s_or_b64 s[0:1], s[0:1], s[4:5]
	v_lshl_add_u64 v[4:5], v[2:3], 3, s[8:9]
	v_cmp_le_i32_e32 vcc, v10, v0
	s_waitcnt lgkmcnt(0)
	v_cmp_gt_i32_e64 s[2:3], s24, v0
	v_cndmask_b32_e64 v2, 0, 1, s[0:1]
	s_and_b64 s[10:11], vcc, s[2:3]
	v_ashrrev_i32_e32 v1, 31, v0
	v_cmp_ne_u32_e64 s[0:1], 1, v2
	s_and_saveexec_b64 s[4:5], s[10:11]
	s_cbranch_execz .LBB228_18
; %bb.15:
	v_pk_mul_f32 v[6:7], v[32:33], s[34:35] op_sel:[0,1] op_sel_hi:[0,0]
	v_pk_fma_f32 v[2:3], v[30:31], s[34:35], v[6:7] op_sel_hi:[0,1,1] neg_lo:[0,0,1] neg_hi:[0,0,1]
	v_pk_fma_f32 v[8:9], v[30:31], s[34:35], v[6:7] op_sel_hi:[0,1,1]
	s_and_b64 vcc, exec, s[0:1]
	v_lshl_add_u64 v[6:7], v[0:1], 3, v[4:5]
	s_cbranch_vccnz .LBB228_17
; %bb.16:
	global_load_dwordx2 v[12:13], v[6:7], off
	s_mov_b32 s10, s7
	v_mov_b32_e32 v3, v9
	s_waitcnt vmcnt(0)
	v_pk_mul_f32 v[8:9], v[12:13], s[10:11] op_sel:[1,0] op_sel_hi:[0,0]
	v_pk_fma_f32 v[14:15], v[12:13], s[6:7], v[8:9] neg_lo:[0,0,1] neg_hi:[0,0,1]
	v_pk_fma_f32 v[8:9], v[12:13], s[6:7], v[8:9] op_sel_hi:[1,0,1]
	s_nop 0
	v_mov_b32_e32 v15, v9
	v_pk_add_f32 v[2:3], v[2:3], v[14:15]
	s_nop 0
	v_mov_b32_e32 v9, v3
.LBB228_17:
	v_mov_b32_e32 v3, v9
	global_store_dwordx2 v[6:7], v[2:3], off
.LBB228_18:
	s_or_b64 exec, exec, s[4:5]
	v_add_u32_e32 v2, 16, v0
	v_cmp_le_i32_e32 vcc, v10, v2
	v_cmp_gt_i32_e64 s[4:5], s24, v2
	s_and_b64 s[12:13], vcc, s[4:5]
	v_ashrrev_i32_e32 v3, 31, v2
	s_and_saveexec_b64 s[10:11], s[12:13]
	s_cbranch_execz .LBB228_22
; %bb.19:
	v_pk_mul_f32 v[8:9], v[28:29], s[34:35] op_sel:[0,1] op_sel_hi:[0,0]
	v_pk_fma_f32 v[6:7], v[26:27], s[34:35], v[8:9] op_sel_hi:[0,1,1] neg_lo:[0,0,1] neg_hi:[0,0,1]
	v_pk_fma_f32 v[8:9], v[26:27], s[34:35], v[8:9] op_sel_hi:[0,1,1]
	s_and_b64 vcc, exec, s[0:1]
	v_lshl_add_u64 v[4:5], v[2:3], 3, v[4:5]
	s_cbranch_vccnz .LBB228_21
; %bb.20:
	global_load_dwordx2 v[12:13], v[4:5], off
	s_mov_b32 s12, s7
	v_mov_b32_e32 v7, v9
	s_waitcnt vmcnt(0)
	v_pk_mul_f32 v[8:9], v[12:13], s[12:13] op_sel:[1,0] op_sel_hi:[0,0]
	v_pk_fma_f32 v[14:15], v[12:13], s[6:7], v[8:9] neg_lo:[0,0,1] neg_hi:[0,0,1]
	v_pk_fma_f32 v[8:9], v[12:13], s[6:7], v[8:9] op_sel_hi:[1,0,1]
	s_nop 0
	v_mov_b32_e32 v15, v9
	v_pk_add_f32 v[6:7], v[6:7], v[14:15]
	s_nop 0
	v_mov_b32_e32 v9, v7
.LBB228_21:
	v_mov_b32_e32 v7, v9
	global_store_dwordx2 v[4:5], v[6:7], off
.LBB228_22:
	s_or_b64 exec, exec, s[10:11]
	v_add_u32_e32 v10, 16, v10
	v_ashrrev_i32_e32 v4, 31, v10
	v_mul_lo_u32 v6, s28, v4
	v_mul_lo_u32 v7, s29, v10
	v_mad_u64_u32 v[4:5], s[10:11], s28, v10, 0
	v_add3_u32 v5, v5, v6, v7
	v_cmp_le_i32_e32 vcc, v10, v0
	v_lshl_add_u64 v[4:5], v[4:5], 3, s[8:9]
	s_and_b64 s[8:9], vcc, s[2:3]
	s_and_saveexec_b64 s[2:3], s[8:9]
	s_cbranch_execz .LBB228_26
; %bb.23:
	v_pk_mul_f32 v[8:9], v[24:25], s[34:35] op_sel:[0,1] op_sel_hi:[0,0]
	v_pk_fma_f32 v[6:7], v[22:23], s[34:35], v[8:9] op_sel_hi:[0,1,1] neg_lo:[0,0,1] neg_hi:[0,0,1]
	v_pk_fma_f32 v[8:9], v[22:23], s[34:35], v[8:9] op_sel_hi:[0,1,1]
	s_and_b64 vcc, exec, s[0:1]
	v_lshl_add_u64 v[0:1], v[0:1], 3, v[4:5]
	s_cbranch_vccnz .LBB228_25
; %bb.24:
	global_load_dwordx2 v[12:13], v[0:1], off
	s_mov_b32 s8, s7
	v_mov_b32_e32 v7, v9
	s_waitcnt vmcnt(0)
	v_pk_mul_f32 v[8:9], v[12:13], s[8:9] op_sel:[1,0] op_sel_hi:[0,0]
	v_pk_fma_f32 v[14:15], v[12:13], s[6:7], v[8:9] neg_lo:[0,0,1] neg_hi:[0,0,1]
	v_pk_fma_f32 v[8:9], v[12:13], s[6:7], v[8:9] op_sel_hi:[1,0,1]
	s_nop 0
	v_mov_b32_e32 v15, v9
	v_pk_add_f32 v[6:7], v[6:7], v[14:15]
	s_nop 0
	v_mov_b32_e32 v9, v7
.LBB228_25:
	v_mov_b32_e32 v7, v9
	global_store_dwordx2 v[0:1], v[6:7], off
.LBB228_26:
	s_or_b64 exec, exec, s[2:3]
	v_cmp_le_i32_e32 vcc, v10, v2
	s_and_b64 s[2:3], vcc, s[4:5]
	s_and_saveexec_b64 s[4:5], s[2:3]
	s_cbranch_execz .LBB228_30
; %bb.27:
	v_pk_mul_f32 v[6:7], v[20:21], s[34:35] op_sel:[0,1] op_sel_hi:[0,0]
	v_pk_fma_f32 v[0:1], v[18:19], s[34:35], v[6:7] op_sel_hi:[0,1,1] neg_lo:[0,0,1] neg_hi:[0,0,1]
	v_pk_fma_f32 v[6:7], v[18:19], s[34:35], v[6:7] op_sel_hi:[0,1,1]
	s_and_b64 vcc, exec, s[0:1]
	v_lshl_add_u64 v[2:3], v[2:3], 3, v[4:5]
	s_cbranch_vccnz .LBB228_29
; %bb.28:
	global_load_dwordx2 v[4:5], v[2:3], off
	s_mov_b32 s0, s7
	v_mov_b32_e32 v1, v7
	s_waitcnt vmcnt(0)
	v_pk_mul_f32 v[6:7], v[4:5], s[0:1] op_sel:[1,0] op_sel_hi:[0,0]
	v_pk_fma_f32 v[8:9], v[4:5], s[6:7], v[6:7] neg_lo:[0,0,1] neg_hi:[0,0,1]
	v_pk_fma_f32 v[4:5], v[4:5], s[6:7], v[6:7] op_sel_hi:[1,0,1]
	s_nop 0
	v_mov_b32_e32 v9, v5
	v_pk_add_f32 v[0:1], v[0:1], v[8:9]
	s_nop 0
	v_mov_b32_e32 v7, v1
.LBB228_29:
	v_mov_b32_e32 v1, v7
	global_store_dwordx2 v[2:3], v[0:1], off
.LBB228_30:
	s_endpgm
	.section	.rodata,"a",@progbits
	.p2align	6, 0x0
	.amdhsa_kernel _ZL29rocblas_internal_gemmt_kernelIlLi16ELi32ELi8ELc84ELc78ELc76ELb0ELb0E19rocblas_complex_numIfEPKS1_S3_PS1_EviT_T9_T10_S5_lS7_S5_lS6_T11_S5_li
		.amdhsa_group_segment_fixed_size 4096
		.amdhsa_private_segment_fixed_size 0
		.amdhsa_kernarg_size 108
		.amdhsa_user_sgpr_count 2
		.amdhsa_user_sgpr_dispatch_ptr 0
		.amdhsa_user_sgpr_queue_ptr 0
		.amdhsa_user_sgpr_kernarg_segment_ptr 1
		.amdhsa_user_sgpr_dispatch_id 0
		.amdhsa_user_sgpr_kernarg_preload_length 0
		.amdhsa_user_sgpr_kernarg_preload_offset 0
		.amdhsa_user_sgpr_private_segment_size 0
		.amdhsa_uses_dynamic_stack 0
		.amdhsa_enable_private_segment 0
		.amdhsa_system_sgpr_workgroup_id_x 1
		.amdhsa_system_sgpr_workgroup_id_y 1
		.amdhsa_system_sgpr_workgroup_id_z 1
		.amdhsa_system_sgpr_workgroup_info 0
		.amdhsa_system_vgpr_workitem_id 1
		.amdhsa_next_free_vgpr 51
		.amdhsa_next_free_sgpr 40
		.amdhsa_accum_offset 52
		.amdhsa_reserve_vcc 1
		.amdhsa_float_round_mode_32 0
		.amdhsa_float_round_mode_16_64 0
		.amdhsa_float_denorm_mode_32 3
		.amdhsa_float_denorm_mode_16_64 3
		.amdhsa_dx10_clamp 1
		.amdhsa_ieee_mode 1
		.amdhsa_fp16_overflow 0
		.amdhsa_tg_split 0
		.amdhsa_exception_fp_ieee_invalid_op 0
		.amdhsa_exception_fp_denorm_src 0
		.amdhsa_exception_fp_ieee_div_zero 0
		.amdhsa_exception_fp_ieee_overflow 0
		.amdhsa_exception_fp_ieee_underflow 0
		.amdhsa_exception_fp_ieee_inexact 0
		.amdhsa_exception_int_div_zero 0
	.end_amdhsa_kernel
	.section	.text._ZL29rocblas_internal_gemmt_kernelIlLi16ELi32ELi8ELc84ELc78ELc76ELb0ELb0E19rocblas_complex_numIfEPKS1_S3_PS1_EviT_T9_T10_S5_lS7_S5_lS6_T11_S5_li,"axG",@progbits,_ZL29rocblas_internal_gemmt_kernelIlLi16ELi32ELi8ELc84ELc78ELc76ELb0ELb0E19rocblas_complex_numIfEPKS1_S3_PS1_EviT_T9_T10_S5_lS7_S5_lS6_T11_S5_li,comdat
.Lfunc_end228:
	.size	_ZL29rocblas_internal_gemmt_kernelIlLi16ELi32ELi8ELc84ELc78ELc76ELb0ELb0E19rocblas_complex_numIfEPKS1_S3_PS1_EviT_T9_T10_S5_lS7_S5_lS6_T11_S5_li, .Lfunc_end228-_ZL29rocblas_internal_gemmt_kernelIlLi16ELi32ELi8ELc84ELc78ELc76ELb0ELb0E19rocblas_complex_numIfEPKS1_S3_PS1_EviT_T9_T10_S5_lS7_S5_lS6_T11_S5_li
                                        ; -- End function
	.set _ZL29rocblas_internal_gemmt_kernelIlLi16ELi32ELi8ELc84ELc78ELc76ELb0ELb0E19rocblas_complex_numIfEPKS1_S3_PS1_EviT_T9_T10_S5_lS7_S5_lS6_T11_S5_li.num_vgpr, 51
	.set _ZL29rocblas_internal_gemmt_kernelIlLi16ELi32ELi8ELc84ELc78ELc76ELb0ELb0E19rocblas_complex_numIfEPKS1_S3_PS1_EviT_T9_T10_S5_lS7_S5_lS6_T11_S5_li.num_agpr, 0
	.set _ZL29rocblas_internal_gemmt_kernelIlLi16ELi32ELi8ELc84ELc78ELc76ELb0ELb0E19rocblas_complex_numIfEPKS1_S3_PS1_EviT_T9_T10_S5_lS7_S5_lS6_T11_S5_li.numbered_sgpr, 40
	.set _ZL29rocblas_internal_gemmt_kernelIlLi16ELi32ELi8ELc84ELc78ELc76ELb0ELb0E19rocblas_complex_numIfEPKS1_S3_PS1_EviT_T9_T10_S5_lS7_S5_lS6_T11_S5_li.num_named_barrier, 0
	.set _ZL29rocblas_internal_gemmt_kernelIlLi16ELi32ELi8ELc84ELc78ELc76ELb0ELb0E19rocblas_complex_numIfEPKS1_S3_PS1_EviT_T9_T10_S5_lS7_S5_lS6_T11_S5_li.private_seg_size, 0
	.set _ZL29rocblas_internal_gemmt_kernelIlLi16ELi32ELi8ELc84ELc78ELc76ELb0ELb0E19rocblas_complex_numIfEPKS1_S3_PS1_EviT_T9_T10_S5_lS7_S5_lS6_T11_S5_li.uses_vcc, 1
	.set _ZL29rocblas_internal_gemmt_kernelIlLi16ELi32ELi8ELc84ELc78ELc76ELb0ELb0E19rocblas_complex_numIfEPKS1_S3_PS1_EviT_T9_T10_S5_lS7_S5_lS6_T11_S5_li.uses_flat_scratch, 0
	.set _ZL29rocblas_internal_gemmt_kernelIlLi16ELi32ELi8ELc84ELc78ELc76ELb0ELb0E19rocblas_complex_numIfEPKS1_S3_PS1_EviT_T9_T10_S5_lS7_S5_lS6_T11_S5_li.has_dyn_sized_stack, 0
	.set _ZL29rocblas_internal_gemmt_kernelIlLi16ELi32ELi8ELc84ELc78ELc76ELb0ELb0E19rocblas_complex_numIfEPKS1_S3_PS1_EviT_T9_T10_S5_lS7_S5_lS6_T11_S5_li.has_recursion, 0
	.set _ZL29rocblas_internal_gemmt_kernelIlLi16ELi32ELi8ELc84ELc78ELc76ELb0ELb0E19rocblas_complex_numIfEPKS1_S3_PS1_EviT_T9_T10_S5_lS7_S5_lS6_T11_S5_li.has_indirect_call, 0
	.section	.AMDGPU.csdata,"",@progbits
; Kernel info:
; codeLenInByte = 2512
; TotalNumSgprs: 46
; NumVgprs: 51
; NumAgprs: 0
; TotalNumVgprs: 51
; ScratchSize: 0
; MemoryBound: 0
; FloatMode: 240
; IeeeMode: 1
; LDSByteSize: 4096 bytes/workgroup (compile time only)
; SGPRBlocks: 5
; VGPRBlocks: 6
; NumSGPRsForWavesPerEU: 46
; NumVGPRsForWavesPerEU: 51
; AccumOffset: 52
; Occupancy: 8
; WaveLimiterHint : 0
; COMPUTE_PGM_RSRC2:SCRATCH_EN: 0
; COMPUTE_PGM_RSRC2:USER_SGPR: 2
; COMPUTE_PGM_RSRC2:TRAP_HANDLER: 0
; COMPUTE_PGM_RSRC2:TGID_X_EN: 1
; COMPUTE_PGM_RSRC2:TGID_Y_EN: 1
; COMPUTE_PGM_RSRC2:TGID_Z_EN: 1
; COMPUTE_PGM_RSRC2:TIDIG_COMP_CNT: 1
; COMPUTE_PGM_RSRC3_GFX90A:ACCUM_OFFSET: 12
; COMPUTE_PGM_RSRC3_GFX90A:TG_SPLIT: 0
	.section	.text._ZL29rocblas_internal_gemmt_kernelIlLi16ELi32ELi8ELc84ELc84ELc76ELb0ELb0E19rocblas_complex_numIfEPKS1_S3_PS1_EviT_T9_T10_S5_lS7_S5_lS6_T11_S5_li,"axG",@progbits,_ZL29rocblas_internal_gemmt_kernelIlLi16ELi32ELi8ELc84ELc84ELc76ELb0ELb0E19rocblas_complex_numIfEPKS1_S3_PS1_EviT_T9_T10_S5_lS7_S5_lS6_T11_S5_li,comdat
	.globl	_ZL29rocblas_internal_gemmt_kernelIlLi16ELi32ELi8ELc84ELc84ELc76ELb0ELb0E19rocblas_complex_numIfEPKS1_S3_PS1_EviT_T9_T10_S5_lS7_S5_lS6_T11_S5_li ; -- Begin function _ZL29rocblas_internal_gemmt_kernelIlLi16ELi32ELi8ELc84ELc84ELc76ELb0ELb0E19rocblas_complex_numIfEPKS1_S3_PS1_EviT_T9_T10_S5_lS7_S5_lS6_T11_S5_li
	.p2align	8
	.type	_ZL29rocblas_internal_gemmt_kernelIlLi16ELi32ELi8ELc84ELc84ELc76ELb0ELb0E19rocblas_complex_numIfEPKS1_S3_PS1_EviT_T9_T10_S5_lS7_S5_lS6_T11_S5_li,@function
_ZL29rocblas_internal_gemmt_kernelIlLi16ELi32ELi8ELc84ELc84ELc76ELb0ELb0E19rocblas_complex_numIfEPKS1_S3_PS1_EviT_T9_T10_S5_lS7_S5_lS6_T11_S5_li: ; @_ZL29rocblas_internal_gemmt_kernelIlLi16ELi32ELi8ELc84ELc84ELc76ELb0ELb0E19rocblas_complex_numIfEPKS1_S3_PS1_EviT_T9_T10_S5_lS7_S5_lS6_T11_S5_li
; %bb.0:
	s_load_dwordx8 s[24:31], s[0:1], 0x48
	s_load_dwordx16 s[8:23], s[0:1], 0x8
	s_waitcnt lgkmcnt(0)
	s_load_dwordx2 s[6:7], s[24:25], 0x0
	s_load_dwordx2 s[34:35], s[10:11], 0x0
	s_waitcnt lgkmcnt(0)
	s_and_b32 s5, s7, 0x7fffffff
	s_cmp_eq_u32 s5, 0
	v_cmp_eq_f32_e64 s[24:25], s6, 1.0
	s_cselect_b64 s[10:11], -1, 0
	s_and_b64 s[24:25], s[24:25], s[10:11]
	s_and_b64 vcc, exec, s[24:25]
	s_cbranch_vccnz .LBB229_2
; %bb.1:
	s_mov_b64 s[24:25], -1
	s_cbranch_execz .LBB229_3
	s_branch .LBB229_4
.LBB229_2:
	s_mov_b64 s[24:25], 0
.LBB229_3:
	s_cmp_lg_u64 s[8:9], 0
	v_cmp_neq_f32_e64 s[36:37], s34, 0
	v_cmp_neq_f32_e64 s[38:39], s35, 0
	s_cselect_b64 s[24:25], -1, 0
	s_or_b64 s[36:37], s[36:37], s[38:39]
	s_and_b64 s[24:25], s[24:25], s[36:37]
.LBB229_4:
	s_andn2_b64 vcc, exec, s[24:25]
	s_cbranch_vccnz .LBB229_30
; %bb.5:
	s_load_dword s24, s[0:1], 0x0
	s_lshl_b32 s5, s2, 5
	s_lshl_b32 s25, s3, 5
	v_cmp_eq_f32_e64 s[0:1], s34, 0
	v_cmp_eq_f32_e64 s[2:3], s35, 0
	s_and_b64 s[0:1], s[0:1], s[2:3]
	v_cmp_lt_i64_e64 s[2:3], s[8:9], 1
	s_or_b64 s[0:1], s[0:1], s[2:3]
	v_and_b32_e32 v9, 0x3ff, v0
	v_bfe_u32 v11, v0, 10, 10
	v_mov_b32_e32 v30, 0
	s_and_b64 vcc, exec, s[0:1]
	v_mov_b32_e32 v32, 0
	v_mov_b32_e32 v26, 0
	;; [unrolled: 1-line block ×7, first 2 shown]
	s_cbranch_vccnz .LBB229_14
; %bb.6:
	s_mul_i32 s0, s23, s4
	s_mul_hi_u32 s1, s22, s4
	s_add_i32 s1, s1, s0
	s_mul_i32 s0, s22, s4
	s_lshl_b64 s[0:1], s[0:1], 3
	s_add_u32 s18, s18, s0
	s_addc_u32 s19, s19, s1
	s_mul_i32 s0, s17, s4
	s_mul_hi_u32 s1, s16, s4
	v_lshl_add_u32 v1, v11, 4, v9
	s_add_i32 s1, s1, s0
	s_mul_i32 s0, s16, s4
	v_lshrrev_b32_e32 v10, 5, v1
	v_lshrrev_b32_e32 v4, 3, v1
	v_and_b32_e32 v1, 31, v1
	s_lshl_b64 s[0:1], s[0:1], 3
	v_or_b32_e32 v2, s5, v1
	s_add_u32 s2, s12, s0
	v_lshlrev_b32_e32 v1, 3, v1
	s_addc_u32 s3, s13, s1
	s_waitcnt lgkmcnt(0)
	v_cmp_gt_i32_e64 s[0:1], s24, v2
	v_lshl_or_b32 v19, v10, 8, v1
	s_ashr_i32 s16, s5, 31
	v_mul_lo_u32 v1, s15, v2
	v_mad_u64_u32 v[2:3], s[12:13], s14, v2, 0
	v_and_b32_e32 v8, 7, v9
	s_mul_i32 s12, s14, s16
	v_add3_u32 v3, v3, s12, v1
	v_lshlrev_b32_e32 v1, 3, v8
	v_add_u32_e32 v0, s25, v4
	v_lshl_or_b32 v1, v4, 6, v1
	v_add_u32_e32 v21, 0x800, v1
	v_ashrrev_i32_e32 v1, 31, v0
	v_lshl_add_u64 v[12:13], v[2:3], 3, s[2:3]
	v_cmp_gt_i32_e64 s[2:3], s24, v0
	v_lshl_add_u64 v[14:15], v[0:1], 3, s[18:19]
	v_mov_b32_e32 v0, 0x800
	v_lshlrev_b32_e32 v23, 3, v9
	v_lshl_add_u32 v25, v11, 6, v0
	v_mov_b32_e32 v17, 0
	s_mov_b64 s[12:13], 0
	v_mov_b32_e32 v20, 0
	v_mov_b32_e32 v18, 0
	;; [unrolled: 1-line block ×8, first 2 shown]
	s_branch .LBB229_8
.LBB229_7:                              ;   in Loop: Header=BB229_8 Depth=1
	s_or_b64 exec, exec, s[14:15]
	s_waitcnt vmcnt(0)
	ds_write_b64 v21, v[0:1]
	s_waitcnt lgkmcnt(0)
	s_barrier
	ds_read2_b64 v[34:37], v23 offset1:16
	ds_read_b128 v[38:41], v25
	ds_read_b128 v[42:45], v25 offset:16
	ds_read_b128 v[4:7], v25 offset:32
	;; [unrolled: 1-line block ×3, first 2 shown]
	s_add_u32 s12, s12, 8
	s_waitcnt lgkmcnt(3)
	v_mul_f32_e32 v16, v39, v35
	v_mul_f32_e32 v27, v38, v35
	v_fma_f32 v16, v38, v34, -v16
	v_fmac_f32_e32 v27, v39, v34
	v_add_f32_e32 v16, v30, v16
	v_add_f32_e32 v50, v32, v27
	ds_read_b128 v[30:33], v25 offset:1024
	v_mul_f32_e32 v27, v39, v37
	v_mul_f32_e32 v29, v38, v37
	v_fma_f32 v27, v38, v36, -v27
	v_fmac_f32_e32 v29, v39, v36
	v_add_f32_e32 v38, v26, v27
	v_add_f32_e32 v39, v28, v29
	ds_read_b128 v[26:29], v25 offset:1040
	s_waitcnt lgkmcnt(1)
	v_mul_f32_e32 v46, v31, v35
	v_fma_f32 v46, v30, v34, -v46
	v_add_f32_e32 v22, v22, v46
	ds_read2_b64 v[46:49], v23 offset0:32 offset1:48
	v_mul_f32_e32 v35, v30, v35
	v_fmac_f32_e32 v35, v31, v34
	v_mul_f32_e32 v34, v31, v37
	v_fma_f32 v34, v30, v36, -v34
	v_mul_f32_e32 v30, v30, v37
	v_fmac_f32_e32 v30, v31, v36
	v_add_f32_e32 v20, v20, v30
	s_waitcnt lgkmcnt(0)
	v_mul_f32_e32 v30, v41, v47
	v_mul_f32_e32 v31, v40, v47
	v_fma_f32 v30, v40, v46, -v30
	v_fmac_f32_e32 v31, v41, v46
	v_add_f32_e32 v18, v18, v34
	v_add_f32_e32 v16, v16, v30
	v_add_f32_e32 v30, v50, v31
	v_mul_f32_e32 v31, v41, v49
	v_mul_f32_e32 v34, v40, v49
	v_fma_f32 v31, v40, v48, -v31
	v_fmac_f32_e32 v34, v41, v48
	v_add_f32_e32 v31, v38, v31
	v_add_f32_e32 v38, v39, v34
	v_mul_f32_e32 v34, v33, v47
	v_add_f32_e32 v24, v24, v35
	v_fma_f32 v34, v32, v46, -v34
	v_mul_f32_e32 v35, v32, v47
	v_fmac_f32_e32 v35, v33, v46
	v_add_f32_e32 v22, v22, v34
	v_mul_f32_e32 v34, v33, v49
	v_add_f32_e32 v24, v24, v35
	v_fma_f32 v39, v32, v48, -v34
	ds_read2_b64 v[34:37], v23 offset0:64 offset1:80
	v_mul_f32_e32 v32, v32, v49
	v_fmac_f32_e32 v32, v33, v48
	v_add_f32_e32 v18, v18, v39
	v_add_f32_e32 v20, v20, v32
	s_waitcnt lgkmcnt(0)
	v_mul_f32_e32 v33, v42, v35
	v_fmac_f32_e32 v33, v43, v34
	v_add_f32_e32 v39, v30, v33
	v_mul_f32_e32 v30, v43, v37
	v_mul_f32_e32 v32, v43, v35
	v_fma_f32 v30, v42, v36, -v30
	v_fma_f32 v32, v42, v34, -v32
	v_add_f32_e32 v40, v31, v30
	v_mul_f32_e32 v30, v27, v35
	v_add_f32_e32 v16, v16, v32
	v_mul_f32_e32 v32, v42, v37
	v_fma_f32 v30, v26, v34, -v30
	v_mul_f32_e32 v31, v26, v35
	v_fmac_f32_e32 v32, v43, v36
	v_fmac_f32_e32 v31, v27, v34
	v_add_f32_e32 v22, v22, v30
	v_mul_f32_e32 v30, v27, v37
	v_add_f32_e32 v38, v38, v32
	v_add_f32_e32 v24, v24, v31
	v_fma_f32 v34, v26, v36, -v30
	ds_read2_b64 v[30:33], v23 offset0:96 offset1:112
	v_mul_f32_e32 v26, v26, v37
	v_fmac_f32_e32 v26, v27, v36
	v_add_f32_e32 v20, v20, v26
	v_add_f32_e32 v18, v18, v34
	s_waitcnt lgkmcnt(0)
	v_mul_f32_e32 v26, v45, v31
	v_mul_f32_e32 v27, v44, v31
	v_fma_f32 v26, v44, v30, -v26
	v_fmac_f32_e32 v27, v45, v30
	v_add_f32_e32 v16, v16, v26
	v_add_f32_e32 v26, v39, v27
	v_mul_f32_e32 v27, v45, v33
	v_mul_f32_e32 v34, v44, v33
	v_fma_f32 v27, v44, v32, -v27
	v_fmac_f32_e32 v34, v45, v32
	v_add_f32_e32 v39, v40, v27
	v_add_f32_e32 v38, v38, v34
	v_mul_f32_e32 v27, v29, v31
	ds_read2_b64 v[34:37], v23 offset0:128 offset1:144
	v_fma_f32 v27, v28, v30, -v27
	v_add_f32_e32 v22, v22, v27
	v_mul_f32_e32 v27, v29, v33
	v_mul_f32_e32 v31, v28, v31
	v_fma_f32 v27, v28, v32, -v27
	v_mul_f32_e32 v28, v28, v33
	v_fmac_f32_e32 v28, v29, v32
	v_add_f32_e32 v20, v20, v28
	s_waitcnt lgkmcnt(0)
	v_mul_f32_e32 v28, v4, v35
	v_add_f32_e32 v18, v18, v27
	v_mul_f32_e32 v27, v5, v35
	v_fmac_f32_e32 v28, v5, v34
	v_fma_f32 v27, v4, v34, -v27
	v_add_f32_e32 v42, v26, v28
	v_mul_f32_e32 v26, v5, v37
	v_fmac_f32_e32 v31, v29, v30
	v_add_f32_e32 v16, v16, v27
	v_fma_f32 v30, v4, v36, -v26
	ds_read_b128 v[26:29], v25 offset:1056
	v_mul_f32_e32 v4, v4, v37
	v_fmac_f32_e32 v4, v5, v36
	v_add_f32_e32 v5, v39, v30
	v_add_f32_e32 v4, v38, v4
	ds_read_b128 v[38:41], v25 offset:1072
	s_waitcnt lgkmcnt(1)
	v_mul_f32_e32 v30, v27, v35
	v_add_f32_e32 v24, v24, v31
	v_fma_f32 v30, v26, v34, -v30
	v_mul_f32_e32 v31, v26, v35
	v_fmac_f32_e32 v31, v27, v34
	v_add_f32_e32 v22, v22, v30
	v_mul_f32_e32 v30, v27, v37
	v_add_f32_e32 v24, v24, v31
	v_fma_f32 v34, v26, v36, -v30
	ds_read2_b64 v[30:33], v23 offset0:160 offset1:176
	v_mul_f32_e32 v26, v26, v37
	v_fmac_f32_e32 v26, v27, v36
	v_add_f32_e32 v20, v20, v26
	v_add_f32_e32 v18, v18, v34
	s_waitcnt lgkmcnt(0)
	v_mul_f32_e32 v26, v7, v31
	v_mul_f32_e32 v27, v6, v31
	v_fma_f32 v26, v6, v30, -v26
	v_fmac_f32_e32 v27, v7, v30
	v_add_f32_e32 v16, v16, v26
	v_add_f32_e32 v26, v42, v27
	v_mul_f32_e32 v27, v7, v33
	v_fma_f32 v27, v6, v32, -v27
	v_mul_f32_e32 v6, v6, v33
	v_fmac_f32_e32 v6, v7, v32
	v_add_f32_e32 v34, v4, v6
	v_mul_f32_e32 v4, v29, v31
	v_add_f32_e32 v27, v5, v27
	v_fma_f32 v4, v28, v30, -v4
	v_mul_f32_e32 v5, v28, v31
	v_fmac_f32_e32 v5, v29, v30
	v_add_f32_e32 v22, v22, v4
	v_mul_f32_e32 v4, v29, v33
	v_add_f32_e32 v24, v24, v5
	v_fma_f32 v30, v28, v32, -v4
	ds_read2_b64 v[4:7], v23 offset0:192 offset1:208
	v_mul_f32_e32 v28, v28, v33
	v_fmac_f32_e32 v28, v29, v32
	v_add_f32_e32 v20, v20, v28
	v_add_f32_e32 v18, v18, v30
	s_waitcnt lgkmcnt(0)
	v_mul_f32_e32 v28, v1, v5
	v_fma_f32 v28, v0, v4, -v28
	v_add_f32_e32 v16, v16, v28
	v_mul_f32_e32 v28, v1, v7
	v_mul_f32_e32 v29, v0, v5
	v_fma_f32 v28, v0, v6, -v28
	v_mul_f32_e32 v0, v0, v7
	v_fmac_f32_e32 v0, v1, v6
	v_add_f32_e32 v0, v34, v0
	ds_read2_b64 v[34:37], v23 offset0:224 offset1:240
	v_fmac_f32_e32 v29, v1, v4
	v_add_f32_e32 v1, v27, v28
	v_mul_f32_e32 v27, v39, v5
	v_fma_f32 v27, v38, v4, -v27
	v_mul_f32_e32 v5, v38, v5
	v_fmac_f32_e32 v5, v39, v4
	v_add_f32_e32 v4, v22, v27
	v_mul_f32_e32 v22, v39, v7
	v_fma_f32 v22, v38, v6, -v22
	v_mul_f32_e32 v7, v38, v7
	v_fmac_f32_e32 v7, v39, v6
	v_add_f32_e32 v6, v18, v22
	s_waitcnt lgkmcnt(0)
	v_mul_f32_e32 v18, v3, v35
	v_fma_f32 v18, v2, v34, -v18
	v_add_f32_e32 v30, v16, v18
	v_mul_f32_e32 v16, v3, v37
	v_add_f32_e32 v7, v20, v7
	v_mul_f32_e32 v20, v2, v35
	v_fma_f32 v16, v2, v36, -v16
	v_mul_f32_e32 v2, v2, v37
	v_add_f32_e32 v26, v26, v29
	v_fmac_f32_e32 v20, v3, v34
	v_fmac_f32_e32 v2, v3, v36
	v_add_f32_e32 v32, v26, v20
	v_add_f32_e32 v26, v1, v16
	;; [unrolled: 1-line block ×3, first 2 shown]
	v_mul_f32_e32 v0, v41, v35
	v_mul_f32_e32 v1, v40, v35
	v_add_f32_e32 v5, v24, v5
	v_fma_f32 v0, v40, v34, -v0
	v_fmac_f32_e32 v1, v41, v34
	v_add_f32_e32 v22, v4, v0
	v_add_f32_e32 v24, v5, v1
	v_mul_f32_e32 v0, v41, v37
	v_mul_f32_e32 v1, v40, v37
	v_fma_f32 v0, v40, v36, -v0
	v_fmac_f32_e32 v1, v41, v36
	s_addc_u32 s13, s13, 0
	v_add_f32_e32 v18, v6, v0
	v_add_f32_e32 v20, v7, v1
	v_mov_b64_e32 v[0:1], s[12:13]
	v_cmp_gt_i64_e32 vcc, s[8:9], v[0:1]
	s_barrier
	s_cbranch_vccz .LBB229_14
.LBB229_8:                              ; =>This Inner Loop Header: Depth=1
	v_mov_b32_e32 v0, 0
	v_mov_b32_e32 v1, 0
	s_and_saveexec_b64 s[14:15], s[0:1]
	s_cbranch_execz .LBB229_12
; %bb.9:                                ;   in Loop: Header=BB229_8 Depth=1
	v_add_u32_e32 v16, s12, v10
	v_cmp_gt_u64_e32 vcc, s[8:9], v[16:17]
	v_mov_b32_e32 v1, 0
	v_mov_b32_e32 v0, 0
	s_and_saveexec_b64 s[16:17], vcc
	s_cbranch_execz .LBB229_11
; %bb.10:                               ;   in Loop: Header=BB229_8 Depth=1
	v_lshl_add_u64 v[0:1], v[16:17], 3, v[12:13]
	global_load_dwordx2 v[0:1], v[0:1], off
.LBB229_11:                             ;   in Loop: Header=BB229_8 Depth=1
	s_or_b64 exec, exec, s[16:17]
.LBB229_12:                             ;   in Loop: Header=BB229_8 Depth=1
	s_or_b64 exec, exec, s[14:15]
	v_add_u32_e32 v16, s12, v8
	v_cmp_gt_u64_e32 vcc, s[8:9], v[16:17]
	s_waitcnt vmcnt(0)
	ds_write_b64 v19, v[0:1]
	s_and_b64 s[16:17], vcc, s[2:3]
	v_mov_b32_e32 v0, 0
	v_mov_b32_e32 v1, 0
	s_and_saveexec_b64 s[14:15], s[16:17]
	s_cbranch_execz .LBB229_7
; %bb.13:                               ;   in Loop: Header=BB229_8 Depth=1
	v_mad_u64_u32 v[0:1], s[16:17], s20, v16, 0
	v_mov_b32_e32 v2, v1
	v_mad_u64_u32 v[2:3], s[16:17], s21, v16, v[2:3]
	v_mov_b32_e32 v1, v2
	v_lshl_add_u64 v[0:1], v[0:1], 3, v[14:15]
	global_load_dwordx2 v[0:1], v[0:1], off
	s_branch .LBB229_7
.LBB229_14:
	s_mul_i32 s0, s31, s4
	s_mul_hi_u32 s1, s30, s4
	s_add_i32 s1, s1, s0
	s_mul_i32 s0, s30, s4
	s_lshl_b64 s[0:1], s[0:1], 3
	v_add_u32_e32 v10, s25, v11
	s_add_u32 s8, s26, s0
	v_ashrrev_i32_e32 v1, 31, v10
	s_addc_u32 s9, s27, s1
	v_add_u32_e32 v0, s5, v9
	v_cmp_neq_f32_e64 s[0:1], s6, 0
	s_xor_b64 s[4:5], s[10:11], -1
	v_mul_lo_u32 v1, s28, v1
	v_mul_lo_u32 v4, s29, v10
	v_mad_u64_u32 v[2:3], s[2:3], s28, v10, 0
	v_add3_u32 v3, v3, v1, v4
	s_or_b64 s[0:1], s[0:1], s[4:5]
	v_lshl_add_u64 v[4:5], v[2:3], 3, s[8:9]
	v_cmp_le_i32_e32 vcc, v10, v0
	s_waitcnt lgkmcnt(0)
	v_cmp_gt_i32_e64 s[2:3], s24, v0
	v_cndmask_b32_e64 v2, 0, 1, s[0:1]
	s_and_b64 s[10:11], vcc, s[2:3]
	v_ashrrev_i32_e32 v1, 31, v0
	v_cmp_ne_u32_e64 s[0:1], 1, v2
	s_and_saveexec_b64 s[4:5], s[10:11]
	s_cbranch_execz .LBB229_18
; %bb.15:
	v_pk_mul_f32 v[6:7], v[32:33], s[34:35] op_sel:[0,1] op_sel_hi:[0,0]
	v_pk_fma_f32 v[2:3], v[30:31], s[34:35], v[6:7] op_sel_hi:[0,1,1] neg_lo:[0,0,1] neg_hi:[0,0,1]
	v_pk_fma_f32 v[8:9], v[30:31], s[34:35], v[6:7] op_sel_hi:[0,1,1]
	s_and_b64 vcc, exec, s[0:1]
	v_lshl_add_u64 v[6:7], v[0:1], 3, v[4:5]
	s_cbranch_vccnz .LBB229_17
; %bb.16:
	global_load_dwordx2 v[12:13], v[6:7], off
	s_mov_b32 s10, s7
	v_mov_b32_e32 v3, v9
	s_waitcnt vmcnt(0)
	v_pk_mul_f32 v[8:9], v[12:13], s[10:11] op_sel:[1,0] op_sel_hi:[0,0]
	v_pk_fma_f32 v[14:15], v[12:13], s[6:7], v[8:9] neg_lo:[0,0,1] neg_hi:[0,0,1]
	v_pk_fma_f32 v[8:9], v[12:13], s[6:7], v[8:9] op_sel_hi:[1,0,1]
	s_nop 0
	v_mov_b32_e32 v15, v9
	v_pk_add_f32 v[2:3], v[2:3], v[14:15]
	s_nop 0
	v_mov_b32_e32 v9, v3
.LBB229_17:
	v_mov_b32_e32 v3, v9
	global_store_dwordx2 v[6:7], v[2:3], off
.LBB229_18:
	s_or_b64 exec, exec, s[4:5]
	v_add_u32_e32 v2, 16, v0
	v_cmp_le_i32_e32 vcc, v10, v2
	v_cmp_gt_i32_e64 s[4:5], s24, v2
	s_and_b64 s[12:13], vcc, s[4:5]
	v_ashrrev_i32_e32 v3, 31, v2
	s_and_saveexec_b64 s[10:11], s[12:13]
	s_cbranch_execz .LBB229_22
; %bb.19:
	v_pk_mul_f32 v[8:9], v[28:29], s[34:35] op_sel:[0,1] op_sel_hi:[0,0]
	v_pk_fma_f32 v[6:7], v[26:27], s[34:35], v[8:9] op_sel_hi:[0,1,1] neg_lo:[0,0,1] neg_hi:[0,0,1]
	v_pk_fma_f32 v[8:9], v[26:27], s[34:35], v[8:9] op_sel_hi:[0,1,1]
	s_and_b64 vcc, exec, s[0:1]
	v_lshl_add_u64 v[4:5], v[2:3], 3, v[4:5]
	s_cbranch_vccnz .LBB229_21
; %bb.20:
	global_load_dwordx2 v[12:13], v[4:5], off
	s_mov_b32 s12, s7
	v_mov_b32_e32 v7, v9
	s_waitcnt vmcnt(0)
	v_pk_mul_f32 v[8:9], v[12:13], s[12:13] op_sel:[1,0] op_sel_hi:[0,0]
	v_pk_fma_f32 v[14:15], v[12:13], s[6:7], v[8:9] neg_lo:[0,0,1] neg_hi:[0,0,1]
	v_pk_fma_f32 v[8:9], v[12:13], s[6:7], v[8:9] op_sel_hi:[1,0,1]
	s_nop 0
	v_mov_b32_e32 v15, v9
	v_pk_add_f32 v[6:7], v[6:7], v[14:15]
	s_nop 0
	v_mov_b32_e32 v9, v7
.LBB229_21:
	v_mov_b32_e32 v7, v9
	global_store_dwordx2 v[4:5], v[6:7], off
.LBB229_22:
	s_or_b64 exec, exec, s[10:11]
	v_add_u32_e32 v10, 16, v10
	v_ashrrev_i32_e32 v4, 31, v10
	v_mul_lo_u32 v6, s28, v4
	v_mul_lo_u32 v7, s29, v10
	v_mad_u64_u32 v[4:5], s[10:11], s28, v10, 0
	v_add3_u32 v5, v5, v6, v7
	v_cmp_le_i32_e32 vcc, v10, v0
	v_lshl_add_u64 v[4:5], v[4:5], 3, s[8:9]
	s_and_b64 s[8:9], vcc, s[2:3]
	s_and_saveexec_b64 s[2:3], s[8:9]
	s_cbranch_execz .LBB229_26
; %bb.23:
	v_pk_mul_f32 v[8:9], v[24:25], s[34:35] op_sel:[0,1] op_sel_hi:[0,0]
	v_pk_fma_f32 v[6:7], v[22:23], s[34:35], v[8:9] op_sel_hi:[0,1,1] neg_lo:[0,0,1] neg_hi:[0,0,1]
	v_pk_fma_f32 v[8:9], v[22:23], s[34:35], v[8:9] op_sel_hi:[0,1,1]
	s_and_b64 vcc, exec, s[0:1]
	v_lshl_add_u64 v[0:1], v[0:1], 3, v[4:5]
	s_cbranch_vccnz .LBB229_25
; %bb.24:
	global_load_dwordx2 v[12:13], v[0:1], off
	s_mov_b32 s8, s7
	v_mov_b32_e32 v7, v9
	s_waitcnt vmcnt(0)
	v_pk_mul_f32 v[8:9], v[12:13], s[8:9] op_sel:[1,0] op_sel_hi:[0,0]
	v_pk_fma_f32 v[14:15], v[12:13], s[6:7], v[8:9] neg_lo:[0,0,1] neg_hi:[0,0,1]
	v_pk_fma_f32 v[8:9], v[12:13], s[6:7], v[8:9] op_sel_hi:[1,0,1]
	s_nop 0
	v_mov_b32_e32 v15, v9
	v_pk_add_f32 v[6:7], v[6:7], v[14:15]
	s_nop 0
	v_mov_b32_e32 v9, v7
.LBB229_25:
	v_mov_b32_e32 v7, v9
	global_store_dwordx2 v[0:1], v[6:7], off
.LBB229_26:
	s_or_b64 exec, exec, s[2:3]
	v_cmp_le_i32_e32 vcc, v10, v2
	s_and_b64 s[2:3], vcc, s[4:5]
	s_and_saveexec_b64 s[4:5], s[2:3]
	s_cbranch_execz .LBB229_30
; %bb.27:
	v_pk_mul_f32 v[6:7], v[20:21], s[34:35] op_sel:[0,1] op_sel_hi:[0,0]
	v_pk_fma_f32 v[0:1], v[18:19], s[34:35], v[6:7] op_sel_hi:[0,1,1] neg_lo:[0,0,1] neg_hi:[0,0,1]
	v_pk_fma_f32 v[6:7], v[18:19], s[34:35], v[6:7] op_sel_hi:[0,1,1]
	s_and_b64 vcc, exec, s[0:1]
	v_lshl_add_u64 v[2:3], v[2:3], 3, v[4:5]
	s_cbranch_vccnz .LBB229_29
; %bb.28:
	global_load_dwordx2 v[4:5], v[2:3], off
	s_mov_b32 s0, s7
	v_mov_b32_e32 v1, v7
	s_waitcnt vmcnt(0)
	v_pk_mul_f32 v[6:7], v[4:5], s[0:1] op_sel:[1,0] op_sel_hi:[0,0]
	v_pk_fma_f32 v[8:9], v[4:5], s[6:7], v[6:7] neg_lo:[0,0,1] neg_hi:[0,0,1]
	v_pk_fma_f32 v[4:5], v[4:5], s[6:7], v[6:7] op_sel_hi:[1,0,1]
	s_nop 0
	v_mov_b32_e32 v9, v5
	v_pk_add_f32 v[0:1], v[0:1], v[8:9]
	s_nop 0
	v_mov_b32_e32 v7, v1
.LBB229_29:
	v_mov_b32_e32 v1, v7
	global_store_dwordx2 v[2:3], v[0:1], off
.LBB229_30:
	s_endpgm
	.section	.rodata,"a",@progbits
	.p2align	6, 0x0
	.amdhsa_kernel _ZL29rocblas_internal_gemmt_kernelIlLi16ELi32ELi8ELc84ELc84ELc76ELb0ELb0E19rocblas_complex_numIfEPKS1_S3_PS1_EviT_T9_T10_S5_lS7_S5_lS6_T11_S5_li
		.amdhsa_group_segment_fixed_size 4096
		.amdhsa_private_segment_fixed_size 0
		.amdhsa_kernarg_size 108
		.amdhsa_user_sgpr_count 2
		.amdhsa_user_sgpr_dispatch_ptr 0
		.amdhsa_user_sgpr_queue_ptr 0
		.amdhsa_user_sgpr_kernarg_segment_ptr 1
		.amdhsa_user_sgpr_dispatch_id 0
		.amdhsa_user_sgpr_kernarg_preload_length 0
		.amdhsa_user_sgpr_kernarg_preload_offset 0
		.amdhsa_user_sgpr_private_segment_size 0
		.amdhsa_uses_dynamic_stack 0
		.amdhsa_enable_private_segment 0
		.amdhsa_system_sgpr_workgroup_id_x 1
		.amdhsa_system_sgpr_workgroup_id_y 1
		.amdhsa_system_sgpr_workgroup_id_z 1
		.amdhsa_system_sgpr_workgroup_info 0
		.amdhsa_system_vgpr_workitem_id 1
		.amdhsa_next_free_vgpr 51
		.amdhsa_next_free_sgpr 40
		.amdhsa_accum_offset 52
		.amdhsa_reserve_vcc 1
		.amdhsa_float_round_mode_32 0
		.amdhsa_float_round_mode_16_64 0
		.amdhsa_float_denorm_mode_32 3
		.amdhsa_float_denorm_mode_16_64 3
		.amdhsa_dx10_clamp 1
		.amdhsa_ieee_mode 1
		.amdhsa_fp16_overflow 0
		.amdhsa_tg_split 0
		.amdhsa_exception_fp_ieee_invalid_op 0
		.amdhsa_exception_fp_denorm_src 0
		.amdhsa_exception_fp_ieee_div_zero 0
		.amdhsa_exception_fp_ieee_overflow 0
		.amdhsa_exception_fp_ieee_underflow 0
		.amdhsa_exception_fp_ieee_inexact 0
		.amdhsa_exception_int_div_zero 0
	.end_amdhsa_kernel
	.section	.text._ZL29rocblas_internal_gemmt_kernelIlLi16ELi32ELi8ELc84ELc84ELc76ELb0ELb0E19rocblas_complex_numIfEPKS1_S3_PS1_EviT_T9_T10_S5_lS7_S5_lS6_T11_S5_li,"axG",@progbits,_ZL29rocblas_internal_gemmt_kernelIlLi16ELi32ELi8ELc84ELc84ELc76ELb0ELb0E19rocblas_complex_numIfEPKS1_S3_PS1_EviT_T9_T10_S5_lS7_S5_lS6_T11_S5_li,comdat
.Lfunc_end229:
	.size	_ZL29rocblas_internal_gemmt_kernelIlLi16ELi32ELi8ELc84ELc84ELc76ELb0ELb0E19rocblas_complex_numIfEPKS1_S3_PS1_EviT_T9_T10_S5_lS7_S5_lS6_T11_S5_li, .Lfunc_end229-_ZL29rocblas_internal_gemmt_kernelIlLi16ELi32ELi8ELc84ELc84ELc76ELb0ELb0E19rocblas_complex_numIfEPKS1_S3_PS1_EviT_T9_T10_S5_lS7_S5_lS6_T11_S5_li
                                        ; -- End function
	.set _ZL29rocblas_internal_gemmt_kernelIlLi16ELi32ELi8ELc84ELc84ELc76ELb0ELb0E19rocblas_complex_numIfEPKS1_S3_PS1_EviT_T9_T10_S5_lS7_S5_lS6_T11_S5_li.num_vgpr, 51
	.set _ZL29rocblas_internal_gemmt_kernelIlLi16ELi32ELi8ELc84ELc84ELc76ELb0ELb0E19rocblas_complex_numIfEPKS1_S3_PS1_EviT_T9_T10_S5_lS7_S5_lS6_T11_S5_li.num_agpr, 0
	.set _ZL29rocblas_internal_gemmt_kernelIlLi16ELi32ELi8ELc84ELc84ELc76ELb0ELb0E19rocblas_complex_numIfEPKS1_S3_PS1_EviT_T9_T10_S5_lS7_S5_lS6_T11_S5_li.numbered_sgpr, 40
	.set _ZL29rocblas_internal_gemmt_kernelIlLi16ELi32ELi8ELc84ELc84ELc76ELb0ELb0E19rocblas_complex_numIfEPKS1_S3_PS1_EviT_T9_T10_S5_lS7_S5_lS6_T11_S5_li.num_named_barrier, 0
	.set _ZL29rocblas_internal_gemmt_kernelIlLi16ELi32ELi8ELc84ELc84ELc76ELb0ELb0E19rocblas_complex_numIfEPKS1_S3_PS1_EviT_T9_T10_S5_lS7_S5_lS6_T11_S5_li.private_seg_size, 0
	.set _ZL29rocblas_internal_gemmt_kernelIlLi16ELi32ELi8ELc84ELc84ELc76ELb0ELb0E19rocblas_complex_numIfEPKS1_S3_PS1_EviT_T9_T10_S5_lS7_S5_lS6_T11_S5_li.uses_vcc, 1
	.set _ZL29rocblas_internal_gemmt_kernelIlLi16ELi32ELi8ELc84ELc84ELc76ELb0ELb0E19rocblas_complex_numIfEPKS1_S3_PS1_EviT_T9_T10_S5_lS7_S5_lS6_T11_S5_li.uses_flat_scratch, 0
	.set _ZL29rocblas_internal_gemmt_kernelIlLi16ELi32ELi8ELc84ELc84ELc76ELb0ELb0E19rocblas_complex_numIfEPKS1_S3_PS1_EviT_T9_T10_S5_lS7_S5_lS6_T11_S5_li.has_dyn_sized_stack, 0
	.set _ZL29rocblas_internal_gemmt_kernelIlLi16ELi32ELi8ELc84ELc84ELc76ELb0ELb0E19rocblas_complex_numIfEPKS1_S3_PS1_EviT_T9_T10_S5_lS7_S5_lS6_T11_S5_li.has_recursion, 0
	.set _ZL29rocblas_internal_gemmt_kernelIlLi16ELi32ELi8ELc84ELc84ELc76ELb0ELb0E19rocblas_complex_numIfEPKS1_S3_PS1_EviT_T9_T10_S5_lS7_S5_lS6_T11_S5_li.has_indirect_call, 0
	.section	.AMDGPU.csdata,"",@progbits
; Kernel info:
; codeLenInByte = 2504
; TotalNumSgprs: 46
; NumVgprs: 51
; NumAgprs: 0
; TotalNumVgprs: 51
; ScratchSize: 0
; MemoryBound: 0
; FloatMode: 240
; IeeeMode: 1
; LDSByteSize: 4096 bytes/workgroup (compile time only)
; SGPRBlocks: 5
; VGPRBlocks: 6
; NumSGPRsForWavesPerEU: 46
; NumVGPRsForWavesPerEU: 51
; AccumOffset: 52
; Occupancy: 8
; WaveLimiterHint : 0
; COMPUTE_PGM_RSRC2:SCRATCH_EN: 0
; COMPUTE_PGM_RSRC2:USER_SGPR: 2
; COMPUTE_PGM_RSRC2:TRAP_HANDLER: 0
; COMPUTE_PGM_RSRC2:TGID_X_EN: 1
; COMPUTE_PGM_RSRC2:TGID_Y_EN: 1
; COMPUTE_PGM_RSRC2:TGID_Z_EN: 1
; COMPUTE_PGM_RSRC2:TIDIG_COMP_CNT: 1
; COMPUTE_PGM_RSRC3_GFX90A:ACCUM_OFFSET: 12
; COMPUTE_PGM_RSRC3_GFX90A:TG_SPLIT: 0
	.section	.text._ZL29rocblas_internal_gemmt_kernelIlLi16ELi32ELi8ELc84ELc67ELc76ELb0ELb1E19rocblas_complex_numIfEPKS1_S3_PS1_EviT_T9_T10_S5_lS7_S5_lS6_T11_S5_li,"axG",@progbits,_ZL29rocblas_internal_gemmt_kernelIlLi16ELi32ELi8ELc84ELc67ELc76ELb0ELb1E19rocblas_complex_numIfEPKS1_S3_PS1_EviT_T9_T10_S5_lS7_S5_lS6_T11_S5_li,comdat
	.globl	_ZL29rocblas_internal_gemmt_kernelIlLi16ELi32ELi8ELc84ELc67ELc76ELb0ELb1E19rocblas_complex_numIfEPKS1_S3_PS1_EviT_T9_T10_S5_lS7_S5_lS6_T11_S5_li ; -- Begin function _ZL29rocblas_internal_gemmt_kernelIlLi16ELi32ELi8ELc84ELc67ELc76ELb0ELb1E19rocblas_complex_numIfEPKS1_S3_PS1_EviT_T9_T10_S5_lS7_S5_lS6_T11_S5_li
	.p2align	8
	.type	_ZL29rocblas_internal_gemmt_kernelIlLi16ELi32ELi8ELc84ELc67ELc76ELb0ELb1E19rocblas_complex_numIfEPKS1_S3_PS1_EviT_T9_T10_S5_lS7_S5_lS6_T11_S5_li,@function
_ZL29rocblas_internal_gemmt_kernelIlLi16ELi32ELi8ELc84ELc67ELc76ELb0ELb1E19rocblas_complex_numIfEPKS1_S3_PS1_EviT_T9_T10_S5_lS7_S5_lS6_T11_S5_li: ; @_ZL29rocblas_internal_gemmt_kernelIlLi16ELi32ELi8ELc84ELc67ELc76ELb0ELb1E19rocblas_complex_numIfEPKS1_S3_PS1_EviT_T9_T10_S5_lS7_S5_lS6_T11_S5_li
; %bb.0:
	s_load_dwordx8 s[24:31], s[0:1], 0x48
	s_load_dwordx16 s[8:23], s[0:1], 0x8
	s_waitcnt lgkmcnt(0)
	s_load_dwordx2 s[6:7], s[24:25], 0x0
	s_load_dwordx2 s[34:35], s[10:11], 0x0
	s_waitcnt lgkmcnt(0)
	s_and_b32 s5, s7, 0x7fffffff
	s_cmp_eq_u32 s5, 0
	v_cmp_eq_f32_e64 s[24:25], s6, 1.0
	s_cselect_b64 s[10:11], -1, 0
	s_and_b64 s[24:25], s[24:25], s[10:11]
	s_and_b64 vcc, exec, s[24:25]
	s_cbranch_vccnz .LBB230_2
; %bb.1:
	s_mov_b64 s[24:25], -1
	s_cbranch_execz .LBB230_3
	s_branch .LBB230_4
.LBB230_2:
	s_mov_b64 s[24:25], 0
.LBB230_3:
	s_cmp_lg_u64 s[8:9], 0
	v_cmp_neq_f32_e64 s[36:37], s34, 0
	v_cmp_neq_f32_e64 s[38:39], s35, 0
	s_cselect_b64 s[24:25], -1, 0
	s_or_b64 s[36:37], s[36:37], s[38:39]
	s_and_b64 s[24:25], s[24:25], s[36:37]
.LBB230_4:
	s_andn2_b64 vcc, exec, s[24:25]
	s_cbranch_vccnz .LBB230_32
; %bb.5:
	s_load_dword s24, s[0:1], 0x0
	s_lshl_b32 s5, s2, 5
	s_lshl_b32 s25, s3, 5
	v_cmp_eq_f32_e64 s[0:1], s34, 0
	v_cmp_eq_f32_e64 s[2:3], s35, 0
	s_and_b64 s[0:1], s[0:1], s[2:3]
	v_cmp_lt_i64_e64 s[2:3], s[8:9], 1
	s_or_b64 s[0:1], s[0:1], s[2:3]
	v_and_b32_e32 v9, 0x3ff, v0
	v_bfe_u32 v11, v0, 10, 10
	v_mov_b32_e32 v30, 0
	s_and_b64 vcc, exec, s[0:1]
	v_mov_b32_e32 v32, 0
	v_mov_b32_e32 v26, 0
	;; [unrolled: 1-line block ×7, first 2 shown]
	s_cbranch_vccnz .LBB230_16
; %bb.6:
	s_mul_i32 s0, s23, s4
	s_mul_hi_u32 s1, s22, s4
	s_add_i32 s1, s1, s0
	s_mul_i32 s0, s22, s4
	s_lshl_b64 s[0:1], s[0:1], 3
	s_add_u32 s2, s18, s0
	s_addc_u32 s3, s19, s1
	s_mul_i32 s0, s17, s4
	s_mul_hi_u32 s1, s16, s4
	s_add_i32 s1, s1, s0
	s_mul_i32 s0, s16, s4
	v_lshl_add_u32 v1, v11, 4, v9
	s_lshl_b64 s[0:1], s[0:1], 3
	v_lshrrev_b32_e32 v10, 5, v1
	v_lshrrev_b32_e32 v4, 3, v1
	v_and_b32_e32 v1, 31, v1
	s_add_u32 s12, s12, s0
	v_or_b32_e32 v2, s5, v1
	s_addc_u32 s13, s13, s1
	v_lshlrev_b32_e32 v1, 3, v1
	s_ashr_i32 s18, s5, 31
	v_and_b32_e32 v8, 7, v9
	s_waitcnt lgkmcnt(0)
	v_cmp_gt_i32_e64 s[0:1], s24, v2
	v_lshl_or_b32 v19, v10, 8, v1
	v_mul_lo_u32 v1, s15, v2
	v_mad_u64_u32 v[2:3], s[16:17], s14, v2, 0
	s_mul_i32 s14, s14, s18
	v_add3_u32 v3, v3, s14, v1
	v_lshlrev_b32_e32 v1, 3, v8
	v_add_u32_e32 v0, s25, v4
	v_lshl_or_b32 v1, v4, 6, v1
	v_add_u32_e32 v21, 0x800, v1
	v_ashrrev_i32_e32 v1, 31, v0
	v_cmp_gt_i32_e32 vcc, s24, v0
	v_lshl_add_u64 v[14:15], v[0:1], 3, s[2:3]
	v_mov_b32_e32 v0, 0x800
	v_lshl_add_u64 v[12:13], v[2:3], 3, s[12:13]
	v_lshlrev_b32_e32 v23, 3, v9
	v_lshl_add_u32 v25, v11, 6, v0
	v_mov_b32_e32 v17, 0
	s_mov_b64 s[2:3], 0
	s_xor_b64 s[12:13], vcc, -1
	v_mov_b32_e32 v20, 0
	v_mov_b32_e32 v18, 0
	;; [unrolled: 1-line block ×8, first 2 shown]
	s_branch .LBB230_8
.LBB230_7:                              ;   in Loop: Header=BB230_8 Depth=1
	s_or_b64 exec, exec, s[14:15]
	ds_write_b32 v21, v0 offset:4
	s_waitcnt lgkmcnt(0)
	s_barrier
	ds_read2_b64 v[34:37], v23 offset1:16
	ds_read_b128 v[38:41], v25
	ds_read_b128 v[42:45], v25 offset:16
	ds_read_b128 v[4:7], v25 offset:32
	;; [unrolled: 1-line block ×3, first 2 shown]
	s_add_u32 s2, s2, 8
	s_waitcnt lgkmcnt(3)
	v_mul_f32_e32 v16, v39, v35
	v_mul_f32_e32 v27, v38, v35
	v_fma_f32 v16, v38, v34, -v16
	v_fmac_f32_e32 v27, v39, v34
	v_add_f32_e32 v16, v30, v16
	v_add_f32_e32 v50, v32, v27
	ds_read_b128 v[30:33], v25 offset:1024
	v_mul_f32_e32 v27, v39, v37
	v_mul_f32_e32 v29, v38, v37
	v_fma_f32 v27, v38, v36, -v27
	v_fmac_f32_e32 v29, v39, v36
	v_add_f32_e32 v38, v26, v27
	v_add_f32_e32 v39, v28, v29
	ds_read_b128 v[26:29], v25 offset:1040
	s_waitcnt lgkmcnt(1)
	v_mul_f32_e32 v46, v31, v35
	v_fma_f32 v46, v30, v34, -v46
	v_add_f32_e32 v22, v22, v46
	ds_read2_b64 v[46:49], v23 offset0:32 offset1:48
	v_mul_f32_e32 v35, v30, v35
	v_fmac_f32_e32 v35, v31, v34
	v_mul_f32_e32 v34, v31, v37
	v_fma_f32 v34, v30, v36, -v34
	v_mul_f32_e32 v30, v30, v37
	v_fmac_f32_e32 v30, v31, v36
	v_add_f32_e32 v20, v20, v30
	s_waitcnt lgkmcnt(0)
	v_mul_f32_e32 v30, v41, v47
	v_mul_f32_e32 v31, v40, v47
	v_fma_f32 v30, v40, v46, -v30
	v_fmac_f32_e32 v31, v41, v46
	v_add_f32_e32 v18, v18, v34
	v_add_f32_e32 v16, v16, v30
	;; [unrolled: 1-line block ×3, first 2 shown]
	v_mul_f32_e32 v31, v41, v49
	v_mul_f32_e32 v34, v40, v49
	v_fma_f32 v31, v40, v48, -v31
	v_fmac_f32_e32 v34, v41, v48
	v_add_f32_e32 v31, v38, v31
	v_add_f32_e32 v38, v39, v34
	v_mul_f32_e32 v34, v33, v47
	v_add_f32_e32 v24, v24, v35
	v_fma_f32 v34, v32, v46, -v34
	v_mul_f32_e32 v35, v32, v47
	v_fmac_f32_e32 v35, v33, v46
	v_add_f32_e32 v22, v22, v34
	v_mul_f32_e32 v34, v33, v49
	v_add_f32_e32 v24, v24, v35
	v_fma_f32 v39, v32, v48, -v34
	ds_read2_b64 v[34:37], v23 offset0:64 offset1:80
	v_mul_f32_e32 v32, v32, v49
	v_fmac_f32_e32 v32, v33, v48
	v_add_f32_e32 v18, v18, v39
	v_add_f32_e32 v20, v20, v32
	s_waitcnt lgkmcnt(0)
	v_mul_f32_e32 v33, v42, v35
	v_fmac_f32_e32 v33, v43, v34
	v_add_f32_e32 v39, v30, v33
	v_mul_f32_e32 v30, v43, v37
	v_mul_f32_e32 v32, v43, v35
	v_fma_f32 v30, v42, v36, -v30
	v_fma_f32 v32, v42, v34, -v32
	v_add_f32_e32 v40, v31, v30
	v_mul_f32_e32 v30, v27, v35
	v_add_f32_e32 v16, v16, v32
	v_mul_f32_e32 v32, v42, v37
	v_fma_f32 v30, v26, v34, -v30
	v_mul_f32_e32 v31, v26, v35
	v_fmac_f32_e32 v32, v43, v36
	v_fmac_f32_e32 v31, v27, v34
	v_add_f32_e32 v22, v22, v30
	v_mul_f32_e32 v30, v27, v37
	v_add_f32_e32 v38, v38, v32
	v_add_f32_e32 v24, v24, v31
	v_fma_f32 v34, v26, v36, -v30
	ds_read2_b64 v[30:33], v23 offset0:96 offset1:112
	v_mul_f32_e32 v26, v26, v37
	v_fmac_f32_e32 v26, v27, v36
	v_add_f32_e32 v20, v20, v26
	v_add_f32_e32 v18, v18, v34
	s_waitcnt lgkmcnt(0)
	v_mul_f32_e32 v26, v45, v31
	v_mul_f32_e32 v27, v44, v31
	v_fma_f32 v26, v44, v30, -v26
	v_fmac_f32_e32 v27, v45, v30
	v_add_f32_e32 v16, v16, v26
	v_add_f32_e32 v26, v39, v27
	v_mul_f32_e32 v27, v45, v33
	v_mul_f32_e32 v34, v44, v33
	v_fma_f32 v27, v44, v32, -v27
	v_fmac_f32_e32 v34, v45, v32
	v_add_f32_e32 v39, v40, v27
	v_add_f32_e32 v38, v38, v34
	v_mul_f32_e32 v27, v29, v31
	ds_read2_b64 v[34:37], v23 offset0:128 offset1:144
	v_fma_f32 v27, v28, v30, -v27
	v_add_f32_e32 v22, v22, v27
	v_mul_f32_e32 v27, v29, v33
	v_mul_f32_e32 v31, v28, v31
	v_fma_f32 v27, v28, v32, -v27
	v_mul_f32_e32 v28, v28, v33
	v_fmac_f32_e32 v28, v29, v32
	v_add_f32_e32 v20, v20, v28
	s_waitcnt lgkmcnt(0)
	v_mul_f32_e32 v28, v4, v35
	v_add_f32_e32 v18, v18, v27
	v_mul_f32_e32 v27, v5, v35
	v_fmac_f32_e32 v28, v5, v34
	v_fma_f32 v27, v4, v34, -v27
	v_add_f32_e32 v42, v26, v28
	v_mul_f32_e32 v26, v5, v37
	v_fmac_f32_e32 v31, v29, v30
	v_add_f32_e32 v16, v16, v27
	v_fma_f32 v30, v4, v36, -v26
	ds_read_b128 v[26:29], v25 offset:1056
	v_mul_f32_e32 v4, v4, v37
	v_fmac_f32_e32 v4, v5, v36
	v_add_f32_e32 v5, v39, v30
	v_add_f32_e32 v4, v38, v4
	ds_read_b128 v[38:41], v25 offset:1072
	s_waitcnt lgkmcnt(1)
	v_mul_f32_e32 v30, v27, v35
	v_add_f32_e32 v24, v24, v31
	v_fma_f32 v30, v26, v34, -v30
	v_mul_f32_e32 v31, v26, v35
	v_fmac_f32_e32 v31, v27, v34
	v_add_f32_e32 v22, v22, v30
	v_mul_f32_e32 v30, v27, v37
	v_add_f32_e32 v24, v24, v31
	v_fma_f32 v34, v26, v36, -v30
	ds_read2_b64 v[30:33], v23 offset0:160 offset1:176
	v_mul_f32_e32 v26, v26, v37
	v_fmac_f32_e32 v26, v27, v36
	v_add_f32_e32 v20, v20, v26
	v_add_f32_e32 v18, v18, v34
	s_waitcnt lgkmcnt(0)
	v_mul_f32_e32 v26, v7, v31
	v_mul_f32_e32 v27, v6, v31
	v_fma_f32 v26, v6, v30, -v26
	v_fmac_f32_e32 v27, v7, v30
	v_add_f32_e32 v16, v16, v26
	v_add_f32_e32 v26, v42, v27
	v_mul_f32_e32 v27, v7, v33
	v_fma_f32 v27, v6, v32, -v27
	v_mul_f32_e32 v6, v6, v33
	v_fmac_f32_e32 v6, v7, v32
	v_add_f32_e32 v34, v4, v6
	v_mul_f32_e32 v4, v29, v31
	v_add_f32_e32 v27, v5, v27
	v_fma_f32 v4, v28, v30, -v4
	v_mul_f32_e32 v5, v28, v31
	v_fmac_f32_e32 v5, v29, v30
	v_add_f32_e32 v22, v22, v4
	v_mul_f32_e32 v4, v29, v33
	v_add_f32_e32 v24, v24, v5
	v_fma_f32 v30, v28, v32, -v4
	ds_read2_b64 v[4:7], v23 offset0:192 offset1:208
	v_mul_f32_e32 v28, v28, v33
	v_fmac_f32_e32 v28, v29, v32
	v_add_f32_e32 v20, v20, v28
	v_add_f32_e32 v18, v18, v30
	s_waitcnt lgkmcnt(0)
	v_mul_f32_e32 v28, v1, v5
	v_fma_f32 v28, v0, v4, -v28
	v_add_f32_e32 v16, v16, v28
	v_mul_f32_e32 v28, v1, v7
	v_mul_f32_e32 v29, v0, v5
	v_fma_f32 v28, v0, v6, -v28
	v_mul_f32_e32 v0, v0, v7
	v_fmac_f32_e32 v0, v1, v6
	v_add_f32_e32 v0, v34, v0
	ds_read2_b64 v[34:37], v23 offset0:224 offset1:240
	v_fmac_f32_e32 v29, v1, v4
	v_add_f32_e32 v1, v27, v28
	v_mul_f32_e32 v27, v39, v5
	v_fma_f32 v27, v38, v4, -v27
	v_mul_f32_e32 v5, v38, v5
	v_fmac_f32_e32 v5, v39, v4
	v_add_f32_e32 v4, v22, v27
	v_mul_f32_e32 v22, v39, v7
	v_fma_f32 v22, v38, v6, -v22
	v_mul_f32_e32 v7, v38, v7
	v_fmac_f32_e32 v7, v39, v6
	v_add_f32_e32 v6, v18, v22
	s_waitcnt lgkmcnt(0)
	v_mul_f32_e32 v18, v3, v35
	v_fma_f32 v18, v2, v34, -v18
	v_add_f32_e32 v30, v16, v18
	v_mul_f32_e32 v16, v3, v37
	v_add_f32_e32 v7, v20, v7
	v_mul_f32_e32 v20, v2, v35
	v_fma_f32 v16, v2, v36, -v16
	v_mul_f32_e32 v2, v2, v37
	v_add_f32_e32 v26, v26, v29
	v_fmac_f32_e32 v20, v3, v34
	v_fmac_f32_e32 v2, v3, v36
	v_add_f32_e32 v32, v26, v20
	v_add_f32_e32 v26, v1, v16
	;; [unrolled: 1-line block ×3, first 2 shown]
	v_mul_f32_e32 v0, v41, v35
	v_mul_f32_e32 v1, v40, v35
	v_add_f32_e32 v5, v24, v5
	v_fma_f32 v0, v40, v34, -v0
	v_fmac_f32_e32 v1, v41, v34
	v_add_f32_e32 v22, v4, v0
	v_add_f32_e32 v24, v5, v1
	v_mul_f32_e32 v0, v41, v37
	v_mul_f32_e32 v1, v40, v37
	v_fma_f32 v0, v40, v36, -v0
	v_fmac_f32_e32 v1, v41, v36
	s_addc_u32 s3, s3, 0
	v_add_f32_e32 v18, v6, v0
	v_add_f32_e32 v20, v7, v1
	v_mov_b64_e32 v[0:1], s[2:3]
	v_cmp_gt_i64_e32 vcc, s[8:9], v[0:1]
	s_barrier
	s_cbranch_vccz .LBB230_16
.LBB230_8:                              ; =>This Inner Loop Header: Depth=1
	v_mov_b32_e32 v0, 0
	v_mov_b32_e32 v1, 0
	s_and_saveexec_b64 s[14:15], s[0:1]
	s_cbranch_execz .LBB230_12
; %bb.9:                                ;   in Loop: Header=BB230_8 Depth=1
	v_add_u32_e32 v16, s2, v10
	v_cmp_gt_u64_e32 vcc, s[8:9], v[16:17]
	v_mov_b32_e32 v1, 0
	v_mov_b32_e32 v0, 0
	s_and_saveexec_b64 s[16:17], vcc
	s_cbranch_execz .LBB230_11
; %bb.10:                               ;   in Loop: Header=BB230_8 Depth=1
	v_lshl_add_u64 v[0:1], v[16:17], 3, v[12:13]
	global_load_dwordx2 v[0:1], v[0:1], off
.LBB230_11:                             ;   in Loop: Header=BB230_8 Depth=1
	s_or_b64 exec, exec, s[16:17]
.LBB230_12:                             ;   in Loop: Header=BB230_8 Depth=1
	s_or_b64 exec, exec, s[14:15]
	v_add_u32_e32 v16, s2, v8
	v_cmp_le_u64_e32 vcc, s[8:9], v[16:17]
	s_or_b64 s[14:15], vcc, s[12:13]
	s_waitcnt vmcnt(0)
	ds_write_b64 v19, v[0:1]
	s_and_saveexec_b64 s[16:17], s[14:15]
	s_xor_b64 s[14:15], exec, s[16:17]
; %bb.13:                               ;   in Loop: Header=BB230_8 Depth=1
	ds_write_b32 v21, v17
; %bb.14:                               ;   in Loop: Header=BB230_8 Depth=1
	s_or_saveexec_b64 s[14:15], s[14:15]
	v_mov_b32_e32 v0, 0
	s_xor_b64 exec, exec, s[14:15]
	s_cbranch_execz .LBB230_7
; %bb.15:                               ;   in Loop: Header=BB230_8 Depth=1
	v_mad_u64_u32 v[0:1], s[16:17], s20, v16, 0
	v_mov_b32_e32 v2, v1
	v_mad_u64_u32 v[2:3], s[16:17], s21, v16, v[2:3]
	v_mov_b32_e32 v1, v2
	v_lshl_add_u64 v[0:1], v[0:1], 3, v[14:15]
	global_load_dwordx2 v[2:3], v[0:1], off
	s_waitcnt vmcnt(0)
	v_xor_b32_e32 v0, 0x80000000, v3
	ds_write_b32 v21, v2
	s_branch .LBB230_7
.LBB230_16:
	s_mul_i32 s0, s31, s4
	s_mul_hi_u32 s1, s30, s4
	s_add_i32 s1, s1, s0
	s_mul_i32 s0, s30, s4
	s_lshl_b64 s[0:1], s[0:1], 3
	v_add_u32_e32 v10, s25, v11
	s_add_u32 s8, s26, s0
	v_ashrrev_i32_e32 v1, 31, v10
	s_addc_u32 s9, s27, s1
	v_add_u32_e32 v0, s5, v9
	v_cmp_neq_f32_e64 s[0:1], s6, 0
	s_xor_b64 s[4:5], s[10:11], -1
	v_mul_lo_u32 v1, s28, v1
	v_mul_lo_u32 v4, s29, v10
	v_mad_u64_u32 v[2:3], s[2:3], s28, v10, 0
	v_add3_u32 v3, v3, v1, v4
	s_or_b64 s[0:1], s[0:1], s[4:5]
	v_lshl_add_u64 v[4:5], v[2:3], 3, s[8:9]
	v_cmp_le_i32_e32 vcc, v10, v0
	s_waitcnt lgkmcnt(0)
	v_cmp_gt_i32_e64 s[2:3], s24, v0
	v_cndmask_b32_e64 v2, 0, 1, s[0:1]
	s_and_b64 s[10:11], vcc, s[2:3]
	v_ashrrev_i32_e32 v1, 31, v0
	v_cmp_ne_u32_e64 s[0:1], 1, v2
	s_and_saveexec_b64 s[4:5], s[10:11]
	s_cbranch_execz .LBB230_20
; %bb.17:
	v_pk_mul_f32 v[6:7], v[32:33], s[34:35] op_sel:[0,1] op_sel_hi:[0,0]
	v_pk_fma_f32 v[2:3], v[30:31], s[34:35], v[6:7] op_sel_hi:[0,1,1] neg_lo:[0,0,1] neg_hi:[0,0,1]
	v_pk_fma_f32 v[8:9], v[30:31], s[34:35], v[6:7] op_sel_hi:[0,1,1]
	s_and_b64 vcc, exec, s[0:1]
	v_lshl_add_u64 v[6:7], v[0:1], 3, v[4:5]
	s_cbranch_vccnz .LBB230_19
; %bb.18:
	global_load_dwordx2 v[12:13], v[6:7], off
	s_mov_b32 s10, s7
	v_mov_b32_e32 v3, v9
	s_waitcnt vmcnt(0)
	v_pk_mul_f32 v[8:9], v[12:13], s[10:11] op_sel:[1,0] op_sel_hi:[0,0]
	v_pk_fma_f32 v[14:15], v[12:13], s[6:7], v[8:9] neg_lo:[0,0,1] neg_hi:[0,0,1]
	v_pk_fma_f32 v[8:9], v[12:13], s[6:7], v[8:9] op_sel_hi:[1,0,1]
	s_nop 0
	v_mov_b32_e32 v15, v9
	v_pk_add_f32 v[2:3], v[2:3], v[14:15]
	s_nop 0
	v_mov_b32_e32 v9, v3
.LBB230_19:
	v_mov_b32_e32 v3, v9
	global_store_dwordx2 v[6:7], v[2:3], off
.LBB230_20:
	s_or_b64 exec, exec, s[4:5]
	v_add_u32_e32 v2, 16, v0
	v_cmp_le_i32_e32 vcc, v10, v2
	v_cmp_gt_i32_e64 s[4:5], s24, v2
	s_and_b64 s[12:13], vcc, s[4:5]
	v_ashrrev_i32_e32 v3, 31, v2
	s_and_saveexec_b64 s[10:11], s[12:13]
	s_cbranch_execz .LBB230_24
; %bb.21:
	v_pk_mul_f32 v[8:9], v[28:29], s[34:35] op_sel:[0,1] op_sel_hi:[0,0]
	v_pk_fma_f32 v[6:7], v[26:27], s[34:35], v[8:9] op_sel_hi:[0,1,1] neg_lo:[0,0,1] neg_hi:[0,0,1]
	v_pk_fma_f32 v[8:9], v[26:27], s[34:35], v[8:9] op_sel_hi:[0,1,1]
	s_and_b64 vcc, exec, s[0:1]
	v_lshl_add_u64 v[4:5], v[2:3], 3, v[4:5]
	s_cbranch_vccnz .LBB230_23
; %bb.22:
	global_load_dwordx2 v[12:13], v[4:5], off
	s_mov_b32 s12, s7
	v_mov_b32_e32 v7, v9
	s_waitcnt vmcnt(0)
	v_pk_mul_f32 v[8:9], v[12:13], s[12:13] op_sel:[1,0] op_sel_hi:[0,0]
	v_pk_fma_f32 v[14:15], v[12:13], s[6:7], v[8:9] neg_lo:[0,0,1] neg_hi:[0,0,1]
	v_pk_fma_f32 v[8:9], v[12:13], s[6:7], v[8:9] op_sel_hi:[1,0,1]
	s_nop 0
	v_mov_b32_e32 v15, v9
	v_pk_add_f32 v[6:7], v[6:7], v[14:15]
	s_nop 0
	v_mov_b32_e32 v9, v7
.LBB230_23:
	v_mov_b32_e32 v7, v9
	global_store_dwordx2 v[4:5], v[6:7], off
.LBB230_24:
	s_or_b64 exec, exec, s[10:11]
	v_add_u32_e32 v10, 16, v10
	v_ashrrev_i32_e32 v4, 31, v10
	v_mul_lo_u32 v6, s28, v4
	v_mul_lo_u32 v7, s29, v10
	v_mad_u64_u32 v[4:5], s[10:11], s28, v10, 0
	v_add3_u32 v5, v5, v6, v7
	v_cmp_le_i32_e32 vcc, v10, v0
	v_lshl_add_u64 v[4:5], v[4:5], 3, s[8:9]
	s_and_b64 s[8:9], vcc, s[2:3]
	s_and_saveexec_b64 s[2:3], s[8:9]
	s_cbranch_execz .LBB230_28
; %bb.25:
	v_pk_mul_f32 v[8:9], v[24:25], s[34:35] op_sel:[0,1] op_sel_hi:[0,0]
	v_pk_fma_f32 v[6:7], v[22:23], s[34:35], v[8:9] op_sel_hi:[0,1,1] neg_lo:[0,0,1] neg_hi:[0,0,1]
	v_pk_fma_f32 v[8:9], v[22:23], s[34:35], v[8:9] op_sel_hi:[0,1,1]
	s_and_b64 vcc, exec, s[0:1]
	v_lshl_add_u64 v[0:1], v[0:1], 3, v[4:5]
	s_cbranch_vccnz .LBB230_27
; %bb.26:
	global_load_dwordx2 v[12:13], v[0:1], off
	s_mov_b32 s8, s7
	v_mov_b32_e32 v7, v9
	s_waitcnt vmcnt(0)
	v_pk_mul_f32 v[8:9], v[12:13], s[8:9] op_sel:[1,0] op_sel_hi:[0,0]
	v_pk_fma_f32 v[14:15], v[12:13], s[6:7], v[8:9] neg_lo:[0,0,1] neg_hi:[0,0,1]
	v_pk_fma_f32 v[8:9], v[12:13], s[6:7], v[8:9] op_sel_hi:[1,0,1]
	s_nop 0
	v_mov_b32_e32 v15, v9
	v_pk_add_f32 v[6:7], v[6:7], v[14:15]
	s_nop 0
	v_mov_b32_e32 v9, v7
.LBB230_27:
	v_mov_b32_e32 v7, v9
	global_store_dwordx2 v[0:1], v[6:7], off
.LBB230_28:
	s_or_b64 exec, exec, s[2:3]
	v_cmp_le_i32_e32 vcc, v10, v2
	s_and_b64 s[2:3], vcc, s[4:5]
	s_and_saveexec_b64 s[4:5], s[2:3]
	s_cbranch_execz .LBB230_32
; %bb.29:
	v_pk_mul_f32 v[6:7], v[20:21], s[34:35] op_sel:[0,1] op_sel_hi:[0,0]
	v_pk_fma_f32 v[0:1], v[18:19], s[34:35], v[6:7] op_sel_hi:[0,1,1] neg_lo:[0,0,1] neg_hi:[0,0,1]
	v_pk_fma_f32 v[6:7], v[18:19], s[34:35], v[6:7] op_sel_hi:[0,1,1]
	s_and_b64 vcc, exec, s[0:1]
	v_lshl_add_u64 v[2:3], v[2:3], 3, v[4:5]
	s_cbranch_vccnz .LBB230_31
; %bb.30:
	global_load_dwordx2 v[4:5], v[2:3], off
	s_mov_b32 s0, s7
	v_mov_b32_e32 v1, v7
	s_waitcnt vmcnt(0)
	v_pk_mul_f32 v[6:7], v[4:5], s[0:1] op_sel:[1,0] op_sel_hi:[0,0]
	v_pk_fma_f32 v[8:9], v[4:5], s[6:7], v[6:7] neg_lo:[0,0,1] neg_hi:[0,0,1]
	v_pk_fma_f32 v[4:5], v[4:5], s[6:7], v[6:7] op_sel_hi:[1,0,1]
	s_nop 0
	v_mov_b32_e32 v9, v5
	v_pk_add_f32 v[0:1], v[0:1], v[8:9]
	s_nop 0
	v_mov_b32_e32 v7, v1
.LBB230_31:
	v_mov_b32_e32 v1, v7
	global_store_dwordx2 v[2:3], v[0:1], off
.LBB230_32:
	s_endpgm
	.section	.rodata,"a",@progbits
	.p2align	6, 0x0
	.amdhsa_kernel _ZL29rocblas_internal_gemmt_kernelIlLi16ELi32ELi8ELc84ELc67ELc76ELb0ELb1E19rocblas_complex_numIfEPKS1_S3_PS1_EviT_T9_T10_S5_lS7_S5_lS6_T11_S5_li
		.amdhsa_group_segment_fixed_size 4096
		.amdhsa_private_segment_fixed_size 0
		.amdhsa_kernarg_size 108
		.amdhsa_user_sgpr_count 2
		.amdhsa_user_sgpr_dispatch_ptr 0
		.amdhsa_user_sgpr_queue_ptr 0
		.amdhsa_user_sgpr_kernarg_segment_ptr 1
		.amdhsa_user_sgpr_dispatch_id 0
		.amdhsa_user_sgpr_kernarg_preload_length 0
		.amdhsa_user_sgpr_kernarg_preload_offset 0
		.amdhsa_user_sgpr_private_segment_size 0
		.amdhsa_uses_dynamic_stack 0
		.amdhsa_enable_private_segment 0
		.amdhsa_system_sgpr_workgroup_id_x 1
		.amdhsa_system_sgpr_workgroup_id_y 1
		.amdhsa_system_sgpr_workgroup_id_z 1
		.amdhsa_system_sgpr_workgroup_info 0
		.amdhsa_system_vgpr_workitem_id 1
		.amdhsa_next_free_vgpr 51
		.amdhsa_next_free_sgpr 40
		.amdhsa_accum_offset 52
		.amdhsa_reserve_vcc 1
		.amdhsa_float_round_mode_32 0
		.amdhsa_float_round_mode_16_64 0
		.amdhsa_float_denorm_mode_32 3
		.amdhsa_float_denorm_mode_16_64 3
		.amdhsa_dx10_clamp 1
		.amdhsa_ieee_mode 1
		.amdhsa_fp16_overflow 0
		.amdhsa_tg_split 0
		.amdhsa_exception_fp_ieee_invalid_op 0
		.amdhsa_exception_fp_denorm_src 0
		.amdhsa_exception_fp_ieee_div_zero 0
		.amdhsa_exception_fp_ieee_overflow 0
		.amdhsa_exception_fp_ieee_underflow 0
		.amdhsa_exception_fp_ieee_inexact 0
		.amdhsa_exception_int_div_zero 0
	.end_amdhsa_kernel
	.section	.text._ZL29rocblas_internal_gemmt_kernelIlLi16ELi32ELi8ELc84ELc67ELc76ELb0ELb1E19rocblas_complex_numIfEPKS1_S3_PS1_EviT_T9_T10_S5_lS7_S5_lS6_T11_S5_li,"axG",@progbits,_ZL29rocblas_internal_gemmt_kernelIlLi16ELi32ELi8ELc84ELc67ELc76ELb0ELb1E19rocblas_complex_numIfEPKS1_S3_PS1_EviT_T9_T10_S5_lS7_S5_lS6_T11_S5_li,comdat
.Lfunc_end230:
	.size	_ZL29rocblas_internal_gemmt_kernelIlLi16ELi32ELi8ELc84ELc67ELc76ELb0ELb1E19rocblas_complex_numIfEPKS1_S3_PS1_EviT_T9_T10_S5_lS7_S5_lS6_T11_S5_li, .Lfunc_end230-_ZL29rocblas_internal_gemmt_kernelIlLi16ELi32ELi8ELc84ELc67ELc76ELb0ELb1E19rocblas_complex_numIfEPKS1_S3_PS1_EviT_T9_T10_S5_lS7_S5_lS6_T11_S5_li
                                        ; -- End function
	.set _ZL29rocblas_internal_gemmt_kernelIlLi16ELi32ELi8ELc84ELc67ELc76ELb0ELb1E19rocblas_complex_numIfEPKS1_S3_PS1_EviT_T9_T10_S5_lS7_S5_lS6_T11_S5_li.num_vgpr, 51
	.set _ZL29rocblas_internal_gemmt_kernelIlLi16ELi32ELi8ELc84ELc67ELc76ELb0ELb1E19rocblas_complex_numIfEPKS1_S3_PS1_EviT_T9_T10_S5_lS7_S5_lS6_T11_S5_li.num_agpr, 0
	.set _ZL29rocblas_internal_gemmt_kernelIlLi16ELi32ELi8ELc84ELc67ELc76ELb0ELb1E19rocblas_complex_numIfEPKS1_S3_PS1_EviT_T9_T10_S5_lS7_S5_lS6_T11_S5_li.numbered_sgpr, 40
	.set _ZL29rocblas_internal_gemmt_kernelIlLi16ELi32ELi8ELc84ELc67ELc76ELb0ELb1E19rocblas_complex_numIfEPKS1_S3_PS1_EviT_T9_T10_S5_lS7_S5_lS6_T11_S5_li.num_named_barrier, 0
	.set _ZL29rocblas_internal_gemmt_kernelIlLi16ELi32ELi8ELc84ELc67ELc76ELb0ELb1E19rocblas_complex_numIfEPKS1_S3_PS1_EviT_T9_T10_S5_lS7_S5_lS6_T11_S5_li.private_seg_size, 0
	.set _ZL29rocblas_internal_gemmt_kernelIlLi16ELi32ELi8ELc84ELc67ELc76ELb0ELb1E19rocblas_complex_numIfEPKS1_S3_PS1_EviT_T9_T10_S5_lS7_S5_lS6_T11_S5_li.uses_vcc, 1
	.set _ZL29rocblas_internal_gemmt_kernelIlLi16ELi32ELi8ELc84ELc67ELc76ELb0ELb1E19rocblas_complex_numIfEPKS1_S3_PS1_EviT_T9_T10_S5_lS7_S5_lS6_T11_S5_li.uses_flat_scratch, 0
	.set _ZL29rocblas_internal_gemmt_kernelIlLi16ELi32ELi8ELc84ELc67ELc76ELb0ELb1E19rocblas_complex_numIfEPKS1_S3_PS1_EviT_T9_T10_S5_lS7_S5_lS6_T11_S5_li.has_dyn_sized_stack, 0
	.set _ZL29rocblas_internal_gemmt_kernelIlLi16ELi32ELi8ELc84ELc67ELc76ELb0ELb1E19rocblas_complex_numIfEPKS1_S3_PS1_EviT_T9_T10_S5_lS7_S5_lS6_T11_S5_li.has_recursion, 0
	.set _ZL29rocblas_internal_gemmt_kernelIlLi16ELi32ELi8ELc84ELc67ELc76ELb0ELb1E19rocblas_complex_numIfEPKS1_S3_PS1_EviT_T9_T10_S5_lS7_S5_lS6_T11_S5_li.has_indirect_call, 0
	.section	.AMDGPU.csdata,"",@progbits
; Kernel info:
; codeLenInByte = 2536
; TotalNumSgprs: 46
; NumVgprs: 51
; NumAgprs: 0
; TotalNumVgprs: 51
; ScratchSize: 0
; MemoryBound: 0
; FloatMode: 240
; IeeeMode: 1
; LDSByteSize: 4096 bytes/workgroup (compile time only)
; SGPRBlocks: 5
; VGPRBlocks: 6
; NumSGPRsForWavesPerEU: 46
; NumVGPRsForWavesPerEU: 51
; AccumOffset: 52
; Occupancy: 8
; WaveLimiterHint : 0
; COMPUTE_PGM_RSRC2:SCRATCH_EN: 0
; COMPUTE_PGM_RSRC2:USER_SGPR: 2
; COMPUTE_PGM_RSRC2:TRAP_HANDLER: 0
; COMPUTE_PGM_RSRC2:TGID_X_EN: 1
; COMPUTE_PGM_RSRC2:TGID_Y_EN: 1
; COMPUTE_PGM_RSRC2:TGID_Z_EN: 1
; COMPUTE_PGM_RSRC2:TIDIG_COMP_CNT: 1
; COMPUTE_PGM_RSRC3_GFX90A:ACCUM_OFFSET: 12
; COMPUTE_PGM_RSRC3_GFX90A:TG_SPLIT: 0
	.section	.text._ZL29rocblas_internal_gemmt_kernelIlLi16ELi32ELi8ELc67ELc78ELc76ELb1ELb0E19rocblas_complex_numIfEPKS1_S3_PS1_EviT_T9_T10_S5_lS7_S5_lS6_T11_S5_li,"axG",@progbits,_ZL29rocblas_internal_gemmt_kernelIlLi16ELi32ELi8ELc67ELc78ELc76ELb1ELb0E19rocblas_complex_numIfEPKS1_S3_PS1_EviT_T9_T10_S5_lS7_S5_lS6_T11_S5_li,comdat
	.globl	_ZL29rocblas_internal_gemmt_kernelIlLi16ELi32ELi8ELc67ELc78ELc76ELb1ELb0E19rocblas_complex_numIfEPKS1_S3_PS1_EviT_T9_T10_S5_lS7_S5_lS6_T11_S5_li ; -- Begin function _ZL29rocblas_internal_gemmt_kernelIlLi16ELi32ELi8ELc67ELc78ELc76ELb1ELb0E19rocblas_complex_numIfEPKS1_S3_PS1_EviT_T9_T10_S5_lS7_S5_lS6_T11_S5_li
	.p2align	8
	.type	_ZL29rocblas_internal_gemmt_kernelIlLi16ELi32ELi8ELc67ELc78ELc76ELb1ELb0E19rocblas_complex_numIfEPKS1_S3_PS1_EviT_T9_T10_S5_lS7_S5_lS6_T11_S5_li,@function
_ZL29rocblas_internal_gemmt_kernelIlLi16ELi32ELi8ELc67ELc78ELc76ELb1ELb0E19rocblas_complex_numIfEPKS1_S3_PS1_EviT_T9_T10_S5_lS7_S5_lS6_T11_S5_li: ; @_ZL29rocblas_internal_gemmt_kernelIlLi16ELi32ELi8ELc67ELc78ELc76ELb1ELb0E19rocblas_complex_numIfEPKS1_S3_PS1_EviT_T9_T10_S5_lS7_S5_lS6_T11_S5_li
; %bb.0:
	s_load_dwordx8 s[24:31], s[0:1], 0x48
	s_load_dwordx16 s[8:23], s[0:1], 0x8
	s_waitcnt lgkmcnt(0)
	s_load_dwordx2 s[6:7], s[24:25], 0x0
	s_load_dwordx2 s[34:35], s[10:11], 0x0
	s_waitcnt lgkmcnt(0)
	s_and_b32 s5, s7, 0x7fffffff
	s_cmp_eq_u32 s5, 0
	v_cmp_eq_f32_e64 s[24:25], s6, 1.0
	s_cselect_b64 s[10:11], -1, 0
	s_and_b64 s[24:25], s[24:25], s[10:11]
	s_and_b64 vcc, exec, s[24:25]
	s_cbranch_vccnz .LBB231_2
; %bb.1:
	s_mov_b64 s[24:25], -1
	s_cbranch_execz .LBB231_3
	s_branch .LBB231_4
.LBB231_2:
	s_mov_b64 s[24:25], 0
.LBB231_3:
	s_cmp_lg_u64 s[8:9], 0
	v_cmp_neq_f32_e64 s[36:37], s34, 0
	v_cmp_neq_f32_e64 s[38:39], s35, 0
	s_cselect_b64 s[24:25], -1, 0
	s_or_b64 s[36:37], s[36:37], s[38:39]
	s_and_b64 s[24:25], s[24:25], s[36:37]
.LBB231_4:
	s_andn2_b64 vcc, exec, s[24:25]
	s_cbranch_vccnz .LBB231_32
; %bb.5:
	s_load_dword s24, s[0:1], 0x0
	s_lshl_b32 s5, s2, 5
	s_lshl_b32 s25, s3, 5
	v_cmp_eq_f32_e64 s[0:1], s34, 0
	v_cmp_eq_f32_e64 s[2:3], s35, 0
	s_and_b64 s[0:1], s[0:1], s[2:3]
	v_cmp_lt_i64_e64 s[2:3], s[8:9], 1
	s_or_b64 s[0:1], s[0:1], s[2:3]
	v_and_b32_e32 v9, 0x3ff, v0
	v_bfe_u32 v11, v0, 10, 10
	v_mov_b32_e32 v32, 0
	s_and_b64 vcc, exec, s[0:1]
	v_mov_b32_e32 v34, 0
	v_mov_b32_e32 v28, 0
	;; [unrolled: 1-line block ×7, first 2 shown]
	s_cbranch_vccnz .LBB231_16
; %bb.6:
	s_mul_i32 s0, s23, s4
	s_mul_hi_u32 s1, s22, s4
	s_add_i32 s1, s1, s0
	s_mul_i32 s0, s22, s4
	s_lshl_b64 s[0:1], s[0:1], 3
	s_add_u32 s18, s18, s0
	s_addc_u32 s19, s19, s1
	s_mul_i32 s0, s17, s4
	s_mul_hi_u32 s1, s16, s4
	s_add_i32 s1, s1, s0
	s_mul_i32 s0, s16, s4
	v_lshl_add_u32 v0, v11, 4, v9
	s_lshl_b64 s[0:1], s[0:1], 3
	v_lshrrev_b32_e32 v10, 5, v0
	v_lshrrev_b32_e32 v2, 3, v0
	v_and_b32_e32 v0, 31, v0
	s_add_u32 s2, s12, s0
	v_or_b32_e32 v1, s5, v0
	s_addc_u32 s3, s13, s1
	v_lshlrev_b32_e32 v0, 3, v0
	s_ashr_i32 s22, s5, 31
	s_waitcnt lgkmcnt(0)
	v_cmp_gt_i32_e64 s[0:1], s24, v1
	v_cmp_le_i32_e64 s[12:13], s24, v1
	v_lshl_or_b32 v21, v10, 8, v0
	v_mul_lo_u32 v4, s15, v1
	v_mad_u64_u32 v[0:1], s[16:17], s14, v1, 0
	s_mul_i32 s14, s14, s22
	v_and_b32_e32 v8, 7, v9
	v_add3_u32 v1, v1, s14, v4
	v_lshl_add_u64 v[12:13], v[0:1], 3, s[2:3]
	v_lshlrev_b32_e32 v0, 3, v8
	v_add_u32_e32 v3, s25, v2
	v_lshl_or_b32 v0, v2, 6, v0
	v_add_u32_e32 v23, 0x800, v0
	v_ashrrev_i32_e32 v0, 31, v3
	v_mul_lo_u32 v2, s20, v0
	v_mul_lo_u32 v4, s21, v3
	v_mad_u64_u32 v[0:1], s[14:15], s20, v3, 0
	v_add3_u32 v1, v1, v2, v4
	v_lshl_add_u64 v[14:15], v[0:1], 3, s[18:19]
	v_mov_b32_e32 v0, 0x800
	v_cmp_gt_i32_e64 s[2:3], s24, v3
	v_lshlrev_b32_e32 v25, 3, v9
	v_lshl_add_u32 v27, v11, 6, v0
	v_mov_b32_e32 v17, 0
	s_mov_b64 s[14:15], 0
	v_mov_b32_e32 v22, 0
	v_mov_b32_e32 v20, 0
	v_mov_b32_e32 v26, 0
	v_mov_b32_e32 v24, 0
	v_mov_b32_e32 v30, 0
	v_mov_b32_e32 v28, 0
	v_mov_b32_e32 v34, 0
	v_mov_b32_e32 v32, 0
                                        ; implicit-def: $vgpr18_vgpr19
	s_branch .LBB231_8
.LBB231_7:                              ;   in Loop: Header=BB231_8 Depth=1
	s_or_b64 exec, exec, s[16:17]
	s_waitcnt vmcnt(0)
	ds_write_b64 v23, v[2:3]
	s_waitcnt lgkmcnt(0)
	s_barrier
	ds_read2_b64 v[36:39], v25 offset1:16
	ds_read_b128 v[40:43], v27
	ds_read_b128 v[44:47], v27 offset:16
	ds_read_b128 v[4:7], v27 offset:32
	;; [unrolled: 1-line block ×3, first 2 shown]
	s_add_u32 s14, s14, 8
	s_waitcnt lgkmcnt(3)
	v_mul_f32_e32 v16, v41, v37
	v_mul_f32_e32 v29, v40, v37
	v_fma_f32 v16, v40, v36, -v16
	v_fmac_f32_e32 v29, v41, v36
	v_add_f32_e32 v16, v32, v16
	v_add_f32_e32 v52, v34, v29
	ds_read_b128 v[32:35], v27 offset:1024
	v_mul_f32_e32 v29, v41, v39
	v_mul_f32_e32 v31, v40, v39
	v_fma_f32 v29, v40, v38, -v29
	v_fmac_f32_e32 v31, v41, v38
	v_add_f32_e32 v40, v28, v29
	v_add_f32_e32 v41, v30, v31
	ds_read_b128 v[28:31], v27 offset:1040
	s_waitcnt lgkmcnt(1)
	v_mul_f32_e32 v48, v33, v37
	v_fma_f32 v48, v32, v36, -v48
	v_add_f32_e32 v24, v24, v48
	ds_read2_b64 v[48:51], v25 offset0:32 offset1:48
	v_mul_f32_e32 v37, v32, v37
	v_fmac_f32_e32 v37, v33, v36
	v_mul_f32_e32 v36, v33, v39
	v_fma_f32 v36, v32, v38, -v36
	v_mul_f32_e32 v32, v32, v39
	v_fmac_f32_e32 v32, v33, v38
	v_add_f32_e32 v22, v22, v32
	s_waitcnt lgkmcnt(0)
	v_mul_f32_e32 v32, v43, v49
	v_mul_f32_e32 v33, v42, v49
	v_fma_f32 v32, v42, v48, -v32
	v_fmac_f32_e32 v33, v43, v48
	v_add_f32_e32 v20, v20, v36
	v_add_f32_e32 v16, v16, v32
	;; [unrolled: 1-line block ×3, first 2 shown]
	v_mul_f32_e32 v33, v43, v51
	v_mul_f32_e32 v36, v42, v51
	v_fma_f32 v33, v42, v50, -v33
	v_fmac_f32_e32 v36, v43, v50
	v_add_f32_e32 v33, v40, v33
	v_add_f32_e32 v40, v41, v36
	v_mul_f32_e32 v36, v35, v49
	v_add_f32_e32 v26, v26, v37
	v_fma_f32 v36, v34, v48, -v36
	v_mul_f32_e32 v37, v34, v49
	v_fmac_f32_e32 v37, v35, v48
	v_add_f32_e32 v24, v24, v36
	v_mul_f32_e32 v36, v35, v51
	v_add_f32_e32 v26, v26, v37
	v_fma_f32 v41, v34, v50, -v36
	ds_read2_b64 v[36:39], v25 offset0:64 offset1:80
	v_mul_f32_e32 v34, v34, v51
	v_fmac_f32_e32 v34, v35, v50
	v_add_f32_e32 v20, v20, v41
	v_add_f32_e32 v22, v22, v34
	s_waitcnt lgkmcnt(0)
	v_mul_f32_e32 v35, v44, v37
	v_fmac_f32_e32 v35, v45, v36
	v_add_f32_e32 v41, v32, v35
	v_mul_f32_e32 v32, v45, v39
	v_mul_f32_e32 v34, v45, v37
	v_fma_f32 v32, v44, v38, -v32
	v_fma_f32 v34, v44, v36, -v34
	v_add_f32_e32 v42, v33, v32
	v_mul_f32_e32 v32, v29, v37
	v_add_f32_e32 v16, v16, v34
	v_mul_f32_e32 v34, v44, v39
	v_fma_f32 v32, v28, v36, -v32
	v_mul_f32_e32 v33, v28, v37
	v_fmac_f32_e32 v34, v45, v38
	v_fmac_f32_e32 v33, v29, v36
	v_add_f32_e32 v24, v24, v32
	v_mul_f32_e32 v32, v29, v39
	v_add_f32_e32 v40, v40, v34
	v_add_f32_e32 v26, v26, v33
	v_fma_f32 v36, v28, v38, -v32
	ds_read2_b64 v[32:35], v25 offset0:96 offset1:112
	v_mul_f32_e32 v28, v28, v39
	v_fmac_f32_e32 v28, v29, v38
	v_add_f32_e32 v22, v22, v28
	v_add_f32_e32 v20, v20, v36
	s_waitcnt lgkmcnt(0)
	v_mul_f32_e32 v28, v47, v33
	v_mul_f32_e32 v29, v46, v33
	v_fma_f32 v28, v46, v32, -v28
	v_fmac_f32_e32 v29, v47, v32
	v_add_f32_e32 v16, v16, v28
	v_add_f32_e32 v28, v41, v29
	v_mul_f32_e32 v29, v47, v35
	v_mul_f32_e32 v36, v46, v35
	v_fma_f32 v29, v46, v34, -v29
	v_fmac_f32_e32 v36, v47, v34
	v_add_f32_e32 v41, v42, v29
	v_add_f32_e32 v40, v40, v36
	v_mul_f32_e32 v29, v31, v33
	ds_read2_b64 v[36:39], v25 offset0:128 offset1:144
	v_fma_f32 v29, v30, v32, -v29
	v_add_f32_e32 v24, v24, v29
	v_mul_f32_e32 v29, v31, v35
	v_mul_f32_e32 v33, v30, v33
	v_fma_f32 v29, v30, v34, -v29
	v_mul_f32_e32 v30, v30, v35
	v_fmac_f32_e32 v30, v31, v34
	v_add_f32_e32 v22, v22, v30
	s_waitcnt lgkmcnt(0)
	v_mul_f32_e32 v30, v4, v37
	v_add_f32_e32 v20, v20, v29
	v_mul_f32_e32 v29, v5, v37
	v_fmac_f32_e32 v30, v5, v36
	v_fma_f32 v29, v4, v36, -v29
	v_add_f32_e32 v44, v28, v30
	v_mul_f32_e32 v28, v5, v39
	v_fmac_f32_e32 v33, v31, v32
	v_add_f32_e32 v16, v16, v29
	v_fma_f32 v32, v4, v38, -v28
	ds_read_b128 v[28:31], v27 offset:1056
	v_mul_f32_e32 v4, v4, v39
	v_fmac_f32_e32 v4, v5, v38
	v_add_f32_e32 v5, v41, v32
	v_add_f32_e32 v4, v40, v4
	ds_read_b128 v[40:43], v27 offset:1072
	s_waitcnt lgkmcnt(1)
	v_mul_f32_e32 v32, v29, v37
	v_add_f32_e32 v26, v26, v33
	v_fma_f32 v32, v28, v36, -v32
	v_mul_f32_e32 v33, v28, v37
	v_fmac_f32_e32 v33, v29, v36
	v_add_f32_e32 v24, v24, v32
	v_mul_f32_e32 v32, v29, v39
	v_add_f32_e32 v26, v26, v33
	v_fma_f32 v36, v28, v38, -v32
	ds_read2_b64 v[32:35], v25 offset0:160 offset1:176
	v_mul_f32_e32 v28, v28, v39
	v_fmac_f32_e32 v28, v29, v38
	v_add_f32_e32 v22, v22, v28
	v_add_f32_e32 v20, v20, v36
	s_waitcnt lgkmcnt(0)
	v_mul_f32_e32 v28, v7, v33
	v_mul_f32_e32 v29, v6, v33
	v_fma_f32 v28, v6, v32, -v28
	v_fmac_f32_e32 v29, v7, v32
	v_add_f32_e32 v16, v16, v28
	v_add_f32_e32 v28, v44, v29
	v_mul_f32_e32 v29, v7, v35
	v_fma_f32 v29, v6, v34, -v29
	v_mul_f32_e32 v6, v6, v35
	v_fmac_f32_e32 v6, v7, v34
	v_add_f32_e32 v36, v4, v6
	v_mul_f32_e32 v4, v31, v33
	v_add_f32_e32 v29, v5, v29
	v_fma_f32 v4, v30, v32, -v4
	v_mul_f32_e32 v5, v30, v33
	v_fmac_f32_e32 v5, v31, v32
	v_add_f32_e32 v24, v24, v4
	v_mul_f32_e32 v4, v31, v35
	v_add_f32_e32 v26, v26, v5
	v_fma_f32 v32, v30, v34, -v4
	ds_read2_b64 v[4:7], v25 offset0:192 offset1:208
	v_mul_f32_e32 v30, v30, v35
	v_fmac_f32_e32 v30, v31, v34
	v_add_f32_e32 v22, v22, v30
	v_add_f32_e32 v20, v20, v32
	s_waitcnt lgkmcnt(0)
	v_mul_f32_e32 v30, v1, v5
	v_fma_f32 v30, v0, v4, -v30
	v_add_f32_e32 v16, v16, v30
	v_mul_f32_e32 v30, v1, v7
	v_mul_f32_e32 v31, v0, v5
	v_fma_f32 v30, v0, v6, -v30
	v_mul_f32_e32 v0, v0, v7
	v_fmac_f32_e32 v0, v1, v6
	v_add_f32_e32 v0, v36, v0
	ds_read2_b64 v[36:39], v25 offset0:224 offset1:240
	v_fmac_f32_e32 v31, v1, v4
	v_add_f32_e32 v1, v29, v30
	v_mul_f32_e32 v29, v41, v5
	v_fma_f32 v29, v40, v4, -v29
	v_mul_f32_e32 v5, v40, v5
	v_fmac_f32_e32 v5, v41, v4
	v_add_f32_e32 v4, v24, v29
	v_mul_f32_e32 v24, v41, v7
	v_fma_f32 v24, v40, v6, -v24
	v_mul_f32_e32 v7, v40, v7
	v_fmac_f32_e32 v7, v41, v6
	v_add_f32_e32 v6, v20, v24
	s_waitcnt lgkmcnt(0)
	v_mul_f32_e32 v20, v3, v37
	v_fma_f32 v20, v2, v36, -v20
	v_add_f32_e32 v32, v16, v20
	v_mul_f32_e32 v16, v3, v39
	v_add_f32_e32 v7, v22, v7
	v_mul_f32_e32 v22, v2, v37
	v_fma_f32 v16, v2, v38, -v16
	v_mul_f32_e32 v2, v2, v39
	v_add_f32_e32 v28, v28, v31
	v_fmac_f32_e32 v22, v3, v36
	v_fmac_f32_e32 v2, v3, v38
	v_add_f32_e32 v34, v28, v22
	v_add_f32_e32 v28, v1, v16
	;; [unrolled: 1-line block ×3, first 2 shown]
	v_mul_f32_e32 v0, v43, v37
	v_mul_f32_e32 v1, v42, v37
	v_add_f32_e32 v5, v26, v5
	v_fma_f32 v0, v42, v36, -v0
	v_fmac_f32_e32 v1, v43, v36
	v_add_f32_e32 v24, v4, v0
	v_add_f32_e32 v26, v5, v1
	v_mul_f32_e32 v0, v43, v39
	v_mul_f32_e32 v1, v42, v39
	v_fma_f32 v0, v42, v38, -v0
	v_fmac_f32_e32 v1, v43, v38
	s_addc_u32 s15, s15, 0
	v_add_f32_e32 v20, v6, v0
	v_add_f32_e32 v22, v7, v1
	v_mov_b64_e32 v[0:1], s[14:15]
	v_cmp_gt_i64_e32 vcc, s[8:9], v[0:1]
	s_barrier
	s_cbranch_vccz .LBB231_16
.LBB231_8:                              ; =>This Inner Loop Header: Depth=1
	s_mov_b64 s[20:21], s[12:13]
	s_mov_b64 s[16:17], 0
	s_and_saveexec_b64 s[18:19], s[0:1]
; %bb.9:                                ;   in Loop: Header=BB231_8 Depth=1
	v_add_u32_e32 v16, s14, v10
	v_cmp_le_u64_e32 vcc, s[8:9], v[16:17]
	s_andn2_b64 s[20:21], s[12:13], exec
	s_and_b64 s[22:23], vcc, exec
	s_mov_b64 s[16:17], exec
	s_or_b64 s[20:21], s[20:21], s[22:23]
	v_mov_b64_e32 v[18:19], v[16:17]
; %bb.10:                               ;   in Loop: Header=BB231_8 Depth=1
	s_or_b64 exec, exec, s[18:19]
	s_and_saveexec_b64 s[18:19], s[20:21]
	s_xor_b64 s[18:19], exec, s[18:19]
; %bb.11:                               ;   in Loop: Header=BB231_8 Depth=1
	ds_write_b32 v21, v17
	s_andn2_b64 s[16:17], s[16:17], exec
; %bb.12:                               ;   in Loop: Header=BB231_8 Depth=1
	s_or_b64 exec, exec, s[18:19]
	v_mov_b32_e32 v2, 0
	v_mov_b32_e32 v0, 0
	s_and_saveexec_b64 s[18:19], s[16:17]
	s_cbranch_execz .LBB231_14
; %bb.13:                               ;   in Loop: Header=BB231_8 Depth=1
	v_lshl_add_u64 v[0:1], v[18:19], 3, v[12:13]
	global_load_dwordx2 v[4:5], v[0:1], off
	s_waitcnt vmcnt(0)
	v_xor_b32_e32 v0, 0x80000000, v5
	ds_write_b32 v21, v4
.LBB231_14:                             ;   in Loop: Header=BB231_8 Depth=1
	s_or_b64 exec, exec, s[18:19]
	v_add_u32_e32 v16, s14, v8
	v_cmp_gt_u64_e32 vcc, s[8:9], v[16:17]
	s_and_b64 s[18:19], vcc, s[2:3]
	v_mov_b32_e32 v3, 0
	ds_write_b32 v21, v0 offset:4
	s_and_saveexec_b64 s[16:17], s[18:19]
	s_cbranch_execz .LBB231_7
; %bb.15:                               ;   in Loop: Header=BB231_8 Depth=1
	v_lshl_add_u64 v[0:1], v[16:17], 3, v[14:15]
	global_load_dwordx2 v[2:3], v[0:1], off
	s_branch .LBB231_7
.LBB231_16:
	s_mul_i32 s0, s31, s4
	s_mul_hi_u32 s1, s30, s4
	s_add_i32 s1, s1, s0
	s_mul_i32 s0, s30, s4
	s_lshl_b64 s[0:1], s[0:1], 3
	v_add_u32_e32 v10, s25, v11
	s_add_u32 s8, s26, s0
	v_ashrrev_i32_e32 v1, 31, v10
	s_addc_u32 s9, s27, s1
	v_add_u32_e32 v0, s5, v9
	v_cmp_neq_f32_e64 s[0:1], s6, 0
	s_xor_b64 s[4:5], s[10:11], -1
	v_mul_lo_u32 v1, s28, v1
	v_mul_lo_u32 v4, s29, v10
	v_mad_u64_u32 v[2:3], s[2:3], s28, v10, 0
	v_add3_u32 v3, v3, v1, v4
	s_or_b64 s[0:1], s[0:1], s[4:5]
	v_lshl_add_u64 v[4:5], v[2:3], 3, s[8:9]
	v_cmp_le_i32_e32 vcc, v10, v0
	s_waitcnt lgkmcnt(0)
	v_cmp_gt_i32_e64 s[2:3], s24, v0
	v_cndmask_b32_e64 v2, 0, 1, s[0:1]
	s_and_b64 s[10:11], vcc, s[2:3]
	v_ashrrev_i32_e32 v1, 31, v0
	v_cmp_ne_u32_e64 s[0:1], 1, v2
	s_and_saveexec_b64 s[4:5], s[10:11]
	s_cbranch_execz .LBB231_20
; %bb.17:
	v_pk_mul_f32 v[6:7], v[34:35], s[34:35] op_sel:[0,1] op_sel_hi:[0,0]
	v_pk_fma_f32 v[2:3], v[32:33], s[34:35], v[6:7] op_sel_hi:[0,1,1] neg_lo:[0,0,1] neg_hi:[0,0,1]
	v_pk_fma_f32 v[8:9], v[32:33], s[34:35], v[6:7] op_sel_hi:[0,1,1]
	s_and_b64 vcc, exec, s[0:1]
	v_lshl_add_u64 v[6:7], v[0:1], 3, v[4:5]
	s_cbranch_vccnz .LBB231_19
; %bb.18:
	global_load_dwordx2 v[12:13], v[6:7], off
	s_mov_b32 s10, s7
	v_mov_b32_e32 v3, v9
	s_waitcnt vmcnt(0)
	v_pk_mul_f32 v[8:9], v[12:13], s[10:11] op_sel:[1,0] op_sel_hi:[0,0]
	v_pk_fma_f32 v[14:15], v[12:13], s[6:7], v[8:9] neg_lo:[0,0,1] neg_hi:[0,0,1]
	v_pk_fma_f32 v[8:9], v[12:13], s[6:7], v[8:9] op_sel_hi:[1,0,1]
	s_nop 0
	v_mov_b32_e32 v15, v9
	v_pk_add_f32 v[2:3], v[2:3], v[14:15]
	s_nop 0
	v_mov_b32_e32 v9, v3
.LBB231_19:
	v_mov_b32_e32 v3, v9
	global_store_dwordx2 v[6:7], v[2:3], off
.LBB231_20:
	s_or_b64 exec, exec, s[4:5]
	v_add_u32_e32 v2, 16, v0
	v_cmp_le_i32_e32 vcc, v10, v2
	v_cmp_gt_i32_e64 s[4:5], s24, v2
	s_and_b64 s[12:13], vcc, s[4:5]
	v_ashrrev_i32_e32 v3, 31, v2
	s_and_saveexec_b64 s[10:11], s[12:13]
	s_cbranch_execz .LBB231_24
; %bb.21:
	v_pk_mul_f32 v[8:9], v[30:31], s[34:35] op_sel:[0,1] op_sel_hi:[0,0]
	v_pk_fma_f32 v[6:7], v[28:29], s[34:35], v[8:9] op_sel_hi:[0,1,1] neg_lo:[0,0,1] neg_hi:[0,0,1]
	v_pk_fma_f32 v[8:9], v[28:29], s[34:35], v[8:9] op_sel_hi:[0,1,1]
	s_and_b64 vcc, exec, s[0:1]
	v_lshl_add_u64 v[4:5], v[2:3], 3, v[4:5]
	s_cbranch_vccnz .LBB231_23
; %bb.22:
	global_load_dwordx2 v[12:13], v[4:5], off
	s_mov_b32 s12, s7
	v_mov_b32_e32 v7, v9
	s_waitcnt vmcnt(0)
	v_pk_mul_f32 v[8:9], v[12:13], s[12:13] op_sel:[1,0] op_sel_hi:[0,0]
	v_pk_fma_f32 v[14:15], v[12:13], s[6:7], v[8:9] neg_lo:[0,0,1] neg_hi:[0,0,1]
	v_pk_fma_f32 v[8:9], v[12:13], s[6:7], v[8:9] op_sel_hi:[1,0,1]
	s_nop 0
	v_mov_b32_e32 v15, v9
	v_pk_add_f32 v[6:7], v[6:7], v[14:15]
	s_nop 0
	v_mov_b32_e32 v9, v7
.LBB231_23:
	v_mov_b32_e32 v7, v9
	global_store_dwordx2 v[4:5], v[6:7], off
.LBB231_24:
	s_or_b64 exec, exec, s[10:11]
	v_add_u32_e32 v10, 16, v10
	v_ashrrev_i32_e32 v4, 31, v10
	v_mul_lo_u32 v6, s28, v4
	v_mul_lo_u32 v7, s29, v10
	v_mad_u64_u32 v[4:5], s[10:11], s28, v10, 0
	v_add3_u32 v5, v5, v6, v7
	v_cmp_le_i32_e32 vcc, v10, v0
	v_lshl_add_u64 v[4:5], v[4:5], 3, s[8:9]
	s_and_b64 s[8:9], vcc, s[2:3]
	s_and_saveexec_b64 s[2:3], s[8:9]
	s_cbranch_execz .LBB231_28
; %bb.25:
	v_pk_mul_f32 v[8:9], v[26:27], s[34:35] op_sel:[0,1] op_sel_hi:[0,0]
	v_pk_fma_f32 v[6:7], v[24:25], s[34:35], v[8:9] op_sel_hi:[0,1,1] neg_lo:[0,0,1] neg_hi:[0,0,1]
	v_pk_fma_f32 v[8:9], v[24:25], s[34:35], v[8:9] op_sel_hi:[0,1,1]
	s_and_b64 vcc, exec, s[0:1]
	v_lshl_add_u64 v[0:1], v[0:1], 3, v[4:5]
	s_cbranch_vccnz .LBB231_27
; %bb.26:
	global_load_dwordx2 v[12:13], v[0:1], off
	s_mov_b32 s8, s7
	v_mov_b32_e32 v7, v9
	s_waitcnt vmcnt(0)
	v_pk_mul_f32 v[8:9], v[12:13], s[8:9] op_sel:[1,0] op_sel_hi:[0,0]
	v_pk_fma_f32 v[14:15], v[12:13], s[6:7], v[8:9] neg_lo:[0,0,1] neg_hi:[0,0,1]
	v_pk_fma_f32 v[8:9], v[12:13], s[6:7], v[8:9] op_sel_hi:[1,0,1]
	s_nop 0
	v_mov_b32_e32 v15, v9
	v_pk_add_f32 v[6:7], v[6:7], v[14:15]
	s_nop 0
	v_mov_b32_e32 v9, v7
.LBB231_27:
	v_mov_b32_e32 v7, v9
	global_store_dwordx2 v[0:1], v[6:7], off
.LBB231_28:
	s_or_b64 exec, exec, s[2:3]
	v_cmp_le_i32_e32 vcc, v10, v2
	s_and_b64 s[2:3], vcc, s[4:5]
	s_and_saveexec_b64 s[4:5], s[2:3]
	s_cbranch_execz .LBB231_32
; %bb.29:
	v_pk_mul_f32 v[6:7], v[22:23], s[34:35] op_sel:[0,1] op_sel_hi:[0,0]
	v_pk_fma_f32 v[0:1], v[20:21], s[34:35], v[6:7] op_sel_hi:[0,1,1] neg_lo:[0,0,1] neg_hi:[0,0,1]
	v_pk_fma_f32 v[6:7], v[20:21], s[34:35], v[6:7] op_sel_hi:[0,1,1]
	s_and_b64 vcc, exec, s[0:1]
	v_lshl_add_u64 v[2:3], v[2:3], 3, v[4:5]
	s_cbranch_vccnz .LBB231_31
; %bb.30:
	global_load_dwordx2 v[4:5], v[2:3], off
	s_mov_b32 s0, s7
	v_mov_b32_e32 v1, v7
	s_waitcnt vmcnt(0)
	v_pk_mul_f32 v[6:7], v[4:5], s[0:1] op_sel:[1,0] op_sel_hi:[0,0]
	v_pk_fma_f32 v[8:9], v[4:5], s[6:7], v[6:7] neg_lo:[0,0,1] neg_hi:[0,0,1]
	v_pk_fma_f32 v[4:5], v[4:5], s[6:7], v[6:7] op_sel_hi:[1,0,1]
	s_nop 0
	v_mov_b32_e32 v9, v5
	v_pk_add_f32 v[0:1], v[0:1], v[8:9]
	s_nop 0
	v_mov_b32_e32 v7, v1
.LBB231_31:
	v_mov_b32_e32 v1, v7
	global_store_dwordx2 v[2:3], v[0:1], off
.LBB231_32:
	s_endpgm
	.section	.rodata,"a",@progbits
	.p2align	6, 0x0
	.amdhsa_kernel _ZL29rocblas_internal_gemmt_kernelIlLi16ELi32ELi8ELc67ELc78ELc76ELb1ELb0E19rocblas_complex_numIfEPKS1_S3_PS1_EviT_T9_T10_S5_lS7_S5_lS6_T11_S5_li
		.amdhsa_group_segment_fixed_size 4096
		.amdhsa_private_segment_fixed_size 0
		.amdhsa_kernarg_size 108
		.amdhsa_user_sgpr_count 2
		.amdhsa_user_sgpr_dispatch_ptr 0
		.amdhsa_user_sgpr_queue_ptr 0
		.amdhsa_user_sgpr_kernarg_segment_ptr 1
		.amdhsa_user_sgpr_dispatch_id 0
		.amdhsa_user_sgpr_kernarg_preload_length 0
		.amdhsa_user_sgpr_kernarg_preload_offset 0
		.amdhsa_user_sgpr_private_segment_size 0
		.amdhsa_uses_dynamic_stack 0
		.amdhsa_enable_private_segment 0
		.amdhsa_system_sgpr_workgroup_id_x 1
		.amdhsa_system_sgpr_workgroup_id_y 1
		.amdhsa_system_sgpr_workgroup_id_z 1
		.amdhsa_system_sgpr_workgroup_info 0
		.amdhsa_system_vgpr_workitem_id 1
		.amdhsa_next_free_vgpr 53
		.amdhsa_next_free_sgpr 40
		.amdhsa_accum_offset 56
		.amdhsa_reserve_vcc 1
		.amdhsa_float_round_mode_32 0
		.amdhsa_float_round_mode_16_64 0
		.amdhsa_float_denorm_mode_32 3
		.amdhsa_float_denorm_mode_16_64 3
		.amdhsa_dx10_clamp 1
		.amdhsa_ieee_mode 1
		.amdhsa_fp16_overflow 0
		.amdhsa_tg_split 0
		.amdhsa_exception_fp_ieee_invalid_op 0
		.amdhsa_exception_fp_denorm_src 0
		.amdhsa_exception_fp_ieee_div_zero 0
		.amdhsa_exception_fp_ieee_overflow 0
		.amdhsa_exception_fp_ieee_underflow 0
		.amdhsa_exception_fp_ieee_inexact 0
		.amdhsa_exception_int_div_zero 0
	.end_amdhsa_kernel
	.section	.text._ZL29rocblas_internal_gemmt_kernelIlLi16ELi32ELi8ELc67ELc78ELc76ELb1ELb0E19rocblas_complex_numIfEPKS1_S3_PS1_EviT_T9_T10_S5_lS7_S5_lS6_T11_S5_li,"axG",@progbits,_ZL29rocblas_internal_gemmt_kernelIlLi16ELi32ELi8ELc67ELc78ELc76ELb1ELb0E19rocblas_complex_numIfEPKS1_S3_PS1_EviT_T9_T10_S5_lS7_S5_lS6_T11_S5_li,comdat
.Lfunc_end231:
	.size	_ZL29rocblas_internal_gemmt_kernelIlLi16ELi32ELi8ELc67ELc78ELc76ELb1ELb0E19rocblas_complex_numIfEPKS1_S3_PS1_EviT_T9_T10_S5_lS7_S5_lS6_T11_S5_li, .Lfunc_end231-_ZL29rocblas_internal_gemmt_kernelIlLi16ELi32ELi8ELc67ELc78ELc76ELb1ELb0E19rocblas_complex_numIfEPKS1_S3_PS1_EviT_T9_T10_S5_lS7_S5_lS6_T11_S5_li
                                        ; -- End function
	.set _ZL29rocblas_internal_gemmt_kernelIlLi16ELi32ELi8ELc67ELc78ELc76ELb1ELb0E19rocblas_complex_numIfEPKS1_S3_PS1_EviT_T9_T10_S5_lS7_S5_lS6_T11_S5_li.num_vgpr, 53
	.set _ZL29rocblas_internal_gemmt_kernelIlLi16ELi32ELi8ELc67ELc78ELc76ELb1ELb0E19rocblas_complex_numIfEPKS1_S3_PS1_EviT_T9_T10_S5_lS7_S5_lS6_T11_S5_li.num_agpr, 0
	.set _ZL29rocblas_internal_gemmt_kernelIlLi16ELi32ELi8ELc67ELc78ELc76ELb1ELb0E19rocblas_complex_numIfEPKS1_S3_PS1_EviT_T9_T10_S5_lS7_S5_lS6_T11_S5_li.numbered_sgpr, 40
	.set _ZL29rocblas_internal_gemmt_kernelIlLi16ELi32ELi8ELc67ELc78ELc76ELb1ELb0E19rocblas_complex_numIfEPKS1_S3_PS1_EviT_T9_T10_S5_lS7_S5_lS6_T11_S5_li.num_named_barrier, 0
	.set _ZL29rocblas_internal_gemmt_kernelIlLi16ELi32ELi8ELc67ELc78ELc76ELb1ELb0E19rocblas_complex_numIfEPKS1_S3_PS1_EviT_T9_T10_S5_lS7_S5_lS6_T11_S5_li.private_seg_size, 0
	.set _ZL29rocblas_internal_gemmt_kernelIlLi16ELi32ELi8ELc67ELc78ELc76ELb1ELb0E19rocblas_complex_numIfEPKS1_S3_PS1_EviT_T9_T10_S5_lS7_S5_lS6_T11_S5_li.uses_vcc, 1
	.set _ZL29rocblas_internal_gemmt_kernelIlLi16ELi32ELi8ELc67ELc78ELc76ELb1ELb0E19rocblas_complex_numIfEPKS1_S3_PS1_EviT_T9_T10_S5_lS7_S5_lS6_T11_S5_li.uses_flat_scratch, 0
	.set _ZL29rocblas_internal_gemmt_kernelIlLi16ELi32ELi8ELc67ELc78ELc76ELb1ELb0E19rocblas_complex_numIfEPKS1_S3_PS1_EviT_T9_T10_S5_lS7_S5_lS6_T11_S5_li.has_dyn_sized_stack, 0
	.set _ZL29rocblas_internal_gemmt_kernelIlLi16ELi32ELi8ELc67ELc78ELc76ELb1ELb0E19rocblas_complex_numIfEPKS1_S3_PS1_EviT_T9_T10_S5_lS7_S5_lS6_T11_S5_li.has_recursion, 0
	.set _ZL29rocblas_internal_gemmt_kernelIlLi16ELi32ELi8ELc67ELc78ELc76ELb1ELb0E19rocblas_complex_numIfEPKS1_S3_PS1_EviT_T9_T10_S5_lS7_S5_lS6_T11_S5_li.has_indirect_call, 0
	.section	.AMDGPU.csdata,"",@progbits
; Kernel info:
; codeLenInByte = 2572
; TotalNumSgprs: 46
; NumVgprs: 53
; NumAgprs: 0
; TotalNumVgprs: 53
; ScratchSize: 0
; MemoryBound: 0
; FloatMode: 240
; IeeeMode: 1
; LDSByteSize: 4096 bytes/workgroup (compile time only)
; SGPRBlocks: 5
; VGPRBlocks: 6
; NumSGPRsForWavesPerEU: 46
; NumVGPRsForWavesPerEU: 53
; AccumOffset: 56
; Occupancy: 8
; WaveLimiterHint : 0
; COMPUTE_PGM_RSRC2:SCRATCH_EN: 0
; COMPUTE_PGM_RSRC2:USER_SGPR: 2
; COMPUTE_PGM_RSRC2:TRAP_HANDLER: 0
; COMPUTE_PGM_RSRC2:TGID_X_EN: 1
; COMPUTE_PGM_RSRC2:TGID_Y_EN: 1
; COMPUTE_PGM_RSRC2:TGID_Z_EN: 1
; COMPUTE_PGM_RSRC2:TIDIG_COMP_CNT: 1
; COMPUTE_PGM_RSRC3_GFX90A:ACCUM_OFFSET: 13
; COMPUTE_PGM_RSRC3_GFX90A:TG_SPLIT: 0
	.section	.text._ZL29rocblas_internal_gemmt_kernelIlLi16ELi32ELi8ELc67ELc84ELc76ELb1ELb0E19rocblas_complex_numIfEPKS1_S3_PS1_EviT_T9_T10_S5_lS7_S5_lS6_T11_S5_li,"axG",@progbits,_ZL29rocblas_internal_gemmt_kernelIlLi16ELi32ELi8ELc67ELc84ELc76ELb1ELb0E19rocblas_complex_numIfEPKS1_S3_PS1_EviT_T9_T10_S5_lS7_S5_lS6_T11_S5_li,comdat
	.globl	_ZL29rocblas_internal_gemmt_kernelIlLi16ELi32ELi8ELc67ELc84ELc76ELb1ELb0E19rocblas_complex_numIfEPKS1_S3_PS1_EviT_T9_T10_S5_lS7_S5_lS6_T11_S5_li ; -- Begin function _ZL29rocblas_internal_gemmt_kernelIlLi16ELi32ELi8ELc67ELc84ELc76ELb1ELb0E19rocblas_complex_numIfEPKS1_S3_PS1_EviT_T9_T10_S5_lS7_S5_lS6_T11_S5_li
	.p2align	8
	.type	_ZL29rocblas_internal_gemmt_kernelIlLi16ELi32ELi8ELc67ELc84ELc76ELb1ELb0E19rocblas_complex_numIfEPKS1_S3_PS1_EviT_T9_T10_S5_lS7_S5_lS6_T11_S5_li,@function
_ZL29rocblas_internal_gemmt_kernelIlLi16ELi32ELi8ELc67ELc84ELc76ELb1ELb0E19rocblas_complex_numIfEPKS1_S3_PS1_EviT_T9_T10_S5_lS7_S5_lS6_T11_S5_li: ; @_ZL29rocblas_internal_gemmt_kernelIlLi16ELi32ELi8ELc67ELc84ELc76ELb1ELb0E19rocblas_complex_numIfEPKS1_S3_PS1_EviT_T9_T10_S5_lS7_S5_lS6_T11_S5_li
; %bb.0:
	s_load_dwordx8 s[24:31], s[0:1], 0x48
	s_load_dwordx16 s[8:23], s[0:1], 0x8
	s_waitcnt lgkmcnt(0)
	s_load_dwordx2 s[6:7], s[24:25], 0x0
	s_load_dwordx2 s[34:35], s[10:11], 0x0
	s_waitcnt lgkmcnt(0)
	s_and_b32 s5, s7, 0x7fffffff
	s_cmp_eq_u32 s5, 0
	v_cmp_eq_f32_e64 s[24:25], s6, 1.0
	s_cselect_b64 s[10:11], -1, 0
	s_and_b64 s[24:25], s[24:25], s[10:11]
	s_and_b64 vcc, exec, s[24:25]
	s_cbranch_vccnz .LBB232_2
; %bb.1:
	s_mov_b64 s[24:25], -1
	s_cbranch_execz .LBB232_3
	s_branch .LBB232_4
.LBB232_2:
	s_mov_b64 s[24:25], 0
.LBB232_3:
	s_cmp_lg_u64 s[8:9], 0
	v_cmp_neq_f32_e64 s[36:37], s34, 0
	v_cmp_neq_f32_e64 s[38:39], s35, 0
	s_cselect_b64 s[24:25], -1, 0
	s_or_b64 s[36:37], s[36:37], s[38:39]
	s_and_b64 s[24:25], s[24:25], s[36:37]
.LBB232_4:
	s_andn2_b64 vcc, exec, s[24:25]
	s_cbranch_vccnz .LBB232_32
; %bb.5:
	s_load_dword s24, s[0:1], 0x0
	s_lshl_b32 s5, s2, 5
	s_lshl_b32 s25, s3, 5
	v_cmp_eq_f32_e64 s[0:1], s34, 0
	v_cmp_eq_f32_e64 s[2:3], s35, 0
	s_and_b64 s[0:1], s[0:1], s[2:3]
	v_cmp_lt_i64_e64 s[2:3], s[8:9], 1
	s_or_b64 s[0:1], s[0:1], s[2:3]
	v_and_b32_e32 v9, 0x3ff, v0
	v_bfe_u32 v11, v0, 10, 10
	v_mov_b32_e32 v32, 0
	s_and_b64 vcc, exec, s[0:1]
	v_mov_b32_e32 v34, 0
	v_mov_b32_e32 v28, 0
	;; [unrolled: 1-line block ×7, first 2 shown]
	s_cbranch_vccnz .LBB232_16
; %bb.6:
	s_mul_i32 s0, s23, s4
	s_mul_hi_u32 s1, s22, s4
	s_add_i32 s1, s1, s0
	s_mul_i32 s0, s22, s4
	s_lshl_b64 s[0:1], s[0:1], 3
	s_add_u32 s18, s18, s0
	s_addc_u32 s19, s19, s1
	s_mul_i32 s0, s17, s4
	s_mul_hi_u32 s1, s16, s4
	s_add_i32 s1, s1, s0
	s_mul_i32 s0, s16, s4
	v_lshl_add_u32 v1, v11, 4, v9
	s_lshl_b64 s[0:1], s[0:1], 3
	v_lshrrev_b32_e32 v10, 5, v1
	v_lshrrev_b32_e32 v4, 3, v1
	v_and_b32_e32 v1, 31, v1
	s_add_u32 s2, s12, s0
	v_or_b32_e32 v2, s5, v1
	s_addc_u32 s3, s13, s1
	v_lshlrev_b32_e32 v1, 3, v1
	s_ashr_i32 s22, s5, 31
	v_and_b32_e32 v8, 7, v9
	s_waitcnt lgkmcnt(0)
	v_cmp_gt_i32_e64 s[0:1], s24, v2
	v_cmp_le_i32_e64 s[12:13], s24, v2
	v_lshl_or_b32 v21, v10, 8, v1
	v_mul_lo_u32 v1, s15, v2
	v_mad_u64_u32 v[2:3], s[16:17], s14, v2, 0
	s_mul_i32 s14, s14, s22
	v_add3_u32 v3, v3, s14, v1
	v_lshlrev_b32_e32 v1, 3, v8
	v_add_u32_e32 v0, s25, v4
	v_lshl_or_b32 v1, v4, 6, v1
	v_add_u32_e32 v23, 0x800, v1
	v_ashrrev_i32_e32 v1, 31, v0
	v_lshl_add_u64 v[12:13], v[2:3], 3, s[2:3]
	v_cmp_gt_i32_e64 s[2:3], s24, v0
	v_lshl_add_u64 v[14:15], v[0:1], 3, s[18:19]
	v_mov_b32_e32 v0, 0x800
	v_lshlrev_b32_e32 v25, 3, v9
	v_lshl_add_u32 v27, v11, 6, v0
	v_mov_b32_e32 v17, 0
	s_mov_b64 s[14:15], 0
	v_mov_b32_e32 v22, 0
	v_mov_b32_e32 v20, 0
	;; [unrolled: 1-line block ×8, first 2 shown]
                                        ; implicit-def: $vgpr18_vgpr19
	s_branch .LBB232_8
.LBB232_7:                              ;   in Loop: Header=BB232_8 Depth=1
	s_or_b64 exec, exec, s[16:17]
	s_waitcnt vmcnt(0)
	ds_write_b64 v23, v[2:3]
	s_waitcnt lgkmcnt(0)
	s_barrier
	ds_read2_b64 v[36:39], v25 offset1:16
	ds_read_b128 v[40:43], v27
	ds_read_b128 v[44:47], v27 offset:16
	ds_read_b128 v[4:7], v27 offset:32
	;; [unrolled: 1-line block ×3, first 2 shown]
	s_add_u32 s14, s14, 8
	s_waitcnt lgkmcnt(3)
	v_mul_f32_e32 v16, v41, v37
	v_mul_f32_e32 v29, v40, v37
	v_fma_f32 v16, v40, v36, -v16
	v_fmac_f32_e32 v29, v41, v36
	v_add_f32_e32 v16, v32, v16
	v_add_f32_e32 v52, v34, v29
	ds_read_b128 v[32:35], v27 offset:1024
	v_mul_f32_e32 v29, v41, v39
	v_mul_f32_e32 v31, v40, v39
	v_fma_f32 v29, v40, v38, -v29
	v_fmac_f32_e32 v31, v41, v38
	v_add_f32_e32 v40, v28, v29
	v_add_f32_e32 v41, v30, v31
	ds_read_b128 v[28:31], v27 offset:1040
	s_waitcnt lgkmcnt(1)
	v_mul_f32_e32 v48, v33, v37
	v_fma_f32 v48, v32, v36, -v48
	v_add_f32_e32 v24, v24, v48
	ds_read2_b64 v[48:51], v25 offset0:32 offset1:48
	v_mul_f32_e32 v37, v32, v37
	v_fmac_f32_e32 v37, v33, v36
	v_mul_f32_e32 v36, v33, v39
	v_fma_f32 v36, v32, v38, -v36
	v_mul_f32_e32 v32, v32, v39
	v_fmac_f32_e32 v32, v33, v38
	v_add_f32_e32 v22, v22, v32
	s_waitcnt lgkmcnt(0)
	v_mul_f32_e32 v32, v43, v49
	v_mul_f32_e32 v33, v42, v49
	v_fma_f32 v32, v42, v48, -v32
	v_fmac_f32_e32 v33, v43, v48
	v_add_f32_e32 v20, v20, v36
	v_add_f32_e32 v16, v16, v32
	;; [unrolled: 1-line block ×3, first 2 shown]
	v_mul_f32_e32 v33, v43, v51
	v_mul_f32_e32 v36, v42, v51
	v_fma_f32 v33, v42, v50, -v33
	v_fmac_f32_e32 v36, v43, v50
	v_add_f32_e32 v33, v40, v33
	v_add_f32_e32 v40, v41, v36
	v_mul_f32_e32 v36, v35, v49
	v_add_f32_e32 v26, v26, v37
	v_fma_f32 v36, v34, v48, -v36
	v_mul_f32_e32 v37, v34, v49
	v_fmac_f32_e32 v37, v35, v48
	v_add_f32_e32 v24, v24, v36
	v_mul_f32_e32 v36, v35, v51
	v_add_f32_e32 v26, v26, v37
	v_fma_f32 v41, v34, v50, -v36
	ds_read2_b64 v[36:39], v25 offset0:64 offset1:80
	v_mul_f32_e32 v34, v34, v51
	v_fmac_f32_e32 v34, v35, v50
	v_add_f32_e32 v20, v20, v41
	v_add_f32_e32 v22, v22, v34
	s_waitcnt lgkmcnt(0)
	v_mul_f32_e32 v35, v44, v37
	v_fmac_f32_e32 v35, v45, v36
	v_add_f32_e32 v41, v32, v35
	v_mul_f32_e32 v32, v45, v39
	v_mul_f32_e32 v34, v45, v37
	v_fma_f32 v32, v44, v38, -v32
	v_fma_f32 v34, v44, v36, -v34
	v_add_f32_e32 v42, v33, v32
	v_mul_f32_e32 v32, v29, v37
	v_add_f32_e32 v16, v16, v34
	v_mul_f32_e32 v34, v44, v39
	v_fma_f32 v32, v28, v36, -v32
	v_mul_f32_e32 v33, v28, v37
	v_fmac_f32_e32 v34, v45, v38
	v_fmac_f32_e32 v33, v29, v36
	v_add_f32_e32 v24, v24, v32
	v_mul_f32_e32 v32, v29, v39
	v_add_f32_e32 v40, v40, v34
	v_add_f32_e32 v26, v26, v33
	v_fma_f32 v36, v28, v38, -v32
	ds_read2_b64 v[32:35], v25 offset0:96 offset1:112
	v_mul_f32_e32 v28, v28, v39
	v_fmac_f32_e32 v28, v29, v38
	v_add_f32_e32 v22, v22, v28
	v_add_f32_e32 v20, v20, v36
	s_waitcnt lgkmcnt(0)
	v_mul_f32_e32 v28, v47, v33
	v_mul_f32_e32 v29, v46, v33
	v_fma_f32 v28, v46, v32, -v28
	v_fmac_f32_e32 v29, v47, v32
	v_add_f32_e32 v16, v16, v28
	v_add_f32_e32 v28, v41, v29
	v_mul_f32_e32 v29, v47, v35
	v_mul_f32_e32 v36, v46, v35
	v_fma_f32 v29, v46, v34, -v29
	v_fmac_f32_e32 v36, v47, v34
	v_add_f32_e32 v41, v42, v29
	v_add_f32_e32 v40, v40, v36
	v_mul_f32_e32 v29, v31, v33
	ds_read2_b64 v[36:39], v25 offset0:128 offset1:144
	v_fma_f32 v29, v30, v32, -v29
	v_add_f32_e32 v24, v24, v29
	v_mul_f32_e32 v29, v31, v35
	v_mul_f32_e32 v33, v30, v33
	v_fma_f32 v29, v30, v34, -v29
	v_mul_f32_e32 v30, v30, v35
	v_fmac_f32_e32 v30, v31, v34
	v_add_f32_e32 v22, v22, v30
	s_waitcnt lgkmcnt(0)
	v_mul_f32_e32 v30, v4, v37
	v_add_f32_e32 v20, v20, v29
	v_mul_f32_e32 v29, v5, v37
	v_fmac_f32_e32 v30, v5, v36
	v_fma_f32 v29, v4, v36, -v29
	v_add_f32_e32 v44, v28, v30
	v_mul_f32_e32 v28, v5, v39
	v_fmac_f32_e32 v33, v31, v32
	v_add_f32_e32 v16, v16, v29
	v_fma_f32 v32, v4, v38, -v28
	ds_read_b128 v[28:31], v27 offset:1056
	v_mul_f32_e32 v4, v4, v39
	v_fmac_f32_e32 v4, v5, v38
	v_add_f32_e32 v5, v41, v32
	v_add_f32_e32 v4, v40, v4
	ds_read_b128 v[40:43], v27 offset:1072
	s_waitcnt lgkmcnt(1)
	v_mul_f32_e32 v32, v29, v37
	v_add_f32_e32 v26, v26, v33
	v_fma_f32 v32, v28, v36, -v32
	v_mul_f32_e32 v33, v28, v37
	v_fmac_f32_e32 v33, v29, v36
	v_add_f32_e32 v24, v24, v32
	v_mul_f32_e32 v32, v29, v39
	v_add_f32_e32 v26, v26, v33
	v_fma_f32 v36, v28, v38, -v32
	ds_read2_b64 v[32:35], v25 offset0:160 offset1:176
	v_mul_f32_e32 v28, v28, v39
	v_fmac_f32_e32 v28, v29, v38
	v_add_f32_e32 v22, v22, v28
	v_add_f32_e32 v20, v20, v36
	s_waitcnt lgkmcnt(0)
	v_mul_f32_e32 v28, v7, v33
	v_mul_f32_e32 v29, v6, v33
	v_fma_f32 v28, v6, v32, -v28
	v_fmac_f32_e32 v29, v7, v32
	v_add_f32_e32 v16, v16, v28
	v_add_f32_e32 v28, v44, v29
	v_mul_f32_e32 v29, v7, v35
	v_fma_f32 v29, v6, v34, -v29
	v_mul_f32_e32 v6, v6, v35
	v_fmac_f32_e32 v6, v7, v34
	v_add_f32_e32 v36, v4, v6
	v_mul_f32_e32 v4, v31, v33
	v_add_f32_e32 v29, v5, v29
	v_fma_f32 v4, v30, v32, -v4
	v_mul_f32_e32 v5, v30, v33
	v_fmac_f32_e32 v5, v31, v32
	v_add_f32_e32 v24, v24, v4
	v_mul_f32_e32 v4, v31, v35
	v_add_f32_e32 v26, v26, v5
	v_fma_f32 v32, v30, v34, -v4
	ds_read2_b64 v[4:7], v25 offset0:192 offset1:208
	v_mul_f32_e32 v30, v30, v35
	v_fmac_f32_e32 v30, v31, v34
	v_add_f32_e32 v22, v22, v30
	v_add_f32_e32 v20, v20, v32
	s_waitcnt lgkmcnt(0)
	v_mul_f32_e32 v30, v1, v5
	v_fma_f32 v30, v0, v4, -v30
	v_add_f32_e32 v16, v16, v30
	v_mul_f32_e32 v30, v1, v7
	v_mul_f32_e32 v31, v0, v5
	v_fma_f32 v30, v0, v6, -v30
	v_mul_f32_e32 v0, v0, v7
	v_fmac_f32_e32 v0, v1, v6
	v_add_f32_e32 v0, v36, v0
	ds_read2_b64 v[36:39], v25 offset0:224 offset1:240
	v_fmac_f32_e32 v31, v1, v4
	v_add_f32_e32 v1, v29, v30
	v_mul_f32_e32 v29, v41, v5
	v_fma_f32 v29, v40, v4, -v29
	v_mul_f32_e32 v5, v40, v5
	v_fmac_f32_e32 v5, v41, v4
	v_add_f32_e32 v4, v24, v29
	v_mul_f32_e32 v24, v41, v7
	v_fma_f32 v24, v40, v6, -v24
	v_mul_f32_e32 v7, v40, v7
	v_fmac_f32_e32 v7, v41, v6
	v_add_f32_e32 v6, v20, v24
	s_waitcnt lgkmcnt(0)
	v_mul_f32_e32 v20, v3, v37
	v_fma_f32 v20, v2, v36, -v20
	v_add_f32_e32 v32, v16, v20
	v_mul_f32_e32 v16, v3, v39
	v_add_f32_e32 v7, v22, v7
	v_mul_f32_e32 v22, v2, v37
	v_fma_f32 v16, v2, v38, -v16
	v_mul_f32_e32 v2, v2, v39
	v_add_f32_e32 v28, v28, v31
	v_fmac_f32_e32 v22, v3, v36
	v_fmac_f32_e32 v2, v3, v38
	v_add_f32_e32 v34, v28, v22
	v_add_f32_e32 v28, v1, v16
	;; [unrolled: 1-line block ×3, first 2 shown]
	v_mul_f32_e32 v0, v43, v37
	v_mul_f32_e32 v1, v42, v37
	v_add_f32_e32 v5, v26, v5
	v_fma_f32 v0, v42, v36, -v0
	v_fmac_f32_e32 v1, v43, v36
	v_add_f32_e32 v24, v4, v0
	v_add_f32_e32 v26, v5, v1
	v_mul_f32_e32 v0, v43, v39
	v_mul_f32_e32 v1, v42, v39
	v_fma_f32 v0, v42, v38, -v0
	v_fmac_f32_e32 v1, v43, v38
	s_addc_u32 s15, s15, 0
	v_add_f32_e32 v20, v6, v0
	v_add_f32_e32 v22, v7, v1
	v_mov_b64_e32 v[0:1], s[14:15]
	v_cmp_gt_i64_e32 vcc, s[8:9], v[0:1]
	s_barrier
	s_cbranch_vccz .LBB232_16
.LBB232_8:                              ; =>This Inner Loop Header: Depth=1
	s_mov_b64 s[22:23], s[12:13]
	s_mov_b64 s[16:17], 0
	s_and_saveexec_b64 s[18:19], s[0:1]
; %bb.9:                                ;   in Loop: Header=BB232_8 Depth=1
	v_add_u32_e32 v16, s14, v10
	v_cmp_le_u64_e32 vcc, s[8:9], v[16:17]
	s_andn2_b64 s[22:23], s[12:13], exec
	s_and_b64 s[36:37], vcc, exec
	s_mov_b64 s[16:17], exec
	s_or_b64 s[22:23], s[22:23], s[36:37]
	v_mov_b64_e32 v[18:19], v[16:17]
; %bb.10:                               ;   in Loop: Header=BB232_8 Depth=1
	s_or_b64 exec, exec, s[18:19]
	s_and_saveexec_b64 s[18:19], s[22:23]
	s_xor_b64 s[18:19], exec, s[18:19]
; %bb.11:                               ;   in Loop: Header=BB232_8 Depth=1
	ds_write_b32 v21, v17
	s_andn2_b64 s[16:17], s[16:17], exec
; %bb.12:                               ;   in Loop: Header=BB232_8 Depth=1
	s_or_b64 exec, exec, s[18:19]
	v_mov_b32_e32 v2, 0
	v_mov_b32_e32 v0, 0
	s_and_saveexec_b64 s[18:19], s[16:17]
	s_cbranch_execz .LBB232_14
; %bb.13:                               ;   in Loop: Header=BB232_8 Depth=1
	v_lshl_add_u64 v[0:1], v[18:19], 3, v[12:13]
	global_load_dwordx2 v[4:5], v[0:1], off
	s_waitcnt vmcnt(0)
	v_xor_b32_e32 v0, 0x80000000, v5
	ds_write_b32 v21, v4
.LBB232_14:                             ;   in Loop: Header=BB232_8 Depth=1
	s_or_b64 exec, exec, s[18:19]
	v_add_u32_e32 v16, s14, v8
	v_cmp_gt_u64_e32 vcc, s[8:9], v[16:17]
	s_and_b64 s[18:19], vcc, s[2:3]
	v_mov_b32_e32 v3, 0
	ds_write_b32 v21, v0 offset:4
	s_and_saveexec_b64 s[16:17], s[18:19]
	s_cbranch_execz .LBB232_7
; %bb.15:                               ;   in Loop: Header=BB232_8 Depth=1
	v_mad_u64_u32 v[0:1], s[18:19], s20, v16, 0
	v_mov_b32_e32 v2, v1
	v_mad_u64_u32 v[2:3], s[18:19], s21, v16, v[2:3]
	v_mov_b32_e32 v1, v2
	v_lshl_add_u64 v[0:1], v[0:1], 3, v[14:15]
	global_load_dwordx2 v[2:3], v[0:1], off
	s_branch .LBB232_7
.LBB232_16:
	s_mul_i32 s0, s31, s4
	s_mul_hi_u32 s1, s30, s4
	s_add_i32 s1, s1, s0
	s_mul_i32 s0, s30, s4
	s_lshl_b64 s[0:1], s[0:1], 3
	v_add_u32_e32 v10, s25, v11
	s_add_u32 s8, s26, s0
	v_ashrrev_i32_e32 v1, 31, v10
	s_addc_u32 s9, s27, s1
	v_add_u32_e32 v0, s5, v9
	v_cmp_neq_f32_e64 s[0:1], s6, 0
	s_xor_b64 s[4:5], s[10:11], -1
	v_mul_lo_u32 v1, s28, v1
	v_mul_lo_u32 v4, s29, v10
	v_mad_u64_u32 v[2:3], s[2:3], s28, v10, 0
	v_add3_u32 v3, v3, v1, v4
	s_or_b64 s[0:1], s[0:1], s[4:5]
	v_lshl_add_u64 v[4:5], v[2:3], 3, s[8:9]
	v_cmp_le_i32_e32 vcc, v10, v0
	s_waitcnt lgkmcnt(0)
	v_cmp_gt_i32_e64 s[2:3], s24, v0
	v_cndmask_b32_e64 v2, 0, 1, s[0:1]
	s_and_b64 s[10:11], vcc, s[2:3]
	v_ashrrev_i32_e32 v1, 31, v0
	v_cmp_ne_u32_e64 s[0:1], 1, v2
	s_and_saveexec_b64 s[4:5], s[10:11]
	s_cbranch_execz .LBB232_20
; %bb.17:
	v_pk_mul_f32 v[6:7], v[34:35], s[34:35] op_sel:[0,1] op_sel_hi:[0,0]
	v_pk_fma_f32 v[2:3], v[32:33], s[34:35], v[6:7] op_sel_hi:[0,1,1] neg_lo:[0,0,1] neg_hi:[0,0,1]
	v_pk_fma_f32 v[8:9], v[32:33], s[34:35], v[6:7] op_sel_hi:[0,1,1]
	s_and_b64 vcc, exec, s[0:1]
	v_lshl_add_u64 v[6:7], v[0:1], 3, v[4:5]
	s_cbranch_vccnz .LBB232_19
; %bb.18:
	global_load_dwordx2 v[12:13], v[6:7], off
	s_mov_b32 s10, s7
	v_mov_b32_e32 v3, v9
	s_waitcnt vmcnt(0)
	v_pk_mul_f32 v[8:9], v[12:13], s[10:11] op_sel:[1,0] op_sel_hi:[0,0]
	v_pk_fma_f32 v[14:15], v[12:13], s[6:7], v[8:9] neg_lo:[0,0,1] neg_hi:[0,0,1]
	v_pk_fma_f32 v[8:9], v[12:13], s[6:7], v[8:9] op_sel_hi:[1,0,1]
	s_nop 0
	v_mov_b32_e32 v15, v9
	v_pk_add_f32 v[2:3], v[2:3], v[14:15]
	s_nop 0
	v_mov_b32_e32 v9, v3
.LBB232_19:
	v_mov_b32_e32 v3, v9
	global_store_dwordx2 v[6:7], v[2:3], off
.LBB232_20:
	s_or_b64 exec, exec, s[4:5]
	v_add_u32_e32 v2, 16, v0
	v_cmp_le_i32_e32 vcc, v10, v2
	v_cmp_gt_i32_e64 s[4:5], s24, v2
	s_and_b64 s[12:13], vcc, s[4:5]
	v_ashrrev_i32_e32 v3, 31, v2
	s_and_saveexec_b64 s[10:11], s[12:13]
	s_cbranch_execz .LBB232_24
; %bb.21:
	v_pk_mul_f32 v[8:9], v[30:31], s[34:35] op_sel:[0,1] op_sel_hi:[0,0]
	v_pk_fma_f32 v[6:7], v[28:29], s[34:35], v[8:9] op_sel_hi:[0,1,1] neg_lo:[0,0,1] neg_hi:[0,0,1]
	v_pk_fma_f32 v[8:9], v[28:29], s[34:35], v[8:9] op_sel_hi:[0,1,1]
	s_and_b64 vcc, exec, s[0:1]
	v_lshl_add_u64 v[4:5], v[2:3], 3, v[4:5]
	s_cbranch_vccnz .LBB232_23
; %bb.22:
	global_load_dwordx2 v[12:13], v[4:5], off
	s_mov_b32 s12, s7
	v_mov_b32_e32 v7, v9
	s_waitcnt vmcnt(0)
	v_pk_mul_f32 v[8:9], v[12:13], s[12:13] op_sel:[1,0] op_sel_hi:[0,0]
	v_pk_fma_f32 v[14:15], v[12:13], s[6:7], v[8:9] neg_lo:[0,0,1] neg_hi:[0,0,1]
	v_pk_fma_f32 v[8:9], v[12:13], s[6:7], v[8:9] op_sel_hi:[1,0,1]
	s_nop 0
	v_mov_b32_e32 v15, v9
	v_pk_add_f32 v[6:7], v[6:7], v[14:15]
	s_nop 0
	v_mov_b32_e32 v9, v7
.LBB232_23:
	v_mov_b32_e32 v7, v9
	global_store_dwordx2 v[4:5], v[6:7], off
.LBB232_24:
	s_or_b64 exec, exec, s[10:11]
	v_add_u32_e32 v10, 16, v10
	v_ashrrev_i32_e32 v4, 31, v10
	v_mul_lo_u32 v6, s28, v4
	v_mul_lo_u32 v7, s29, v10
	v_mad_u64_u32 v[4:5], s[10:11], s28, v10, 0
	v_add3_u32 v5, v5, v6, v7
	v_cmp_le_i32_e32 vcc, v10, v0
	v_lshl_add_u64 v[4:5], v[4:5], 3, s[8:9]
	s_and_b64 s[8:9], vcc, s[2:3]
	s_and_saveexec_b64 s[2:3], s[8:9]
	s_cbranch_execz .LBB232_28
; %bb.25:
	v_pk_mul_f32 v[8:9], v[26:27], s[34:35] op_sel:[0,1] op_sel_hi:[0,0]
	v_pk_fma_f32 v[6:7], v[24:25], s[34:35], v[8:9] op_sel_hi:[0,1,1] neg_lo:[0,0,1] neg_hi:[0,0,1]
	v_pk_fma_f32 v[8:9], v[24:25], s[34:35], v[8:9] op_sel_hi:[0,1,1]
	s_and_b64 vcc, exec, s[0:1]
	v_lshl_add_u64 v[0:1], v[0:1], 3, v[4:5]
	s_cbranch_vccnz .LBB232_27
; %bb.26:
	global_load_dwordx2 v[12:13], v[0:1], off
	s_mov_b32 s8, s7
	v_mov_b32_e32 v7, v9
	s_waitcnt vmcnt(0)
	v_pk_mul_f32 v[8:9], v[12:13], s[8:9] op_sel:[1,0] op_sel_hi:[0,0]
	v_pk_fma_f32 v[14:15], v[12:13], s[6:7], v[8:9] neg_lo:[0,0,1] neg_hi:[0,0,1]
	v_pk_fma_f32 v[8:9], v[12:13], s[6:7], v[8:9] op_sel_hi:[1,0,1]
	s_nop 0
	v_mov_b32_e32 v15, v9
	v_pk_add_f32 v[6:7], v[6:7], v[14:15]
	s_nop 0
	v_mov_b32_e32 v9, v7
.LBB232_27:
	v_mov_b32_e32 v7, v9
	global_store_dwordx2 v[0:1], v[6:7], off
.LBB232_28:
	s_or_b64 exec, exec, s[2:3]
	v_cmp_le_i32_e32 vcc, v10, v2
	s_and_b64 s[2:3], vcc, s[4:5]
	s_and_saveexec_b64 s[4:5], s[2:3]
	s_cbranch_execz .LBB232_32
; %bb.29:
	v_pk_mul_f32 v[6:7], v[22:23], s[34:35] op_sel:[0,1] op_sel_hi:[0,0]
	v_pk_fma_f32 v[0:1], v[20:21], s[34:35], v[6:7] op_sel_hi:[0,1,1] neg_lo:[0,0,1] neg_hi:[0,0,1]
	v_pk_fma_f32 v[6:7], v[20:21], s[34:35], v[6:7] op_sel_hi:[0,1,1]
	s_and_b64 vcc, exec, s[0:1]
	v_lshl_add_u64 v[2:3], v[2:3], 3, v[4:5]
	s_cbranch_vccnz .LBB232_31
; %bb.30:
	global_load_dwordx2 v[4:5], v[2:3], off
	s_mov_b32 s0, s7
	v_mov_b32_e32 v1, v7
	s_waitcnt vmcnt(0)
	v_pk_mul_f32 v[6:7], v[4:5], s[0:1] op_sel:[1,0] op_sel_hi:[0,0]
	v_pk_fma_f32 v[8:9], v[4:5], s[6:7], v[6:7] neg_lo:[0,0,1] neg_hi:[0,0,1]
	v_pk_fma_f32 v[4:5], v[4:5], s[6:7], v[6:7] op_sel_hi:[1,0,1]
	s_nop 0
	v_mov_b32_e32 v9, v5
	v_pk_add_f32 v[0:1], v[0:1], v[8:9]
	s_nop 0
	v_mov_b32_e32 v7, v1
.LBB232_31:
	v_mov_b32_e32 v1, v7
	global_store_dwordx2 v[2:3], v[0:1], off
.LBB232_32:
	s_endpgm
	.section	.rodata,"a",@progbits
	.p2align	6, 0x0
	.amdhsa_kernel _ZL29rocblas_internal_gemmt_kernelIlLi16ELi32ELi8ELc67ELc84ELc76ELb1ELb0E19rocblas_complex_numIfEPKS1_S3_PS1_EviT_T9_T10_S5_lS7_S5_lS6_T11_S5_li
		.amdhsa_group_segment_fixed_size 4096
		.amdhsa_private_segment_fixed_size 0
		.amdhsa_kernarg_size 108
		.amdhsa_user_sgpr_count 2
		.amdhsa_user_sgpr_dispatch_ptr 0
		.amdhsa_user_sgpr_queue_ptr 0
		.amdhsa_user_sgpr_kernarg_segment_ptr 1
		.amdhsa_user_sgpr_dispatch_id 0
		.amdhsa_user_sgpr_kernarg_preload_length 0
		.amdhsa_user_sgpr_kernarg_preload_offset 0
		.amdhsa_user_sgpr_private_segment_size 0
		.amdhsa_uses_dynamic_stack 0
		.amdhsa_enable_private_segment 0
		.amdhsa_system_sgpr_workgroup_id_x 1
		.amdhsa_system_sgpr_workgroup_id_y 1
		.amdhsa_system_sgpr_workgroup_id_z 1
		.amdhsa_system_sgpr_workgroup_info 0
		.amdhsa_system_vgpr_workitem_id 1
		.amdhsa_next_free_vgpr 53
		.amdhsa_next_free_sgpr 40
		.amdhsa_accum_offset 56
		.amdhsa_reserve_vcc 1
		.amdhsa_float_round_mode_32 0
		.amdhsa_float_round_mode_16_64 0
		.amdhsa_float_denorm_mode_32 3
		.amdhsa_float_denorm_mode_16_64 3
		.amdhsa_dx10_clamp 1
		.amdhsa_ieee_mode 1
		.amdhsa_fp16_overflow 0
		.amdhsa_tg_split 0
		.amdhsa_exception_fp_ieee_invalid_op 0
		.amdhsa_exception_fp_denorm_src 0
		.amdhsa_exception_fp_ieee_div_zero 0
		.amdhsa_exception_fp_ieee_overflow 0
		.amdhsa_exception_fp_ieee_underflow 0
		.amdhsa_exception_fp_ieee_inexact 0
		.amdhsa_exception_int_div_zero 0
	.end_amdhsa_kernel
	.section	.text._ZL29rocblas_internal_gemmt_kernelIlLi16ELi32ELi8ELc67ELc84ELc76ELb1ELb0E19rocblas_complex_numIfEPKS1_S3_PS1_EviT_T9_T10_S5_lS7_S5_lS6_T11_S5_li,"axG",@progbits,_ZL29rocblas_internal_gemmt_kernelIlLi16ELi32ELi8ELc67ELc84ELc76ELb1ELb0E19rocblas_complex_numIfEPKS1_S3_PS1_EviT_T9_T10_S5_lS7_S5_lS6_T11_S5_li,comdat
.Lfunc_end232:
	.size	_ZL29rocblas_internal_gemmt_kernelIlLi16ELi32ELi8ELc67ELc84ELc76ELb1ELb0E19rocblas_complex_numIfEPKS1_S3_PS1_EviT_T9_T10_S5_lS7_S5_lS6_T11_S5_li, .Lfunc_end232-_ZL29rocblas_internal_gemmt_kernelIlLi16ELi32ELi8ELc67ELc84ELc76ELb1ELb0E19rocblas_complex_numIfEPKS1_S3_PS1_EviT_T9_T10_S5_lS7_S5_lS6_T11_S5_li
                                        ; -- End function
	.set _ZL29rocblas_internal_gemmt_kernelIlLi16ELi32ELi8ELc67ELc84ELc76ELb1ELb0E19rocblas_complex_numIfEPKS1_S3_PS1_EviT_T9_T10_S5_lS7_S5_lS6_T11_S5_li.num_vgpr, 53
	.set _ZL29rocblas_internal_gemmt_kernelIlLi16ELi32ELi8ELc67ELc84ELc76ELb1ELb0E19rocblas_complex_numIfEPKS1_S3_PS1_EviT_T9_T10_S5_lS7_S5_lS6_T11_S5_li.num_agpr, 0
	.set _ZL29rocblas_internal_gemmt_kernelIlLi16ELi32ELi8ELc67ELc84ELc76ELb1ELb0E19rocblas_complex_numIfEPKS1_S3_PS1_EviT_T9_T10_S5_lS7_S5_lS6_T11_S5_li.numbered_sgpr, 40
	.set _ZL29rocblas_internal_gemmt_kernelIlLi16ELi32ELi8ELc67ELc84ELc76ELb1ELb0E19rocblas_complex_numIfEPKS1_S3_PS1_EviT_T9_T10_S5_lS7_S5_lS6_T11_S5_li.num_named_barrier, 0
	.set _ZL29rocblas_internal_gemmt_kernelIlLi16ELi32ELi8ELc67ELc84ELc76ELb1ELb0E19rocblas_complex_numIfEPKS1_S3_PS1_EviT_T9_T10_S5_lS7_S5_lS6_T11_S5_li.private_seg_size, 0
	.set _ZL29rocblas_internal_gemmt_kernelIlLi16ELi32ELi8ELc67ELc84ELc76ELb1ELb0E19rocblas_complex_numIfEPKS1_S3_PS1_EviT_T9_T10_S5_lS7_S5_lS6_T11_S5_li.uses_vcc, 1
	.set _ZL29rocblas_internal_gemmt_kernelIlLi16ELi32ELi8ELc67ELc84ELc76ELb1ELb0E19rocblas_complex_numIfEPKS1_S3_PS1_EviT_T9_T10_S5_lS7_S5_lS6_T11_S5_li.uses_flat_scratch, 0
	.set _ZL29rocblas_internal_gemmt_kernelIlLi16ELi32ELi8ELc67ELc84ELc76ELb1ELb0E19rocblas_complex_numIfEPKS1_S3_PS1_EviT_T9_T10_S5_lS7_S5_lS6_T11_S5_li.has_dyn_sized_stack, 0
	.set _ZL29rocblas_internal_gemmt_kernelIlLi16ELi32ELi8ELc67ELc84ELc76ELb1ELb0E19rocblas_complex_numIfEPKS1_S3_PS1_EviT_T9_T10_S5_lS7_S5_lS6_T11_S5_li.has_recursion, 0
	.set _ZL29rocblas_internal_gemmt_kernelIlLi16ELi32ELi8ELc67ELc84ELc76ELb1ELb0E19rocblas_complex_numIfEPKS1_S3_PS1_EviT_T9_T10_S5_lS7_S5_lS6_T11_S5_li.has_indirect_call, 0
	.section	.AMDGPU.csdata,"",@progbits
; Kernel info:
; codeLenInByte = 2564
; TotalNumSgprs: 46
; NumVgprs: 53
; NumAgprs: 0
; TotalNumVgprs: 53
; ScratchSize: 0
; MemoryBound: 0
; FloatMode: 240
; IeeeMode: 1
; LDSByteSize: 4096 bytes/workgroup (compile time only)
; SGPRBlocks: 5
; VGPRBlocks: 6
; NumSGPRsForWavesPerEU: 46
; NumVGPRsForWavesPerEU: 53
; AccumOffset: 56
; Occupancy: 8
; WaveLimiterHint : 0
; COMPUTE_PGM_RSRC2:SCRATCH_EN: 0
; COMPUTE_PGM_RSRC2:USER_SGPR: 2
; COMPUTE_PGM_RSRC2:TRAP_HANDLER: 0
; COMPUTE_PGM_RSRC2:TGID_X_EN: 1
; COMPUTE_PGM_RSRC2:TGID_Y_EN: 1
; COMPUTE_PGM_RSRC2:TGID_Z_EN: 1
; COMPUTE_PGM_RSRC2:TIDIG_COMP_CNT: 1
; COMPUTE_PGM_RSRC3_GFX90A:ACCUM_OFFSET: 13
; COMPUTE_PGM_RSRC3_GFX90A:TG_SPLIT: 0
	.section	.text._ZL29rocblas_internal_gemmt_kernelIlLi16ELi32ELi8ELc67ELc67ELc76ELb1ELb1E19rocblas_complex_numIfEPKS1_S3_PS1_EviT_T9_T10_S5_lS7_S5_lS6_T11_S5_li,"axG",@progbits,_ZL29rocblas_internal_gemmt_kernelIlLi16ELi32ELi8ELc67ELc67ELc76ELb1ELb1E19rocblas_complex_numIfEPKS1_S3_PS1_EviT_T9_T10_S5_lS7_S5_lS6_T11_S5_li,comdat
	.globl	_ZL29rocblas_internal_gemmt_kernelIlLi16ELi32ELi8ELc67ELc67ELc76ELb1ELb1E19rocblas_complex_numIfEPKS1_S3_PS1_EviT_T9_T10_S5_lS7_S5_lS6_T11_S5_li ; -- Begin function _ZL29rocblas_internal_gemmt_kernelIlLi16ELi32ELi8ELc67ELc67ELc76ELb1ELb1E19rocblas_complex_numIfEPKS1_S3_PS1_EviT_T9_T10_S5_lS7_S5_lS6_T11_S5_li
	.p2align	8
	.type	_ZL29rocblas_internal_gemmt_kernelIlLi16ELi32ELi8ELc67ELc67ELc76ELb1ELb1E19rocblas_complex_numIfEPKS1_S3_PS1_EviT_T9_T10_S5_lS7_S5_lS6_T11_S5_li,@function
_ZL29rocblas_internal_gemmt_kernelIlLi16ELi32ELi8ELc67ELc67ELc76ELb1ELb1E19rocblas_complex_numIfEPKS1_S3_PS1_EviT_T9_T10_S5_lS7_S5_lS6_T11_S5_li: ; @_ZL29rocblas_internal_gemmt_kernelIlLi16ELi32ELi8ELc67ELc67ELc76ELb1ELb1E19rocblas_complex_numIfEPKS1_S3_PS1_EviT_T9_T10_S5_lS7_S5_lS6_T11_S5_li
; %bb.0:
	s_load_dwordx8 s[24:31], s[0:1], 0x48
	s_load_dwordx16 s[8:23], s[0:1], 0x8
	s_waitcnt lgkmcnt(0)
	s_load_dwordx2 s[6:7], s[24:25], 0x0
	s_load_dwordx2 s[34:35], s[10:11], 0x0
	s_waitcnt lgkmcnt(0)
	s_and_b32 s5, s7, 0x7fffffff
	s_cmp_eq_u32 s5, 0
	v_cmp_eq_f32_e64 s[24:25], s6, 1.0
	s_cselect_b64 s[10:11], -1, 0
	s_and_b64 s[24:25], s[24:25], s[10:11]
	s_and_b64 vcc, exec, s[24:25]
	s_cbranch_vccnz .LBB233_2
; %bb.1:
	s_mov_b64 s[24:25], -1
	s_cbranch_execz .LBB233_3
	s_branch .LBB233_4
.LBB233_2:
	s_mov_b64 s[24:25], 0
.LBB233_3:
	s_cmp_lg_u64 s[8:9], 0
	v_cmp_neq_f32_e64 s[36:37], s34, 0
	v_cmp_neq_f32_e64 s[38:39], s35, 0
	s_cselect_b64 s[24:25], -1, 0
	s_or_b64 s[36:37], s[36:37], s[38:39]
	s_and_b64 s[24:25], s[24:25], s[36:37]
.LBB233_4:
	s_andn2_b64 vcc, exec, s[24:25]
	s_cbranch_vccnz .LBB233_34
; %bb.5:
	s_load_dword s24, s[0:1], 0x0
	s_lshl_b32 s5, s2, 5
	s_lshl_b32 s25, s3, 5
	v_cmp_eq_f32_e64 s[0:1], s34, 0
	v_cmp_eq_f32_e64 s[2:3], s35, 0
	s_and_b64 s[0:1], s[0:1], s[2:3]
	v_cmp_lt_i64_e64 s[2:3], s[8:9], 1
	s_or_b64 s[0:1], s[0:1], s[2:3]
	v_and_b32_e32 v9, 0x3ff, v0
	v_bfe_u32 v11, v0, 10, 10
	v_mov_b32_e32 v32, 0
	s_and_b64 vcc, exec, s[0:1]
	v_mov_b32_e32 v34, 0
	v_mov_b32_e32 v28, 0
	;; [unrolled: 1-line block ×7, first 2 shown]
	s_cbranch_vccnz .LBB233_18
; %bb.6:
	s_mul_i32 s0, s23, s4
	s_mul_hi_u32 s1, s22, s4
	s_add_i32 s1, s1, s0
	s_mul_i32 s0, s22, s4
	s_lshl_b64 s[0:1], s[0:1], 3
	s_add_u32 s18, s18, s0
	s_addc_u32 s19, s19, s1
	s_mul_i32 s0, s17, s4
	s_mul_hi_u32 s1, s16, s4
	s_add_i32 s1, s1, s0
	s_mul_i32 s0, s16, s4
	v_lshl_add_u32 v1, v11, 4, v9
	s_lshl_b64 s[0:1], s[0:1], 3
	v_lshrrev_b32_e32 v10, 5, v1
	v_lshrrev_b32_e32 v4, 3, v1
	v_and_b32_e32 v1, 31, v1
	s_add_u32 s12, s12, s0
	v_or_b32_e32 v2, s5, v1
	s_addc_u32 s13, s13, s1
	v_lshlrev_b32_e32 v1, 3, v1
	s_ashr_i32 s22, s5, 31
	v_and_b32_e32 v8, 7, v9
	s_waitcnt lgkmcnt(0)
	v_cmp_gt_i32_e64 s[0:1], s24, v2
	v_cmp_le_i32_e64 s[2:3], s24, v2
	v_lshl_or_b32 v21, v10, 8, v1
	v_mul_lo_u32 v1, s15, v2
	v_mad_u64_u32 v[2:3], s[16:17], s14, v2, 0
	s_mul_i32 s14, s14, s22
	v_add3_u32 v3, v3, s14, v1
	v_lshlrev_b32_e32 v1, 3, v8
	v_add_u32_e32 v0, s25, v4
	v_lshl_or_b32 v1, v4, 6, v1
	v_add_u32_e32 v23, 0x800, v1
	v_ashrrev_i32_e32 v1, 31, v0
	v_cmp_gt_i32_e32 vcc, s24, v0
	v_lshl_add_u64 v[14:15], v[0:1], 3, s[18:19]
	v_mov_b32_e32 v0, 0x800
	v_lshl_add_u64 v[12:13], v[2:3], 3, s[12:13]
	v_lshlrev_b32_e32 v25, 3, v9
	v_lshl_add_u32 v27, v11, 6, v0
	v_mov_b32_e32 v17, 0
	s_mov_b64 s[12:13], 0
	s_xor_b64 s[14:15], vcc, -1
	v_mov_b32_e32 v22, 0
	v_mov_b32_e32 v20, 0
	;; [unrolled: 1-line block ×8, first 2 shown]
                                        ; implicit-def: $vgpr18_vgpr19
	s_branch .LBB233_8
.LBB233_7:                              ;   in Loop: Header=BB233_8 Depth=1
	s_or_b64 exec, exec, s[16:17]
	ds_write_b32 v23, v0 offset:4
	s_waitcnt lgkmcnt(0)
	s_barrier
	ds_read2_b64 v[36:39], v25 offset1:16
	ds_read_b128 v[40:43], v27
	ds_read_b128 v[44:47], v27 offset:16
	ds_read_b128 v[4:7], v27 offset:32
	;; [unrolled: 1-line block ×3, first 2 shown]
	s_add_u32 s12, s12, 8
	s_waitcnt lgkmcnt(3)
	v_mul_f32_e32 v16, v41, v37
	v_mul_f32_e32 v29, v40, v37
	v_fma_f32 v16, v40, v36, -v16
	v_fmac_f32_e32 v29, v41, v36
	v_add_f32_e32 v16, v32, v16
	v_add_f32_e32 v52, v34, v29
	ds_read_b128 v[32:35], v27 offset:1024
	v_mul_f32_e32 v29, v41, v39
	v_mul_f32_e32 v31, v40, v39
	v_fma_f32 v29, v40, v38, -v29
	v_fmac_f32_e32 v31, v41, v38
	v_add_f32_e32 v40, v28, v29
	v_add_f32_e32 v41, v30, v31
	ds_read_b128 v[28:31], v27 offset:1040
	s_waitcnt lgkmcnt(1)
	v_mul_f32_e32 v48, v33, v37
	v_fma_f32 v48, v32, v36, -v48
	v_add_f32_e32 v24, v24, v48
	ds_read2_b64 v[48:51], v25 offset0:32 offset1:48
	v_mul_f32_e32 v37, v32, v37
	v_fmac_f32_e32 v37, v33, v36
	v_mul_f32_e32 v36, v33, v39
	v_fma_f32 v36, v32, v38, -v36
	v_mul_f32_e32 v32, v32, v39
	v_fmac_f32_e32 v32, v33, v38
	v_add_f32_e32 v22, v22, v32
	s_waitcnt lgkmcnt(0)
	v_mul_f32_e32 v32, v43, v49
	v_mul_f32_e32 v33, v42, v49
	v_fma_f32 v32, v42, v48, -v32
	v_fmac_f32_e32 v33, v43, v48
	v_add_f32_e32 v20, v20, v36
	v_add_f32_e32 v16, v16, v32
	;; [unrolled: 1-line block ×3, first 2 shown]
	v_mul_f32_e32 v33, v43, v51
	v_mul_f32_e32 v36, v42, v51
	v_fma_f32 v33, v42, v50, -v33
	v_fmac_f32_e32 v36, v43, v50
	v_add_f32_e32 v33, v40, v33
	v_add_f32_e32 v40, v41, v36
	v_mul_f32_e32 v36, v35, v49
	v_add_f32_e32 v26, v26, v37
	v_fma_f32 v36, v34, v48, -v36
	v_mul_f32_e32 v37, v34, v49
	v_fmac_f32_e32 v37, v35, v48
	v_add_f32_e32 v24, v24, v36
	v_mul_f32_e32 v36, v35, v51
	v_add_f32_e32 v26, v26, v37
	v_fma_f32 v41, v34, v50, -v36
	ds_read2_b64 v[36:39], v25 offset0:64 offset1:80
	v_mul_f32_e32 v34, v34, v51
	v_fmac_f32_e32 v34, v35, v50
	v_add_f32_e32 v20, v20, v41
	v_add_f32_e32 v22, v22, v34
	s_waitcnt lgkmcnt(0)
	v_mul_f32_e32 v35, v44, v37
	v_fmac_f32_e32 v35, v45, v36
	v_add_f32_e32 v41, v32, v35
	v_mul_f32_e32 v32, v45, v39
	v_mul_f32_e32 v34, v45, v37
	v_fma_f32 v32, v44, v38, -v32
	v_fma_f32 v34, v44, v36, -v34
	v_add_f32_e32 v42, v33, v32
	v_mul_f32_e32 v32, v29, v37
	v_add_f32_e32 v16, v16, v34
	v_mul_f32_e32 v34, v44, v39
	v_fma_f32 v32, v28, v36, -v32
	v_mul_f32_e32 v33, v28, v37
	v_fmac_f32_e32 v34, v45, v38
	v_fmac_f32_e32 v33, v29, v36
	v_add_f32_e32 v24, v24, v32
	v_mul_f32_e32 v32, v29, v39
	v_add_f32_e32 v40, v40, v34
	v_add_f32_e32 v26, v26, v33
	v_fma_f32 v36, v28, v38, -v32
	ds_read2_b64 v[32:35], v25 offset0:96 offset1:112
	v_mul_f32_e32 v28, v28, v39
	v_fmac_f32_e32 v28, v29, v38
	v_add_f32_e32 v22, v22, v28
	v_add_f32_e32 v20, v20, v36
	s_waitcnt lgkmcnt(0)
	v_mul_f32_e32 v28, v47, v33
	v_mul_f32_e32 v29, v46, v33
	v_fma_f32 v28, v46, v32, -v28
	v_fmac_f32_e32 v29, v47, v32
	v_add_f32_e32 v16, v16, v28
	v_add_f32_e32 v28, v41, v29
	v_mul_f32_e32 v29, v47, v35
	v_mul_f32_e32 v36, v46, v35
	v_fma_f32 v29, v46, v34, -v29
	v_fmac_f32_e32 v36, v47, v34
	v_add_f32_e32 v41, v42, v29
	v_add_f32_e32 v40, v40, v36
	v_mul_f32_e32 v29, v31, v33
	ds_read2_b64 v[36:39], v25 offset0:128 offset1:144
	v_fma_f32 v29, v30, v32, -v29
	v_add_f32_e32 v24, v24, v29
	v_mul_f32_e32 v29, v31, v35
	v_mul_f32_e32 v33, v30, v33
	v_fma_f32 v29, v30, v34, -v29
	v_mul_f32_e32 v30, v30, v35
	v_fmac_f32_e32 v30, v31, v34
	v_add_f32_e32 v22, v22, v30
	s_waitcnt lgkmcnt(0)
	v_mul_f32_e32 v30, v4, v37
	v_add_f32_e32 v20, v20, v29
	v_mul_f32_e32 v29, v5, v37
	v_fmac_f32_e32 v30, v5, v36
	v_fma_f32 v29, v4, v36, -v29
	v_add_f32_e32 v44, v28, v30
	v_mul_f32_e32 v28, v5, v39
	v_fmac_f32_e32 v33, v31, v32
	v_add_f32_e32 v16, v16, v29
	v_fma_f32 v32, v4, v38, -v28
	ds_read_b128 v[28:31], v27 offset:1056
	v_mul_f32_e32 v4, v4, v39
	v_fmac_f32_e32 v4, v5, v38
	v_add_f32_e32 v5, v41, v32
	v_add_f32_e32 v4, v40, v4
	ds_read_b128 v[40:43], v27 offset:1072
	s_waitcnt lgkmcnt(1)
	v_mul_f32_e32 v32, v29, v37
	v_add_f32_e32 v26, v26, v33
	v_fma_f32 v32, v28, v36, -v32
	v_mul_f32_e32 v33, v28, v37
	v_fmac_f32_e32 v33, v29, v36
	v_add_f32_e32 v24, v24, v32
	v_mul_f32_e32 v32, v29, v39
	v_add_f32_e32 v26, v26, v33
	v_fma_f32 v36, v28, v38, -v32
	ds_read2_b64 v[32:35], v25 offset0:160 offset1:176
	v_mul_f32_e32 v28, v28, v39
	v_fmac_f32_e32 v28, v29, v38
	v_add_f32_e32 v22, v22, v28
	v_add_f32_e32 v20, v20, v36
	s_waitcnt lgkmcnt(0)
	v_mul_f32_e32 v28, v7, v33
	v_mul_f32_e32 v29, v6, v33
	v_fma_f32 v28, v6, v32, -v28
	v_fmac_f32_e32 v29, v7, v32
	v_add_f32_e32 v16, v16, v28
	v_add_f32_e32 v28, v44, v29
	v_mul_f32_e32 v29, v7, v35
	v_fma_f32 v29, v6, v34, -v29
	v_mul_f32_e32 v6, v6, v35
	v_fmac_f32_e32 v6, v7, v34
	v_add_f32_e32 v36, v4, v6
	v_mul_f32_e32 v4, v31, v33
	v_add_f32_e32 v29, v5, v29
	v_fma_f32 v4, v30, v32, -v4
	v_mul_f32_e32 v5, v30, v33
	v_fmac_f32_e32 v5, v31, v32
	v_add_f32_e32 v24, v24, v4
	v_mul_f32_e32 v4, v31, v35
	v_add_f32_e32 v26, v26, v5
	v_fma_f32 v32, v30, v34, -v4
	ds_read2_b64 v[4:7], v25 offset0:192 offset1:208
	v_mul_f32_e32 v30, v30, v35
	v_fmac_f32_e32 v30, v31, v34
	v_add_f32_e32 v22, v22, v30
	v_add_f32_e32 v20, v20, v32
	s_waitcnt lgkmcnt(0)
	v_mul_f32_e32 v30, v1, v5
	v_fma_f32 v30, v0, v4, -v30
	v_add_f32_e32 v16, v16, v30
	v_mul_f32_e32 v30, v1, v7
	v_mul_f32_e32 v31, v0, v5
	v_fma_f32 v30, v0, v6, -v30
	v_mul_f32_e32 v0, v0, v7
	v_fmac_f32_e32 v0, v1, v6
	v_add_f32_e32 v0, v36, v0
	ds_read2_b64 v[36:39], v25 offset0:224 offset1:240
	v_fmac_f32_e32 v31, v1, v4
	v_add_f32_e32 v1, v29, v30
	v_mul_f32_e32 v29, v41, v5
	v_fma_f32 v29, v40, v4, -v29
	v_mul_f32_e32 v5, v40, v5
	v_fmac_f32_e32 v5, v41, v4
	v_add_f32_e32 v4, v24, v29
	v_mul_f32_e32 v24, v41, v7
	v_fma_f32 v24, v40, v6, -v24
	v_mul_f32_e32 v7, v40, v7
	v_fmac_f32_e32 v7, v41, v6
	v_add_f32_e32 v6, v20, v24
	s_waitcnt lgkmcnt(0)
	v_mul_f32_e32 v20, v3, v37
	v_fma_f32 v20, v2, v36, -v20
	v_add_f32_e32 v32, v16, v20
	v_mul_f32_e32 v16, v3, v39
	v_add_f32_e32 v7, v22, v7
	v_mul_f32_e32 v22, v2, v37
	v_fma_f32 v16, v2, v38, -v16
	v_mul_f32_e32 v2, v2, v39
	v_add_f32_e32 v28, v28, v31
	v_fmac_f32_e32 v22, v3, v36
	v_fmac_f32_e32 v2, v3, v38
	v_add_f32_e32 v34, v28, v22
	v_add_f32_e32 v28, v1, v16
	;; [unrolled: 1-line block ×3, first 2 shown]
	v_mul_f32_e32 v0, v43, v37
	v_mul_f32_e32 v1, v42, v37
	v_add_f32_e32 v5, v26, v5
	v_fma_f32 v0, v42, v36, -v0
	v_fmac_f32_e32 v1, v43, v36
	v_add_f32_e32 v24, v4, v0
	v_add_f32_e32 v26, v5, v1
	v_mul_f32_e32 v0, v43, v39
	v_mul_f32_e32 v1, v42, v39
	v_fma_f32 v0, v42, v38, -v0
	v_fmac_f32_e32 v1, v43, v38
	s_addc_u32 s13, s13, 0
	v_add_f32_e32 v20, v6, v0
	v_add_f32_e32 v22, v7, v1
	v_mov_b64_e32 v[0:1], s[12:13]
	v_cmp_gt_i64_e32 vcc, s[8:9], v[0:1]
	s_barrier
	s_cbranch_vccz .LBB233_18
.LBB233_8:                              ; =>This Inner Loop Header: Depth=1
	s_mov_b64 s[22:23], s[2:3]
	s_mov_b64 s[16:17], 0
	s_and_saveexec_b64 s[18:19], s[0:1]
	s_cbranch_execnz .LBB233_16
; %bb.9:                                ;   in Loop: Header=BB233_8 Depth=1
	s_or_b64 exec, exec, s[18:19]
	s_and_saveexec_b64 s[18:19], s[22:23]
	s_xor_b64 s[18:19], exec, s[18:19]
	s_cbranch_execnz .LBB233_17
.LBB233_10:                             ;   in Loop: Header=BB233_8 Depth=1
	s_or_b64 exec, exec, s[18:19]
	v_mov_b32_e32 v0, 0
	s_and_saveexec_b64 s[18:19], s[16:17]
	s_cbranch_execz .LBB233_12
.LBB233_11:                             ;   in Loop: Header=BB233_8 Depth=1
	v_lshl_add_u64 v[0:1], v[18:19], 3, v[12:13]
	global_load_dwordx2 v[2:3], v[0:1], off
	s_waitcnt vmcnt(0)
	v_xor_b32_e32 v0, 0x80000000, v3
	ds_write_b32 v21, v2
.LBB233_12:                             ;   in Loop: Header=BB233_8 Depth=1
	s_or_b64 exec, exec, s[18:19]
	v_add_u32_e32 v16, s12, v8
	v_cmp_le_u64_e32 vcc, s[8:9], v[16:17]
	s_or_b64 s[16:17], vcc, s[14:15]
	ds_write_b32 v21, v0 offset:4
	s_and_saveexec_b64 s[18:19], s[16:17]
	s_xor_b64 s[16:17], exec, s[18:19]
; %bb.13:                               ;   in Loop: Header=BB233_8 Depth=1
	ds_write_b32 v23, v17
; %bb.14:                               ;   in Loop: Header=BB233_8 Depth=1
	s_or_saveexec_b64 s[16:17], s[16:17]
	v_mov_b32_e32 v0, 0
	s_xor_b64 exec, exec, s[16:17]
	s_cbranch_execz .LBB233_7
; %bb.15:                               ;   in Loop: Header=BB233_8 Depth=1
	v_mad_u64_u32 v[0:1], s[18:19], s20, v16, 0
	v_mov_b32_e32 v2, v1
	v_mad_u64_u32 v[2:3], s[18:19], s21, v16, v[2:3]
	v_mov_b32_e32 v1, v2
	v_lshl_add_u64 v[0:1], v[0:1], 3, v[14:15]
	global_load_dwordx2 v[2:3], v[0:1], off
	s_waitcnt vmcnt(0)
	v_xor_b32_e32 v0, 0x80000000, v3
	ds_write_b32 v23, v2
	s_branch .LBB233_7
.LBB233_16:                             ;   in Loop: Header=BB233_8 Depth=1
	v_add_u32_e32 v16, s12, v10
	v_cmp_le_u64_e32 vcc, s[8:9], v[16:17]
	s_andn2_b64 s[22:23], s[2:3], exec
	s_and_b64 s[36:37], vcc, exec
	s_mov_b64 s[16:17], exec
	s_or_b64 s[22:23], s[22:23], s[36:37]
	v_mov_b64_e32 v[18:19], v[16:17]
	s_or_b64 exec, exec, s[18:19]
	s_and_saveexec_b64 s[18:19], s[22:23]
	s_xor_b64 s[18:19], exec, s[18:19]
	s_cbranch_execz .LBB233_10
.LBB233_17:                             ;   in Loop: Header=BB233_8 Depth=1
	ds_write_b32 v21, v17
	s_andn2_b64 s[16:17], s[16:17], exec
	s_or_b64 exec, exec, s[18:19]
	v_mov_b32_e32 v0, 0
	s_and_saveexec_b64 s[18:19], s[16:17]
	s_cbranch_execnz .LBB233_11
	s_branch .LBB233_12
.LBB233_18:
	s_mul_i32 s0, s31, s4
	s_mul_hi_u32 s1, s30, s4
	s_add_i32 s1, s1, s0
	s_mul_i32 s0, s30, s4
	s_lshl_b64 s[0:1], s[0:1], 3
	v_add_u32_e32 v10, s25, v11
	s_add_u32 s8, s26, s0
	v_ashrrev_i32_e32 v1, 31, v10
	s_addc_u32 s9, s27, s1
	v_add_u32_e32 v0, s5, v9
	v_cmp_neq_f32_e64 s[0:1], s6, 0
	s_xor_b64 s[4:5], s[10:11], -1
	v_mul_lo_u32 v1, s28, v1
	v_mul_lo_u32 v4, s29, v10
	v_mad_u64_u32 v[2:3], s[2:3], s28, v10, 0
	v_add3_u32 v3, v3, v1, v4
	s_or_b64 s[0:1], s[0:1], s[4:5]
	v_lshl_add_u64 v[4:5], v[2:3], 3, s[8:9]
	v_cmp_le_i32_e32 vcc, v10, v0
	s_waitcnt lgkmcnt(0)
	v_cmp_gt_i32_e64 s[2:3], s24, v0
	v_cndmask_b32_e64 v2, 0, 1, s[0:1]
	s_and_b64 s[10:11], vcc, s[2:3]
	v_ashrrev_i32_e32 v1, 31, v0
	v_cmp_ne_u32_e64 s[0:1], 1, v2
	s_and_saveexec_b64 s[4:5], s[10:11]
	s_cbranch_execz .LBB233_22
; %bb.19:
	v_pk_mul_f32 v[6:7], v[34:35], s[34:35] op_sel:[0,1] op_sel_hi:[0,0]
	v_pk_fma_f32 v[2:3], v[32:33], s[34:35], v[6:7] op_sel_hi:[0,1,1] neg_lo:[0,0,1] neg_hi:[0,0,1]
	v_pk_fma_f32 v[8:9], v[32:33], s[34:35], v[6:7] op_sel_hi:[0,1,1]
	s_and_b64 vcc, exec, s[0:1]
	v_lshl_add_u64 v[6:7], v[0:1], 3, v[4:5]
	s_cbranch_vccnz .LBB233_21
; %bb.20:
	global_load_dwordx2 v[12:13], v[6:7], off
	s_mov_b32 s10, s7
	v_mov_b32_e32 v3, v9
	s_waitcnt vmcnt(0)
	v_pk_mul_f32 v[8:9], v[12:13], s[10:11] op_sel:[1,0] op_sel_hi:[0,0]
	v_pk_fma_f32 v[14:15], v[12:13], s[6:7], v[8:9] neg_lo:[0,0,1] neg_hi:[0,0,1]
	v_pk_fma_f32 v[8:9], v[12:13], s[6:7], v[8:9] op_sel_hi:[1,0,1]
	s_nop 0
	v_mov_b32_e32 v15, v9
	v_pk_add_f32 v[2:3], v[2:3], v[14:15]
	s_nop 0
	v_mov_b32_e32 v9, v3
.LBB233_21:
	v_mov_b32_e32 v3, v9
	global_store_dwordx2 v[6:7], v[2:3], off
.LBB233_22:
	s_or_b64 exec, exec, s[4:5]
	v_add_u32_e32 v2, 16, v0
	v_cmp_le_i32_e32 vcc, v10, v2
	v_cmp_gt_i32_e64 s[4:5], s24, v2
	s_and_b64 s[12:13], vcc, s[4:5]
	v_ashrrev_i32_e32 v3, 31, v2
	s_and_saveexec_b64 s[10:11], s[12:13]
	s_cbranch_execz .LBB233_26
; %bb.23:
	v_pk_mul_f32 v[8:9], v[30:31], s[34:35] op_sel:[0,1] op_sel_hi:[0,0]
	v_pk_fma_f32 v[6:7], v[28:29], s[34:35], v[8:9] op_sel_hi:[0,1,1] neg_lo:[0,0,1] neg_hi:[0,0,1]
	v_pk_fma_f32 v[8:9], v[28:29], s[34:35], v[8:9] op_sel_hi:[0,1,1]
	s_and_b64 vcc, exec, s[0:1]
	v_lshl_add_u64 v[4:5], v[2:3], 3, v[4:5]
	s_cbranch_vccnz .LBB233_25
; %bb.24:
	global_load_dwordx2 v[12:13], v[4:5], off
	s_mov_b32 s12, s7
	v_mov_b32_e32 v7, v9
	s_waitcnt vmcnt(0)
	v_pk_mul_f32 v[8:9], v[12:13], s[12:13] op_sel:[1,0] op_sel_hi:[0,0]
	v_pk_fma_f32 v[14:15], v[12:13], s[6:7], v[8:9] neg_lo:[0,0,1] neg_hi:[0,0,1]
	v_pk_fma_f32 v[8:9], v[12:13], s[6:7], v[8:9] op_sel_hi:[1,0,1]
	s_nop 0
	v_mov_b32_e32 v15, v9
	v_pk_add_f32 v[6:7], v[6:7], v[14:15]
	s_nop 0
	v_mov_b32_e32 v9, v7
.LBB233_25:
	v_mov_b32_e32 v7, v9
	global_store_dwordx2 v[4:5], v[6:7], off
.LBB233_26:
	s_or_b64 exec, exec, s[10:11]
	v_add_u32_e32 v10, 16, v10
	v_ashrrev_i32_e32 v4, 31, v10
	v_mul_lo_u32 v6, s28, v4
	v_mul_lo_u32 v7, s29, v10
	v_mad_u64_u32 v[4:5], s[10:11], s28, v10, 0
	v_add3_u32 v5, v5, v6, v7
	v_cmp_le_i32_e32 vcc, v10, v0
	v_lshl_add_u64 v[4:5], v[4:5], 3, s[8:9]
	s_and_b64 s[8:9], vcc, s[2:3]
	s_and_saveexec_b64 s[2:3], s[8:9]
	s_cbranch_execz .LBB233_30
; %bb.27:
	v_pk_mul_f32 v[8:9], v[26:27], s[34:35] op_sel:[0,1] op_sel_hi:[0,0]
	v_pk_fma_f32 v[6:7], v[24:25], s[34:35], v[8:9] op_sel_hi:[0,1,1] neg_lo:[0,0,1] neg_hi:[0,0,1]
	v_pk_fma_f32 v[8:9], v[24:25], s[34:35], v[8:9] op_sel_hi:[0,1,1]
	s_and_b64 vcc, exec, s[0:1]
	v_lshl_add_u64 v[0:1], v[0:1], 3, v[4:5]
	s_cbranch_vccnz .LBB233_29
; %bb.28:
	global_load_dwordx2 v[12:13], v[0:1], off
	s_mov_b32 s8, s7
	v_mov_b32_e32 v7, v9
	s_waitcnt vmcnt(0)
	v_pk_mul_f32 v[8:9], v[12:13], s[8:9] op_sel:[1,0] op_sel_hi:[0,0]
	v_pk_fma_f32 v[14:15], v[12:13], s[6:7], v[8:9] neg_lo:[0,0,1] neg_hi:[0,0,1]
	v_pk_fma_f32 v[8:9], v[12:13], s[6:7], v[8:9] op_sel_hi:[1,0,1]
	s_nop 0
	v_mov_b32_e32 v15, v9
	v_pk_add_f32 v[6:7], v[6:7], v[14:15]
	s_nop 0
	v_mov_b32_e32 v9, v7
.LBB233_29:
	v_mov_b32_e32 v7, v9
	global_store_dwordx2 v[0:1], v[6:7], off
.LBB233_30:
	s_or_b64 exec, exec, s[2:3]
	v_cmp_le_i32_e32 vcc, v10, v2
	s_and_b64 s[2:3], vcc, s[4:5]
	s_and_saveexec_b64 s[4:5], s[2:3]
	s_cbranch_execz .LBB233_34
; %bb.31:
	v_pk_mul_f32 v[6:7], v[22:23], s[34:35] op_sel:[0,1] op_sel_hi:[0,0]
	v_pk_fma_f32 v[0:1], v[20:21], s[34:35], v[6:7] op_sel_hi:[0,1,1] neg_lo:[0,0,1] neg_hi:[0,0,1]
	v_pk_fma_f32 v[6:7], v[20:21], s[34:35], v[6:7] op_sel_hi:[0,1,1]
	s_and_b64 vcc, exec, s[0:1]
	v_lshl_add_u64 v[2:3], v[2:3], 3, v[4:5]
	s_cbranch_vccnz .LBB233_33
; %bb.32:
	global_load_dwordx2 v[4:5], v[2:3], off
	s_mov_b32 s0, s7
	v_mov_b32_e32 v1, v7
	s_waitcnt vmcnt(0)
	v_pk_mul_f32 v[6:7], v[4:5], s[0:1] op_sel:[1,0] op_sel_hi:[0,0]
	v_pk_fma_f32 v[8:9], v[4:5], s[6:7], v[6:7] neg_lo:[0,0,1] neg_hi:[0,0,1]
	v_pk_fma_f32 v[4:5], v[4:5], s[6:7], v[6:7] op_sel_hi:[1,0,1]
	s_nop 0
	v_mov_b32_e32 v9, v5
	v_pk_add_f32 v[0:1], v[0:1], v[8:9]
	s_nop 0
	v_mov_b32_e32 v7, v1
.LBB233_33:
	v_mov_b32_e32 v1, v7
	global_store_dwordx2 v[2:3], v[0:1], off
.LBB233_34:
	s_endpgm
	.section	.rodata,"a",@progbits
	.p2align	6, 0x0
	.amdhsa_kernel _ZL29rocblas_internal_gemmt_kernelIlLi16ELi32ELi8ELc67ELc67ELc76ELb1ELb1E19rocblas_complex_numIfEPKS1_S3_PS1_EviT_T9_T10_S5_lS7_S5_lS6_T11_S5_li
		.amdhsa_group_segment_fixed_size 4096
		.amdhsa_private_segment_fixed_size 0
		.amdhsa_kernarg_size 108
		.amdhsa_user_sgpr_count 2
		.amdhsa_user_sgpr_dispatch_ptr 0
		.amdhsa_user_sgpr_queue_ptr 0
		.amdhsa_user_sgpr_kernarg_segment_ptr 1
		.amdhsa_user_sgpr_dispatch_id 0
		.amdhsa_user_sgpr_kernarg_preload_length 0
		.amdhsa_user_sgpr_kernarg_preload_offset 0
		.amdhsa_user_sgpr_private_segment_size 0
		.amdhsa_uses_dynamic_stack 0
		.amdhsa_enable_private_segment 0
		.amdhsa_system_sgpr_workgroup_id_x 1
		.amdhsa_system_sgpr_workgroup_id_y 1
		.amdhsa_system_sgpr_workgroup_id_z 1
		.amdhsa_system_sgpr_workgroup_info 0
		.amdhsa_system_vgpr_workitem_id 1
		.amdhsa_next_free_vgpr 53
		.amdhsa_next_free_sgpr 40
		.amdhsa_accum_offset 56
		.amdhsa_reserve_vcc 1
		.amdhsa_float_round_mode_32 0
		.amdhsa_float_round_mode_16_64 0
		.amdhsa_float_denorm_mode_32 3
		.amdhsa_float_denorm_mode_16_64 3
		.amdhsa_dx10_clamp 1
		.amdhsa_ieee_mode 1
		.amdhsa_fp16_overflow 0
		.amdhsa_tg_split 0
		.amdhsa_exception_fp_ieee_invalid_op 0
		.amdhsa_exception_fp_denorm_src 0
		.amdhsa_exception_fp_ieee_div_zero 0
		.amdhsa_exception_fp_ieee_overflow 0
		.amdhsa_exception_fp_ieee_underflow 0
		.amdhsa_exception_fp_ieee_inexact 0
		.amdhsa_exception_int_div_zero 0
	.end_amdhsa_kernel
	.section	.text._ZL29rocblas_internal_gemmt_kernelIlLi16ELi32ELi8ELc67ELc67ELc76ELb1ELb1E19rocblas_complex_numIfEPKS1_S3_PS1_EviT_T9_T10_S5_lS7_S5_lS6_T11_S5_li,"axG",@progbits,_ZL29rocblas_internal_gemmt_kernelIlLi16ELi32ELi8ELc67ELc67ELc76ELb1ELb1E19rocblas_complex_numIfEPKS1_S3_PS1_EviT_T9_T10_S5_lS7_S5_lS6_T11_S5_li,comdat
.Lfunc_end233:
	.size	_ZL29rocblas_internal_gemmt_kernelIlLi16ELi32ELi8ELc67ELc67ELc76ELb1ELb1E19rocblas_complex_numIfEPKS1_S3_PS1_EviT_T9_T10_S5_lS7_S5_lS6_T11_S5_li, .Lfunc_end233-_ZL29rocblas_internal_gemmt_kernelIlLi16ELi32ELi8ELc67ELc67ELc76ELb1ELb1E19rocblas_complex_numIfEPKS1_S3_PS1_EviT_T9_T10_S5_lS7_S5_lS6_T11_S5_li
                                        ; -- End function
	.set _ZL29rocblas_internal_gemmt_kernelIlLi16ELi32ELi8ELc67ELc67ELc76ELb1ELb1E19rocblas_complex_numIfEPKS1_S3_PS1_EviT_T9_T10_S5_lS7_S5_lS6_T11_S5_li.num_vgpr, 53
	.set _ZL29rocblas_internal_gemmt_kernelIlLi16ELi32ELi8ELc67ELc67ELc76ELb1ELb1E19rocblas_complex_numIfEPKS1_S3_PS1_EviT_T9_T10_S5_lS7_S5_lS6_T11_S5_li.num_agpr, 0
	.set _ZL29rocblas_internal_gemmt_kernelIlLi16ELi32ELi8ELc67ELc67ELc76ELb1ELb1E19rocblas_complex_numIfEPKS1_S3_PS1_EviT_T9_T10_S5_lS7_S5_lS6_T11_S5_li.numbered_sgpr, 40
	.set _ZL29rocblas_internal_gemmt_kernelIlLi16ELi32ELi8ELc67ELc67ELc76ELb1ELb1E19rocblas_complex_numIfEPKS1_S3_PS1_EviT_T9_T10_S5_lS7_S5_lS6_T11_S5_li.num_named_barrier, 0
	.set _ZL29rocblas_internal_gemmt_kernelIlLi16ELi32ELi8ELc67ELc67ELc76ELb1ELb1E19rocblas_complex_numIfEPKS1_S3_PS1_EviT_T9_T10_S5_lS7_S5_lS6_T11_S5_li.private_seg_size, 0
	.set _ZL29rocblas_internal_gemmt_kernelIlLi16ELi32ELi8ELc67ELc67ELc76ELb1ELb1E19rocblas_complex_numIfEPKS1_S3_PS1_EviT_T9_T10_S5_lS7_S5_lS6_T11_S5_li.uses_vcc, 1
	.set _ZL29rocblas_internal_gemmt_kernelIlLi16ELi32ELi8ELc67ELc67ELc76ELb1ELb1E19rocblas_complex_numIfEPKS1_S3_PS1_EviT_T9_T10_S5_lS7_S5_lS6_T11_S5_li.uses_flat_scratch, 0
	.set _ZL29rocblas_internal_gemmt_kernelIlLi16ELi32ELi8ELc67ELc67ELc76ELb1ELb1E19rocblas_complex_numIfEPKS1_S3_PS1_EviT_T9_T10_S5_lS7_S5_lS6_T11_S5_li.has_dyn_sized_stack, 0
	.set _ZL29rocblas_internal_gemmt_kernelIlLi16ELi32ELi8ELc67ELc67ELc76ELb1ELb1E19rocblas_complex_numIfEPKS1_S3_PS1_EviT_T9_T10_S5_lS7_S5_lS6_T11_S5_li.has_recursion, 0
	.set _ZL29rocblas_internal_gemmt_kernelIlLi16ELi32ELi8ELc67ELc67ELc76ELb1ELb1E19rocblas_complex_numIfEPKS1_S3_PS1_EviT_T9_T10_S5_lS7_S5_lS6_T11_S5_li.has_indirect_call, 0
	.section	.AMDGPU.csdata,"",@progbits
; Kernel info:
; codeLenInByte = 2640
; TotalNumSgprs: 46
; NumVgprs: 53
; NumAgprs: 0
; TotalNumVgprs: 53
; ScratchSize: 0
; MemoryBound: 0
; FloatMode: 240
; IeeeMode: 1
; LDSByteSize: 4096 bytes/workgroup (compile time only)
; SGPRBlocks: 5
; VGPRBlocks: 6
; NumSGPRsForWavesPerEU: 46
; NumVGPRsForWavesPerEU: 53
; AccumOffset: 56
; Occupancy: 8
; WaveLimiterHint : 0
; COMPUTE_PGM_RSRC2:SCRATCH_EN: 0
; COMPUTE_PGM_RSRC2:USER_SGPR: 2
; COMPUTE_PGM_RSRC2:TRAP_HANDLER: 0
; COMPUTE_PGM_RSRC2:TGID_X_EN: 1
; COMPUTE_PGM_RSRC2:TGID_Y_EN: 1
; COMPUTE_PGM_RSRC2:TGID_Z_EN: 1
; COMPUTE_PGM_RSRC2:TIDIG_COMP_CNT: 1
; COMPUTE_PGM_RSRC3_GFX90A:ACCUM_OFFSET: 13
; COMPUTE_PGM_RSRC3_GFX90A:TG_SPLIT: 0
	.section	.text._ZL29rocblas_internal_gemmt_kernelIlLi16ELi32ELi8ELc78ELc78ELc85ELb0ELb0E19rocblas_complex_numIfES1_PKS1_PS1_EviT_T9_T10_S5_lS7_S5_lS6_T11_S5_li,"axG",@progbits,_ZL29rocblas_internal_gemmt_kernelIlLi16ELi32ELi8ELc78ELc78ELc85ELb0ELb0E19rocblas_complex_numIfES1_PKS1_PS1_EviT_T9_T10_S5_lS7_S5_lS6_T11_S5_li,comdat
	.globl	_ZL29rocblas_internal_gemmt_kernelIlLi16ELi32ELi8ELc78ELc78ELc85ELb0ELb0E19rocblas_complex_numIfES1_PKS1_PS1_EviT_T9_T10_S5_lS7_S5_lS6_T11_S5_li ; -- Begin function _ZL29rocblas_internal_gemmt_kernelIlLi16ELi32ELi8ELc78ELc78ELc85ELb0ELb0E19rocblas_complex_numIfES1_PKS1_PS1_EviT_T9_T10_S5_lS7_S5_lS6_T11_S5_li
	.p2align	8
	.type	_ZL29rocblas_internal_gemmt_kernelIlLi16ELi32ELi8ELc78ELc78ELc85ELb0ELb0E19rocblas_complex_numIfES1_PKS1_PS1_EviT_T9_T10_S5_lS7_S5_lS6_T11_S5_li,@function
_ZL29rocblas_internal_gemmt_kernelIlLi16ELi32ELi8ELc78ELc78ELc85ELb0ELb0E19rocblas_complex_numIfES1_PKS1_PS1_EviT_T9_T10_S5_lS7_S5_lS6_T11_S5_li: ; @_ZL29rocblas_internal_gemmt_kernelIlLi16ELi32ELi8ELc78ELc78ELc85ELb0ELb0E19rocblas_complex_numIfES1_PKS1_PS1_EviT_T9_T10_S5_lS7_S5_lS6_T11_S5_li
; %bb.0:
	s_load_dwordx2 s[16:17], s[0:1], 0x48
	s_load_dwordx2 s[18:19], s[0:1], 0x10
	s_waitcnt lgkmcnt(0)
	s_and_b32 s5, s17, 0x7fffffff
	s_cmp_eq_u32 s5, 0
	v_cmp_eq_f32_e64 s[6:7], s16, 1.0
	s_cselect_b64 s[20:21], -1, 0
	s_and_b64 s[6:7], s[6:7], s[20:21]
	s_and_b64 vcc, exec, s[6:7]
	s_cbranch_vccnz .LBB234_2
; %bb.1:
	s_mov_b64 s[6:7], -1
	s_load_dwordx2 s[22:23], s[0:1], 0x8
	s_cbranch_execz .LBB234_3
	s_branch .LBB234_4
.LBB234_2:
	s_mov_b64 s[6:7], 0
	s_load_dwordx2 s[22:23], s[0:1], 0x8
.LBB234_3:
	s_waitcnt lgkmcnt(0)
	s_cmp_lg_u64 s[22:23], 0
	v_cmp_neq_f32_e64 s[8:9], s18, 0
	v_cmp_neq_f32_e64 s[10:11], s19, 0
	s_cselect_b64 s[6:7], -1, 0
	s_or_b64 s[8:9], s[8:9], s[10:11]
	s_and_b64 s[6:7], s[6:7], s[8:9]
.LBB234_4:
	s_andn2_b64 vcc, exec, s[6:7]
	s_cbranch_vccnz .LBB234_30
; %bb.5:
	s_load_dword s24, s[0:1], 0x0
	s_lshl_b32 s5, s2, 5
	s_lshl_b32 s25, s3, 5
	v_cmp_eq_f32_e64 s[2:3], s18, 0
	v_cmp_eq_f32_e64 s[6:7], s19, 0
	s_and_b64 s[2:3], s[2:3], s[6:7]
	s_waitcnt lgkmcnt(0)
	v_cmp_lt_i64_e64 s[6:7], s[22:23], 1
	s_or_b64 s[2:3], s[2:3], s[6:7]
	v_and_b32_e32 v11, 0x3ff, v0
	v_bfe_u32 v9, v0, 10, 10
	v_mov_b32_e32 v30, 0
	s_and_b64 vcc, exec, s[2:3]
	v_mov_b32_e32 v32, 0
	v_mov_b32_e32 v26, 0
	v_mov_b32_e32 v28, 0
	v_mov_b32_e32 v22, 0
	v_mov_b32_e32 v24, 0
	v_mov_b32_e32 v18, 0
	v_mov_b32_e32 v20, 0
	s_cbranch_vccnz .LBB234_14
; %bb.6:
	s_load_dwordx8 s[8:15], s[0:1], 0x18
	s_load_dwordx4 s[28:31], s[0:1], 0x38
	v_lshl_add_u32 v0, v9, 4, v11
	v_and_b32_e32 v1, 31, v0
	v_lshrrev_b32_e32 v10, 5, v0
	v_lshrrev_b32_e32 v2, 3, v0
	s_waitcnt lgkmcnt(0)
	s_mul_i32 s2, s31, s4
	s_mul_hi_u32 s3, s30, s4
	s_add_i32 s3, s3, s2
	s_mul_i32 s2, s30, s4
	s_lshl_b64 s[2:3], s[2:3], 3
	s_add_u32 s14, s14, s2
	s_addc_u32 s15, s15, s3
	s_mul_i32 s2, s13, s4
	s_mul_hi_u32 s3, s12, s4
	s_add_i32 s3, s3, s2
	s_mul_i32 s2, s12, s4
	s_lshl_b64 s[2:3], s[2:3], 3
	v_or_b32_e32 v0, s5, v1
	s_add_u32 s6, s8, s2
	v_lshlrev_b32_e32 v1, 3, v1
	v_and_b32_e32 v8, 7, v11
	s_addc_u32 s7, s9, s3
	v_lshl_or_b32 v19, v10, 8, v1
	v_ashrrev_i32_e32 v1, 31, v0
	v_cmp_gt_i32_e64 s[2:3], s24, v0
	v_lshl_add_u64 v[12:13], v[0:1], 3, s[6:7]
	v_lshlrev_b32_e32 v0, 3, v8
	v_add_u32_e32 v3, s25, v2
	v_lshl_or_b32 v0, v2, 6, v0
	v_add_u32_e32 v21, 0x800, v0
	v_ashrrev_i32_e32 v0, 31, v3
	v_mul_lo_u32 v2, s28, v0
	v_mul_lo_u32 v4, s29, v3
	v_mad_u64_u32 v[0:1], s[8:9], s28, v3, 0
	v_add3_u32 v1, v1, v2, v4
	v_lshl_add_u64 v[14:15], v[0:1], 3, s[14:15]
	v_mov_b32_e32 v0, 0x800
	v_cmp_gt_i32_e64 s[6:7], s24, v3
	v_lshlrev_b32_e32 v23, 3, v11
	v_lshl_add_u32 v25, v9, 6, v0
	v_mov_b32_e32 v17, 0
	s_mov_b64 s[8:9], 0
	v_mov_b32_e32 v20, 0
	v_mov_b32_e32 v18, 0
	v_mov_b32_e32 v24, 0
	v_mov_b32_e32 v22, 0
	v_mov_b32_e32 v28, 0
	v_mov_b32_e32 v26, 0
	v_mov_b32_e32 v32, 0
	v_mov_b32_e32 v30, 0
	s_branch .LBB234_8
.LBB234_7:                              ;   in Loop: Header=BB234_8 Depth=1
	s_or_b64 exec, exec, s[12:13]
	s_waitcnt vmcnt(0)
	ds_write_b64 v21, v[0:1]
	s_waitcnt lgkmcnt(0)
	s_barrier
	ds_read2_b64 v[34:37], v23 offset1:16
	ds_read_b128 v[38:41], v25
	ds_read_b128 v[42:45], v25 offset:16
	ds_read_b128 v[4:7], v25 offset:32
	;; [unrolled: 1-line block ×3, first 2 shown]
	s_add_u32 s8, s8, 8
	s_waitcnt lgkmcnt(3)
	v_mul_f32_e32 v16, v39, v35
	v_mul_f32_e32 v27, v38, v35
	v_fma_f32 v16, v38, v34, -v16
	v_fmac_f32_e32 v27, v39, v34
	v_add_f32_e32 v16, v30, v16
	v_add_f32_e32 v50, v32, v27
	ds_read_b128 v[30:33], v25 offset:1024
	v_mul_f32_e32 v27, v39, v37
	v_mul_f32_e32 v29, v38, v37
	v_fma_f32 v27, v38, v36, -v27
	v_fmac_f32_e32 v29, v39, v36
	v_add_f32_e32 v38, v26, v27
	v_add_f32_e32 v39, v28, v29
	ds_read_b128 v[26:29], v25 offset:1040
	s_waitcnt lgkmcnt(1)
	v_mul_f32_e32 v46, v31, v35
	v_fma_f32 v46, v30, v34, -v46
	v_add_f32_e32 v22, v22, v46
	ds_read2_b64 v[46:49], v23 offset0:32 offset1:48
	v_mul_f32_e32 v35, v30, v35
	v_fmac_f32_e32 v35, v31, v34
	v_mul_f32_e32 v34, v31, v37
	v_fma_f32 v34, v30, v36, -v34
	v_mul_f32_e32 v30, v30, v37
	v_fmac_f32_e32 v30, v31, v36
	v_add_f32_e32 v20, v20, v30
	s_waitcnt lgkmcnt(0)
	v_mul_f32_e32 v30, v41, v47
	v_mul_f32_e32 v31, v40, v47
	v_fma_f32 v30, v40, v46, -v30
	v_fmac_f32_e32 v31, v41, v46
	v_add_f32_e32 v18, v18, v34
	v_add_f32_e32 v16, v16, v30
	;; [unrolled: 1-line block ×3, first 2 shown]
	v_mul_f32_e32 v31, v41, v49
	v_mul_f32_e32 v34, v40, v49
	v_fma_f32 v31, v40, v48, -v31
	v_fmac_f32_e32 v34, v41, v48
	v_add_f32_e32 v31, v38, v31
	v_add_f32_e32 v38, v39, v34
	v_mul_f32_e32 v34, v33, v47
	v_add_f32_e32 v24, v24, v35
	v_fma_f32 v34, v32, v46, -v34
	v_mul_f32_e32 v35, v32, v47
	v_fmac_f32_e32 v35, v33, v46
	v_add_f32_e32 v22, v22, v34
	v_mul_f32_e32 v34, v33, v49
	v_add_f32_e32 v24, v24, v35
	v_fma_f32 v39, v32, v48, -v34
	ds_read2_b64 v[34:37], v23 offset0:64 offset1:80
	v_mul_f32_e32 v32, v32, v49
	v_fmac_f32_e32 v32, v33, v48
	v_add_f32_e32 v18, v18, v39
	v_add_f32_e32 v20, v20, v32
	s_waitcnt lgkmcnt(0)
	v_mul_f32_e32 v33, v42, v35
	v_fmac_f32_e32 v33, v43, v34
	v_add_f32_e32 v39, v30, v33
	v_mul_f32_e32 v30, v43, v37
	v_mul_f32_e32 v32, v43, v35
	v_fma_f32 v30, v42, v36, -v30
	v_fma_f32 v32, v42, v34, -v32
	v_add_f32_e32 v40, v31, v30
	v_mul_f32_e32 v30, v27, v35
	v_add_f32_e32 v16, v16, v32
	v_mul_f32_e32 v32, v42, v37
	v_fma_f32 v30, v26, v34, -v30
	v_mul_f32_e32 v31, v26, v35
	v_fmac_f32_e32 v32, v43, v36
	v_fmac_f32_e32 v31, v27, v34
	v_add_f32_e32 v22, v22, v30
	v_mul_f32_e32 v30, v27, v37
	v_add_f32_e32 v38, v38, v32
	v_add_f32_e32 v24, v24, v31
	v_fma_f32 v34, v26, v36, -v30
	ds_read2_b64 v[30:33], v23 offset0:96 offset1:112
	v_mul_f32_e32 v26, v26, v37
	v_fmac_f32_e32 v26, v27, v36
	v_add_f32_e32 v20, v20, v26
	v_add_f32_e32 v18, v18, v34
	s_waitcnt lgkmcnt(0)
	v_mul_f32_e32 v26, v45, v31
	v_mul_f32_e32 v27, v44, v31
	v_fma_f32 v26, v44, v30, -v26
	v_fmac_f32_e32 v27, v45, v30
	v_add_f32_e32 v16, v16, v26
	v_add_f32_e32 v26, v39, v27
	v_mul_f32_e32 v27, v45, v33
	v_mul_f32_e32 v34, v44, v33
	v_fma_f32 v27, v44, v32, -v27
	v_fmac_f32_e32 v34, v45, v32
	v_add_f32_e32 v39, v40, v27
	v_add_f32_e32 v38, v38, v34
	v_mul_f32_e32 v27, v29, v31
	ds_read2_b64 v[34:37], v23 offset0:128 offset1:144
	v_fma_f32 v27, v28, v30, -v27
	v_add_f32_e32 v22, v22, v27
	v_mul_f32_e32 v27, v29, v33
	v_mul_f32_e32 v31, v28, v31
	v_fma_f32 v27, v28, v32, -v27
	v_mul_f32_e32 v28, v28, v33
	v_fmac_f32_e32 v28, v29, v32
	v_add_f32_e32 v20, v20, v28
	s_waitcnt lgkmcnt(0)
	v_mul_f32_e32 v28, v4, v35
	v_add_f32_e32 v18, v18, v27
	v_mul_f32_e32 v27, v5, v35
	v_fmac_f32_e32 v28, v5, v34
	v_fma_f32 v27, v4, v34, -v27
	v_add_f32_e32 v42, v26, v28
	v_mul_f32_e32 v26, v5, v37
	v_fmac_f32_e32 v31, v29, v30
	v_add_f32_e32 v16, v16, v27
	v_fma_f32 v30, v4, v36, -v26
	ds_read_b128 v[26:29], v25 offset:1056
	v_mul_f32_e32 v4, v4, v37
	v_fmac_f32_e32 v4, v5, v36
	v_add_f32_e32 v5, v39, v30
	v_add_f32_e32 v4, v38, v4
	ds_read_b128 v[38:41], v25 offset:1072
	s_waitcnt lgkmcnt(1)
	v_mul_f32_e32 v30, v27, v35
	v_add_f32_e32 v24, v24, v31
	v_fma_f32 v30, v26, v34, -v30
	v_mul_f32_e32 v31, v26, v35
	v_fmac_f32_e32 v31, v27, v34
	v_add_f32_e32 v22, v22, v30
	v_mul_f32_e32 v30, v27, v37
	v_add_f32_e32 v24, v24, v31
	v_fma_f32 v34, v26, v36, -v30
	ds_read2_b64 v[30:33], v23 offset0:160 offset1:176
	v_mul_f32_e32 v26, v26, v37
	v_fmac_f32_e32 v26, v27, v36
	v_add_f32_e32 v20, v20, v26
	v_add_f32_e32 v18, v18, v34
	s_waitcnt lgkmcnt(0)
	v_mul_f32_e32 v26, v7, v31
	v_mul_f32_e32 v27, v6, v31
	v_fma_f32 v26, v6, v30, -v26
	v_fmac_f32_e32 v27, v7, v30
	v_add_f32_e32 v16, v16, v26
	v_add_f32_e32 v26, v42, v27
	v_mul_f32_e32 v27, v7, v33
	v_fma_f32 v27, v6, v32, -v27
	v_mul_f32_e32 v6, v6, v33
	v_fmac_f32_e32 v6, v7, v32
	v_add_f32_e32 v34, v4, v6
	v_mul_f32_e32 v4, v29, v31
	v_add_f32_e32 v27, v5, v27
	v_fma_f32 v4, v28, v30, -v4
	v_mul_f32_e32 v5, v28, v31
	v_fmac_f32_e32 v5, v29, v30
	v_add_f32_e32 v22, v22, v4
	v_mul_f32_e32 v4, v29, v33
	v_add_f32_e32 v24, v24, v5
	v_fma_f32 v30, v28, v32, -v4
	ds_read2_b64 v[4:7], v23 offset0:192 offset1:208
	v_mul_f32_e32 v28, v28, v33
	v_fmac_f32_e32 v28, v29, v32
	v_add_f32_e32 v20, v20, v28
	v_add_f32_e32 v18, v18, v30
	s_waitcnt lgkmcnt(0)
	v_mul_f32_e32 v28, v1, v5
	v_fma_f32 v28, v0, v4, -v28
	v_add_f32_e32 v16, v16, v28
	v_mul_f32_e32 v28, v1, v7
	v_mul_f32_e32 v29, v0, v5
	v_fma_f32 v28, v0, v6, -v28
	v_mul_f32_e32 v0, v0, v7
	v_fmac_f32_e32 v0, v1, v6
	v_add_f32_e32 v0, v34, v0
	ds_read2_b64 v[34:37], v23 offset0:224 offset1:240
	v_fmac_f32_e32 v29, v1, v4
	v_add_f32_e32 v1, v27, v28
	v_mul_f32_e32 v27, v39, v5
	v_fma_f32 v27, v38, v4, -v27
	v_mul_f32_e32 v5, v38, v5
	v_fmac_f32_e32 v5, v39, v4
	v_add_f32_e32 v4, v22, v27
	v_mul_f32_e32 v22, v39, v7
	v_fma_f32 v22, v38, v6, -v22
	v_mul_f32_e32 v7, v38, v7
	v_fmac_f32_e32 v7, v39, v6
	v_add_f32_e32 v6, v18, v22
	s_waitcnt lgkmcnt(0)
	v_mul_f32_e32 v18, v3, v35
	v_fma_f32 v18, v2, v34, -v18
	v_add_f32_e32 v30, v16, v18
	v_mul_f32_e32 v16, v3, v37
	v_add_f32_e32 v7, v20, v7
	v_mul_f32_e32 v20, v2, v35
	v_fma_f32 v16, v2, v36, -v16
	v_mul_f32_e32 v2, v2, v37
	v_add_f32_e32 v26, v26, v29
	v_fmac_f32_e32 v20, v3, v34
	v_fmac_f32_e32 v2, v3, v36
	v_add_f32_e32 v32, v26, v20
	v_add_f32_e32 v26, v1, v16
	;; [unrolled: 1-line block ×3, first 2 shown]
	v_mul_f32_e32 v0, v41, v35
	v_mul_f32_e32 v1, v40, v35
	v_add_f32_e32 v5, v24, v5
	v_fma_f32 v0, v40, v34, -v0
	v_fmac_f32_e32 v1, v41, v34
	v_add_f32_e32 v22, v4, v0
	v_add_f32_e32 v24, v5, v1
	v_mul_f32_e32 v0, v41, v37
	v_mul_f32_e32 v1, v40, v37
	v_fma_f32 v0, v40, v36, -v0
	v_fmac_f32_e32 v1, v41, v36
	s_addc_u32 s9, s9, 0
	v_add_f32_e32 v18, v6, v0
	v_add_f32_e32 v20, v7, v1
	v_mov_b64_e32 v[0:1], s[8:9]
	v_cmp_gt_i64_e32 vcc, s[22:23], v[0:1]
	s_barrier
	s_cbranch_vccz .LBB234_14
.LBB234_8:                              ; =>This Inner Loop Header: Depth=1
	v_mov_b32_e32 v0, 0
	v_mov_b32_e32 v1, 0
	s_and_saveexec_b64 s[12:13], s[2:3]
	s_cbranch_execz .LBB234_12
; %bb.9:                                ;   in Loop: Header=BB234_8 Depth=1
	v_add_u32_e32 v16, s8, v10
	v_cmp_gt_u64_e32 vcc, s[22:23], v[16:17]
	v_mov_b32_e32 v1, 0
	v_mov_b32_e32 v0, 0
	s_and_saveexec_b64 s[14:15], vcc
	s_cbranch_execz .LBB234_11
; %bb.10:                               ;   in Loop: Header=BB234_8 Depth=1
	v_mad_u64_u32 v[0:1], s[26:27], s10, v16, 0
	v_mov_b32_e32 v2, v1
	v_mad_u64_u32 v[2:3], s[26:27], s11, v16, v[2:3]
	v_mov_b32_e32 v1, v2
	v_lshl_add_u64 v[0:1], v[0:1], 3, v[12:13]
	global_load_dwordx2 v[0:1], v[0:1], off
.LBB234_11:                             ;   in Loop: Header=BB234_8 Depth=1
	s_or_b64 exec, exec, s[14:15]
.LBB234_12:                             ;   in Loop: Header=BB234_8 Depth=1
	s_or_b64 exec, exec, s[12:13]
	v_add_u32_e32 v16, s8, v8
	v_cmp_gt_u64_e32 vcc, s[22:23], v[16:17]
	s_waitcnt vmcnt(0)
	ds_write_b64 v19, v[0:1]
	s_and_b64 s[14:15], vcc, s[6:7]
	v_mov_b32_e32 v0, 0
	v_mov_b32_e32 v1, 0
	s_and_saveexec_b64 s[12:13], s[14:15]
	s_cbranch_execz .LBB234_7
; %bb.13:                               ;   in Loop: Header=BB234_8 Depth=1
	v_lshl_add_u64 v[0:1], v[16:17], 3, v[14:15]
	global_load_dwordx2 v[0:1], v[0:1], off
	s_branch .LBB234_7
.LBB234_14:
	s_load_dwordx2 s[2:3], s[0:1], 0x60
	s_load_dwordx4 s[8:11], s[0:1], 0x50
	v_add_u32_e32 v10, s25, v9
	v_ashrrev_i32_e32 v1, 31, v10
	v_add_u32_e32 v0, s5, v11
	s_waitcnt lgkmcnt(0)
	s_mul_i32 s1, s3, s4
	s_mul_hi_u32 s3, s2, s4
	s_mul_i32 s0, s2, s4
	s_add_i32 s1, s3, s1
	s_lshl_b64 s[0:1], s[0:1], 3
	s_add_u32 s4, s8, s0
	s_addc_u32 s5, s9, s1
	v_cmp_neq_f32_e64 s[0:1], s16, 0
	s_xor_b64 s[6:7], s[20:21], -1
	v_mul_lo_u32 v1, s10, v1
	v_mul_lo_u32 v4, s11, v10
	v_mad_u64_u32 v[2:3], s[8:9], s10, v10, 0
	v_add3_u32 v3, v3, v1, v4
	s_or_b64 s[0:1], s[0:1], s[6:7]
	v_cmp_gt_i32_e64 s[2:3], s24, v10
	v_lshl_add_u64 v[4:5], v[2:3], 3, s[4:5]
	v_cmp_le_i32_e32 vcc, v0, v10
	v_cndmask_b32_e64 v2, 0, 1, s[0:1]
	s_and_b64 s[8:9], s[2:3], vcc
	v_ashrrev_i32_e32 v1, 31, v0
	v_cmp_ne_u32_e64 s[0:1], 1, v2
	s_and_saveexec_b64 s[6:7], s[8:9]
	s_cbranch_execz .LBB234_18
; %bb.15:
	v_pk_mul_f32 v[6:7], v[32:33], s[18:19] op_sel:[0,1] op_sel_hi:[0,0]
	v_pk_fma_f32 v[2:3], v[30:31], s[18:19], v[6:7] op_sel_hi:[0,1,1] neg_lo:[0,0,1] neg_hi:[0,0,1]
	v_pk_fma_f32 v[8:9], v[30:31], s[18:19], v[6:7] op_sel_hi:[0,1,1]
	s_and_b64 vcc, exec, s[0:1]
	v_lshl_add_u64 v[6:7], v[0:1], 3, v[4:5]
	s_cbranch_vccnz .LBB234_17
; %bb.16:
	global_load_dwordx2 v[12:13], v[6:7], off
	s_mov_b32 s8, s17
	v_mov_b32_e32 v3, v9
	s_waitcnt vmcnt(0)
	v_pk_mul_f32 v[8:9], v[12:13], s[8:9] op_sel:[1,0] op_sel_hi:[0,0]
	v_pk_fma_f32 v[14:15], v[12:13], s[16:17], v[8:9] neg_lo:[0,0,1] neg_hi:[0,0,1]
	v_pk_fma_f32 v[8:9], v[12:13], s[16:17], v[8:9] op_sel_hi:[1,0,1]
	s_nop 0
	v_mov_b32_e32 v15, v9
	v_pk_add_f32 v[2:3], v[2:3], v[14:15]
	s_nop 0
	v_mov_b32_e32 v9, v3
.LBB234_17:
	v_mov_b32_e32 v3, v9
	global_store_dwordx2 v[6:7], v[2:3], off
.LBB234_18:
	s_or_b64 exec, exec, s[6:7]
	v_add_u32_e32 v2, 16, v0
	v_cmp_le_i32_e32 vcc, v2, v10
	s_and_b64 s[6:7], s[2:3], vcc
	v_ashrrev_i32_e32 v3, 31, v2
	s_and_saveexec_b64 s[2:3], s[6:7]
	s_cbranch_execz .LBB234_22
; %bb.19:
	v_pk_mul_f32 v[8:9], v[28:29], s[18:19] op_sel:[0,1] op_sel_hi:[0,0]
	v_pk_fma_f32 v[6:7], v[26:27], s[18:19], v[8:9] op_sel_hi:[0,1,1] neg_lo:[0,0,1] neg_hi:[0,0,1]
	v_pk_fma_f32 v[8:9], v[26:27], s[18:19], v[8:9] op_sel_hi:[0,1,1]
	s_and_b64 vcc, exec, s[0:1]
	v_lshl_add_u64 v[4:5], v[2:3], 3, v[4:5]
	s_cbranch_vccnz .LBB234_21
; %bb.20:
	global_load_dwordx2 v[12:13], v[4:5], off
	s_mov_b32 s6, s17
	v_mov_b32_e32 v7, v9
	s_waitcnt vmcnt(0)
	v_pk_mul_f32 v[8:9], v[12:13], s[6:7] op_sel:[1,0] op_sel_hi:[0,0]
	v_pk_fma_f32 v[14:15], v[12:13], s[16:17], v[8:9] neg_lo:[0,0,1] neg_hi:[0,0,1]
	v_pk_fma_f32 v[8:9], v[12:13], s[16:17], v[8:9] op_sel_hi:[1,0,1]
	s_nop 0
	v_mov_b32_e32 v15, v9
	v_pk_add_f32 v[6:7], v[6:7], v[14:15]
	s_nop 0
	v_mov_b32_e32 v9, v7
.LBB234_21:
	v_mov_b32_e32 v7, v9
	global_store_dwordx2 v[4:5], v[6:7], off
.LBB234_22:
	s_or_b64 exec, exec, s[2:3]
	v_add_u32_e32 v10, 16, v10
	v_ashrrev_i32_e32 v4, 31, v10
	v_mul_lo_u32 v6, s10, v4
	v_mul_lo_u32 v7, s11, v10
	v_mad_u64_u32 v[4:5], s[6:7], s10, v10, 0
	v_cmp_gt_i32_e64 s[2:3], s24, v10
	v_add3_u32 v5, v5, v6, v7
	v_cmp_le_i32_e32 vcc, v0, v10
	v_lshl_add_u64 v[4:5], v[4:5], 3, s[4:5]
	s_and_b64 s[6:7], s[2:3], vcc
	s_and_saveexec_b64 s[4:5], s[6:7]
	s_cbranch_execz .LBB234_26
; %bb.23:
	v_pk_mul_f32 v[8:9], v[24:25], s[18:19] op_sel:[0,1] op_sel_hi:[0,0]
	v_pk_fma_f32 v[6:7], v[22:23], s[18:19], v[8:9] op_sel_hi:[0,1,1] neg_lo:[0,0,1] neg_hi:[0,0,1]
	v_pk_fma_f32 v[8:9], v[22:23], s[18:19], v[8:9] op_sel_hi:[0,1,1]
	s_and_b64 vcc, exec, s[0:1]
	v_lshl_add_u64 v[0:1], v[0:1], 3, v[4:5]
	s_cbranch_vccnz .LBB234_25
; %bb.24:
	global_load_dwordx2 v[12:13], v[0:1], off
	s_mov_b32 s6, s17
	v_mov_b32_e32 v7, v9
	s_waitcnt vmcnt(0)
	v_pk_mul_f32 v[8:9], v[12:13], s[6:7] op_sel:[1,0] op_sel_hi:[0,0]
	v_pk_fma_f32 v[14:15], v[12:13], s[16:17], v[8:9] neg_lo:[0,0,1] neg_hi:[0,0,1]
	v_pk_fma_f32 v[8:9], v[12:13], s[16:17], v[8:9] op_sel_hi:[1,0,1]
	s_nop 0
	v_mov_b32_e32 v15, v9
	v_pk_add_f32 v[6:7], v[6:7], v[14:15]
	s_nop 0
	v_mov_b32_e32 v9, v7
.LBB234_25:
	v_mov_b32_e32 v7, v9
	global_store_dwordx2 v[0:1], v[6:7], off
.LBB234_26:
	s_or_b64 exec, exec, s[4:5]
	v_cmp_le_i32_e32 vcc, v2, v10
	s_and_b64 s[2:3], s[2:3], vcc
	s_and_saveexec_b64 s[4:5], s[2:3]
	s_cbranch_execz .LBB234_30
; %bb.27:
	v_pk_mul_f32 v[6:7], v[20:21], s[18:19] op_sel:[0,1] op_sel_hi:[0,0]
	v_pk_fma_f32 v[0:1], v[18:19], s[18:19], v[6:7] op_sel_hi:[0,1,1] neg_lo:[0,0,1] neg_hi:[0,0,1]
	v_pk_fma_f32 v[6:7], v[18:19], s[18:19], v[6:7] op_sel_hi:[0,1,1]
	s_and_b64 vcc, exec, s[0:1]
	v_lshl_add_u64 v[2:3], v[2:3], 3, v[4:5]
	s_cbranch_vccnz .LBB234_29
; %bb.28:
	global_load_dwordx2 v[4:5], v[2:3], off
	s_mov_b32 s0, s17
	v_mov_b32_e32 v1, v7
	s_waitcnt vmcnt(0)
	v_pk_mul_f32 v[6:7], v[4:5], s[0:1] op_sel:[1,0] op_sel_hi:[0,0]
	v_pk_fma_f32 v[8:9], v[4:5], s[16:17], v[6:7] neg_lo:[0,0,1] neg_hi:[0,0,1]
	v_pk_fma_f32 v[4:5], v[4:5], s[16:17], v[6:7] op_sel_hi:[1,0,1]
	s_nop 0
	v_mov_b32_e32 v9, v5
	v_pk_add_f32 v[0:1], v[0:1], v[8:9]
	s_nop 0
	v_mov_b32_e32 v7, v1
.LBB234_29:
	v_mov_b32_e32 v1, v7
	global_store_dwordx2 v[2:3], v[0:1], off
.LBB234_30:
	s_endpgm
	.section	.rodata,"a",@progbits
	.p2align	6, 0x0
	.amdhsa_kernel _ZL29rocblas_internal_gemmt_kernelIlLi16ELi32ELi8ELc78ELc78ELc85ELb0ELb0E19rocblas_complex_numIfES1_PKS1_PS1_EviT_T9_T10_S5_lS7_S5_lS6_T11_S5_li
		.amdhsa_group_segment_fixed_size 4096
		.amdhsa_private_segment_fixed_size 0
		.amdhsa_kernarg_size 108
		.amdhsa_user_sgpr_count 2
		.amdhsa_user_sgpr_dispatch_ptr 0
		.amdhsa_user_sgpr_queue_ptr 0
		.amdhsa_user_sgpr_kernarg_segment_ptr 1
		.amdhsa_user_sgpr_dispatch_id 0
		.amdhsa_user_sgpr_kernarg_preload_length 0
		.amdhsa_user_sgpr_kernarg_preload_offset 0
		.amdhsa_user_sgpr_private_segment_size 0
		.amdhsa_uses_dynamic_stack 0
		.amdhsa_enable_private_segment 0
		.amdhsa_system_sgpr_workgroup_id_x 1
		.amdhsa_system_sgpr_workgroup_id_y 1
		.amdhsa_system_sgpr_workgroup_id_z 1
		.amdhsa_system_sgpr_workgroup_info 0
		.amdhsa_system_vgpr_workitem_id 1
		.amdhsa_next_free_vgpr 51
		.amdhsa_next_free_sgpr 32
		.amdhsa_accum_offset 52
		.amdhsa_reserve_vcc 1
		.amdhsa_float_round_mode_32 0
		.amdhsa_float_round_mode_16_64 0
		.amdhsa_float_denorm_mode_32 3
		.amdhsa_float_denorm_mode_16_64 3
		.amdhsa_dx10_clamp 1
		.amdhsa_ieee_mode 1
		.amdhsa_fp16_overflow 0
		.amdhsa_tg_split 0
		.amdhsa_exception_fp_ieee_invalid_op 0
		.amdhsa_exception_fp_denorm_src 0
		.amdhsa_exception_fp_ieee_div_zero 0
		.amdhsa_exception_fp_ieee_overflow 0
		.amdhsa_exception_fp_ieee_underflow 0
		.amdhsa_exception_fp_ieee_inexact 0
		.amdhsa_exception_int_div_zero 0
	.end_amdhsa_kernel
	.section	.text._ZL29rocblas_internal_gemmt_kernelIlLi16ELi32ELi8ELc78ELc78ELc85ELb0ELb0E19rocblas_complex_numIfES1_PKS1_PS1_EviT_T9_T10_S5_lS7_S5_lS6_T11_S5_li,"axG",@progbits,_ZL29rocblas_internal_gemmt_kernelIlLi16ELi32ELi8ELc78ELc78ELc85ELb0ELb0E19rocblas_complex_numIfES1_PKS1_PS1_EviT_T9_T10_S5_lS7_S5_lS6_T11_S5_li,comdat
.Lfunc_end234:
	.size	_ZL29rocblas_internal_gemmt_kernelIlLi16ELi32ELi8ELc78ELc78ELc85ELb0ELb0E19rocblas_complex_numIfES1_PKS1_PS1_EviT_T9_T10_S5_lS7_S5_lS6_T11_S5_li, .Lfunc_end234-_ZL29rocblas_internal_gemmt_kernelIlLi16ELi32ELi8ELc78ELc78ELc85ELb0ELb0E19rocblas_complex_numIfES1_PKS1_PS1_EviT_T9_T10_S5_lS7_S5_lS6_T11_S5_li
                                        ; -- End function
	.set _ZL29rocblas_internal_gemmt_kernelIlLi16ELi32ELi8ELc78ELc78ELc85ELb0ELb0E19rocblas_complex_numIfES1_PKS1_PS1_EviT_T9_T10_S5_lS7_S5_lS6_T11_S5_li.num_vgpr, 51
	.set _ZL29rocblas_internal_gemmt_kernelIlLi16ELi32ELi8ELc78ELc78ELc85ELb0ELb0E19rocblas_complex_numIfES1_PKS1_PS1_EviT_T9_T10_S5_lS7_S5_lS6_T11_S5_li.num_agpr, 0
	.set _ZL29rocblas_internal_gemmt_kernelIlLi16ELi32ELi8ELc78ELc78ELc85ELb0ELb0E19rocblas_complex_numIfES1_PKS1_PS1_EviT_T9_T10_S5_lS7_S5_lS6_T11_S5_li.numbered_sgpr, 32
	.set _ZL29rocblas_internal_gemmt_kernelIlLi16ELi32ELi8ELc78ELc78ELc85ELb0ELb0E19rocblas_complex_numIfES1_PKS1_PS1_EviT_T9_T10_S5_lS7_S5_lS6_T11_S5_li.num_named_barrier, 0
	.set _ZL29rocblas_internal_gemmt_kernelIlLi16ELi32ELi8ELc78ELc78ELc85ELb0ELb0E19rocblas_complex_numIfES1_PKS1_PS1_EviT_T9_T10_S5_lS7_S5_lS6_T11_S5_li.private_seg_size, 0
	.set _ZL29rocblas_internal_gemmt_kernelIlLi16ELi32ELi8ELc78ELc78ELc85ELb0ELb0E19rocblas_complex_numIfES1_PKS1_PS1_EviT_T9_T10_S5_lS7_S5_lS6_T11_S5_li.uses_vcc, 1
	.set _ZL29rocblas_internal_gemmt_kernelIlLi16ELi32ELi8ELc78ELc78ELc85ELb0ELb0E19rocblas_complex_numIfES1_PKS1_PS1_EviT_T9_T10_S5_lS7_S5_lS6_T11_S5_li.uses_flat_scratch, 0
	.set _ZL29rocblas_internal_gemmt_kernelIlLi16ELi32ELi8ELc78ELc78ELc85ELb0ELb0E19rocblas_complex_numIfES1_PKS1_PS1_EviT_T9_T10_S5_lS7_S5_lS6_T11_S5_li.has_dyn_sized_stack, 0
	.set _ZL29rocblas_internal_gemmt_kernelIlLi16ELi32ELi8ELc78ELc78ELc85ELb0ELb0E19rocblas_complex_numIfES1_PKS1_PS1_EviT_T9_T10_S5_lS7_S5_lS6_T11_S5_li.has_recursion, 0
	.set _ZL29rocblas_internal_gemmt_kernelIlLi16ELi32ELi8ELc78ELc78ELc85ELb0ELb0E19rocblas_complex_numIfES1_PKS1_PS1_EviT_T9_T10_S5_lS7_S5_lS6_T11_S5_li.has_indirect_call, 0
	.section	.AMDGPU.csdata,"",@progbits
; Kernel info:
; codeLenInByte = 2544
; TotalNumSgprs: 38
; NumVgprs: 51
; NumAgprs: 0
; TotalNumVgprs: 51
; ScratchSize: 0
; MemoryBound: 0
; FloatMode: 240
; IeeeMode: 1
; LDSByteSize: 4096 bytes/workgroup (compile time only)
; SGPRBlocks: 4
; VGPRBlocks: 6
; NumSGPRsForWavesPerEU: 38
; NumVGPRsForWavesPerEU: 51
; AccumOffset: 52
; Occupancy: 8
; WaveLimiterHint : 0
; COMPUTE_PGM_RSRC2:SCRATCH_EN: 0
; COMPUTE_PGM_RSRC2:USER_SGPR: 2
; COMPUTE_PGM_RSRC2:TRAP_HANDLER: 0
; COMPUTE_PGM_RSRC2:TGID_X_EN: 1
; COMPUTE_PGM_RSRC2:TGID_Y_EN: 1
; COMPUTE_PGM_RSRC2:TGID_Z_EN: 1
; COMPUTE_PGM_RSRC2:TIDIG_COMP_CNT: 1
; COMPUTE_PGM_RSRC3_GFX90A:ACCUM_OFFSET: 12
; COMPUTE_PGM_RSRC3_GFX90A:TG_SPLIT: 0
	.section	.text._ZL29rocblas_internal_gemmt_kernelIlLi16ELi32ELi8ELc78ELc84ELc85ELb0ELb0E19rocblas_complex_numIfES1_PKS1_PS1_EviT_T9_T10_S5_lS7_S5_lS6_T11_S5_li,"axG",@progbits,_ZL29rocblas_internal_gemmt_kernelIlLi16ELi32ELi8ELc78ELc84ELc85ELb0ELb0E19rocblas_complex_numIfES1_PKS1_PS1_EviT_T9_T10_S5_lS7_S5_lS6_T11_S5_li,comdat
	.globl	_ZL29rocblas_internal_gemmt_kernelIlLi16ELi32ELi8ELc78ELc84ELc85ELb0ELb0E19rocblas_complex_numIfES1_PKS1_PS1_EviT_T9_T10_S5_lS7_S5_lS6_T11_S5_li ; -- Begin function _ZL29rocblas_internal_gemmt_kernelIlLi16ELi32ELi8ELc78ELc84ELc85ELb0ELb0E19rocblas_complex_numIfES1_PKS1_PS1_EviT_T9_T10_S5_lS7_S5_lS6_T11_S5_li
	.p2align	8
	.type	_ZL29rocblas_internal_gemmt_kernelIlLi16ELi32ELi8ELc78ELc84ELc85ELb0ELb0E19rocblas_complex_numIfES1_PKS1_PS1_EviT_T9_T10_S5_lS7_S5_lS6_T11_S5_li,@function
_ZL29rocblas_internal_gemmt_kernelIlLi16ELi32ELi8ELc78ELc84ELc85ELb0ELb0E19rocblas_complex_numIfES1_PKS1_PS1_EviT_T9_T10_S5_lS7_S5_lS6_T11_S5_li: ; @_ZL29rocblas_internal_gemmt_kernelIlLi16ELi32ELi8ELc78ELc84ELc85ELb0ELb0E19rocblas_complex_numIfES1_PKS1_PS1_EviT_T9_T10_S5_lS7_S5_lS6_T11_S5_li
; %bb.0:
	s_load_dwordx2 s[20:21], s[0:1], 0x48
	s_load_dwordx2 s[22:23], s[0:1], 0x10
	s_waitcnt lgkmcnt(0)
	s_and_b32 s5, s21, 0x7fffffff
	s_cmp_eq_u32 s5, 0
	v_cmp_eq_f32_e64 s[6:7], s20, 1.0
	s_cselect_b64 s[24:25], -1, 0
	s_and_b64 s[6:7], s[6:7], s[24:25]
	s_and_b64 vcc, exec, s[6:7]
	s_cbranch_vccnz .LBB235_2
; %bb.1:
	s_mov_b64 s[6:7], -1
	s_load_dwordx2 s[26:27], s[0:1], 0x8
	s_cbranch_execz .LBB235_3
	s_branch .LBB235_4
.LBB235_2:
	s_mov_b64 s[6:7], 0
	s_load_dwordx2 s[26:27], s[0:1], 0x8
.LBB235_3:
	s_waitcnt lgkmcnt(0)
	s_cmp_lg_u64 s[26:27], 0
	v_cmp_neq_f32_e64 s[8:9], s22, 0
	v_cmp_neq_f32_e64 s[10:11], s23, 0
	s_cselect_b64 s[6:7], -1, 0
	s_or_b64 s[8:9], s[8:9], s[10:11]
	s_and_b64 s[6:7], s[6:7], s[8:9]
.LBB235_4:
	s_andn2_b64 vcc, exec, s[6:7]
	s_cbranch_vccnz .LBB235_30
; %bb.5:
	s_load_dword s28, s[0:1], 0x0
	s_lshl_b32 s5, s2, 5
	s_lshl_b32 s29, s3, 5
	v_cmp_eq_f32_e64 s[2:3], s22, 0
	v_cmp_eq_f32_e64 s[6:7], s23, 0
	s_and_b64 s[2:3], s[2:3], s[6:7]
	s_waitcnt lgkmcnt(0)
	v_cmp_lt_i64_e64 s[6:7], s[26:27], 1
	s_or_b64 s[2:3], s[2:3], s[6:7]
	v_and_b32_e32 v11, 0x3ff, v0
	v_bfe_u32 v9, v0, 10, 10
	v_mov_b32_e32 v30, 0
	s_and_b64 vcc, exec, s[2:3]
	v_mov_b32_e32 v32, 0
	v_mov_b32_e32 v26, 0
	;; [unrolled: 1-line block ×7, first 2 shown]
	s_cbranch_vccnz .LBB235_14
; %bb.6:
	s_load_dwordx8 s[8:15], s[0:1], 0x18
	s_load_dwordx4 s[16:19], s[0:1], 0x38
	v_lshl_add_u32 v1, v9, 4, v11
	v_lshrrev_b32_e32 v10, 5, v1
	v_lshrrev_b32_e32 v4, 3, v1
	v_and_b32_e32 v1, 31, v1
	s_waitcnt lgkmcnt(0)
	s_mul_i32 s2, s19, s4
	s_mul_hi_u32 s3, s18, s4
	s_add_i32 s3, s3, s2
	s_mul_i32 s2, s18, s4
	s_lshl_b64 s[2:3], s[2:3], 3
	s_add_u32 s14, s14, s2
	s_addc_u32 s15, s15, s3
	s_mul_i32 s2, s13, s4
	s_mul_hi_u32 s3, s12, s4
	v_and_b32_e32 v8, 7, v11
	v_or_b32_e32 v2, s5, v1
	s_add_i32 s3, s3, s2
	s_mul_i32 s2, s12, s4
	v_lshlrev_b32_e32 v1, 3, v1
	s_lshl_b64 s[2:3], s[2:3], 3
	v_lshl_or_b32 v19, v10, 8, v1
	v_lshlrev_b32_e32 v1, 3, v8
	v_add_u32_e32 v0, s29, v4
	s_add_u32 s6, s8, s2
	v_lshl_or_b32 v1, v4, 6, v1
	s_addc_u32 s7, s9, s3
	v_ashrrev_i32_e32 v3, 31, v2
	v_add_u32_e32 v21, 0x800, v1
	v_ashrrev_i32_e32 v1, 31, v0
	v_lshl_add_u64 v[12:13], v[2:3], 3, s[6:7]
	v_cmp_gt_i32_e64 s[6:7], s28, v0
	v_lshl_add_u64 v[14:15], v[0:1], 3, s[14:15]
	v_mov_b32_e32 v0, 0x800
	v_cmp_gt_i32_e64 s[2:3], s28, v2
	v_lshlrev_b32_e32 v23, 3, v11
	v_lshl_add_u32 v25, v9, 6, v0
	v_mov_b32_e32 v17, 0
	s_mov_b64 s[8:9], 0
	v_mov_b32_e32 v20, 0
	v_mov_b32_e32 v18, 0
	;; [unrolled: 1-line block ×8, first 2 shown]
	s_branch .LBB235_8
.LBB235_7:                              ;   in Loop: Header=BB235_8 Depth=1
	s_or_b64 exec, exec, s[12:13]
	s_waitcnt vmcnt(0)
	ds_write_b64 v21, v[0:1]
	s_waitcnt lgkmcnt(0)
	s_barrier
	ds_read2_b64 v[34:37], v23 offset1:16
	ds_read_b128 v[38:41], v25
	ds_read_b128 v[42:45], v25 offset:16
	ds_read_b128 v[4:7], v25 offset:32
	;; [unrolled: 1-line block ×3, first 2 shown]
	s_add_u32 s8, s8, 8
	s_waitcnt lgkmcnt(3)
	v_mul_f32_e32 v16, v39, v35
	v_mul_f32_e32 v27, v38, v35
	v_fma_f32 v16, v38, v34, -v16
	v_fmac_f32_e32 v27, v39, v34
	v_add_f32_e32 v16, v30, v16
	v_add_f32_e32 v50, v32, v27
	ds_read_b128 v[30:33], v25 offset:1024
	v_mul_f32_e32 v27, v39, v37
	v_mul_f32_e32 v29, v38, v37
	v_fma_f32 v27, v38, v36, -v27
	v_fmac_f32_e32 v29, v39, v36
	v_add_f32_e32 v38, v26, v27
	v_add_f32_e32 v39, v28, v29
	ds_read_b128 v[26:29], v25 offset:1040
	s_waitcnt lgkmcnt(1)
	v_mul_f32_e32 v46, v31, v35
	v_fma_f32 v46, v30, v34, -v46
	v_add_f32_e32 v22, v22, v46
	ds_read2_b64 v[46:49], v23 offset0:32 offset1:48
	v_mul_f32_e32 v35, v30, v35
	v_fmac_f32_e32 v35, v31, v34
	v_mul_f32_e32 v34, v31, v37
	v_fma_f32 v34, v30, v36, -v34
	v_mul_f32_e32 v30, v30, v37
	v_fmac_f32_e32 v30, v31, v36
	v_add_f32_e32 v20, v20, v30
	s_waitcnt lgkmcnt(0)
	v_mul_f32_e32 v30, v41, v47
	v_mul_f32_e32 v31, v40, v47
	v_fma_f32 v30, v40, v46, -v30
	v_fmac_f32_e32 v31, v41, v46
	v_add_f32_e32 v18, v18, v34
	v_add_f32_e32 v16, v16, v30
	;; [unrolled: 1-line block ×3, first 2 shown]
	v_mul_f32_e32 v31, v41, v49
	v_mul_f32_e32 v34, v40, v49
	v_fma_f32 v31, v40, v48, -v31
	v_fmac_f32_e32 v34, v41, v48
	v_add_f32_e32 v31, v38, v31
	v_add_f32_e32 v38, v39, v34
	v_mul_f32_e32 v34, v33, v47
	v_add_f32_e32 v24, v24, v35
	v_fma_f32 v34, v32, v46, -v34
	v_mul_f32_e32 v35, v32, v47
	v_fmac_f32_e32 v35, v33, v46
	v_add_f32_e32 v22, v22, v34
	v_mul_f32_e32 v34, v33, v49
	v_add_f32_e32 v24, v24, v35
	v_fma_f32 v39, v32, v48, -v34
	ds_read2_b64 v[34:37], v23 offset0:64 offset1:80
	v_mul_f32_e32 v32, v32, v49
	v_fmac_f32_e32 v32, v33, v48
	v_add_f32_e32 v18, v18, v39
	v_add_f32_e32 v20, v20, v32
	s_waitcnt lgkmcnt(0)
	v_mul_f32_e32 v33, v42, v35
	v_fmac_f32_e32 v33, v43, v34
	v_add_f32_e32 v39, v30, v33
	v_mul_f32_e32 v30, v43, v37
	v_mul_f32_e32 v32, v43, v35
	v_fma_f32 v30, v42, v36, -v30
	v_fma_f32 v32, v42, v34, -v32
	v_add_f32_e32 v40, v31, v30
	v_mul_f32_e32 v30, v27, v35
	v_add_f32_e32 v16, v16, v32
	v_mul_f32_e32 v32, v42, v37
	v_fma_f32 v30, v26, v34, -v30
	v_mul_f32_e32 v31, v26, v35
	v_fmac_f32_e32 v32, v43, v36
	v_fmac_f32_e32 v31, v27, v34
	v_add_f32_e32 v22, v22, v30
	v_mul_f32_e32 v30, v27, v37
	v_add_f32_e32 v38, v38, v32
	v_add_f32_e32 v24, v24, v31
	v_fma_f32 v34, v26, v36, -v30
	ds_read2_b64 v[30:33], v23 offset0:96 offset1:112
	v_mul_f32_e32 v26, v26, v37
	v_fmac_f32_e32 v26, v27, v36
	v_add_f32_e32 v20, v20, v26
	v_add_f32_e32 v18, v18, v34
	s_waitcnt lgkmcnt(0)
	v_mul_f32_e32 v26, v45, v31
	v_mul_f32_e32 v27, v44, v31
	v_fma_f32 v26, v44, v30, -v26
	v_fmac_f32_e32 v27, v45, v30
	v_add_f32_e32 v16, v16, v26
	v_add_f32_e32 v26, v39, v27
	v_mul_f32_e32 v27, v45, v33
	v_mul_f32_e32 v34, v44, v33
	v_fma_f32 v27, v44, v32, -v27
	v_fmac_f32_e32 v34, v45, v32
	v_add_f32_e32 v39, v40, v27
	v_add_f32_e32 v38, v38, v34
	v_mul_f32_e32 v27, v29, v31
	ds_read2_b64 v[34:37], v23 offset0:128 offset1:144
	v_fma_f32 v27, v28, v30, -v27
	v_add_f32_e32 v22, v22, v27
	v_mul_f32_e32 v27, v29, v33
	v_mul_f32_e32 v31, v28, v31
	v_fma_f32 v27, v28, v32, -v27
	v_mul_f32_e32 v28, v28, v33
	v_fmac_f32_e32 v28, v29, v32
	v_add_f32_e32 v20, v20, v28
	s_waitcnt lgkmcnt(0)
	v_mul_f32_e32 v28, v4, v35
	v_add_f32_e32 v18, v18, v27
	v_mul_f32_e32 v27, v5, v35
	v_fmac_f32_e32 v28, v5, v34
	v_fma_f32 v27, v4, v34, -v27
	v_add_f32_e32 v42, v26, v28
	v_mul_f32_e32 v26, v5, v37
	v_fmac_f32_e32 v31, v29, v30
	v_add_f32_e32 v16, v16, v27
	v_fma_f32 v30, v4, v36, -v26
	ds_read_b128 v[26:29], v25 offset:1056
	v_mul_f32_e32 v4, v4, v37
	v_fmac_f32_e32 v4, v5, v36
	v_add_f32_e32 v5, v39, v30
	v_add_f32_e32 v4, v38, v4
	ds_read_b128 v[38:41], v25 offset:1072
	s_waitcnt lgkmcnt(1)
	v_mul_f32_e32 v30, v27, v35
	v_add_f32_e32 v24, v24, v31
	v_fma_f32 v30, v26, v34, -v30
	v_mul_f32_e32 v31, v26, v35
	v_fmac_f32_e32 v31, v27, v34
	v_add_f32_e32 v22, v22, v30
	v_mul_f32_e32 v30, v27, v37
	v_add_f32_e32 v24, v24, v31
	v_fma_f32 v34, v26, v36, -v30
	ds_read2_b64 v[30:33], v23 offset0:160 offset1:176
	v_mul_f32_e32 v26, v26, v37
	v_fmac_f32_e32 v26, v27, v36
	v_add_f32_e32 v20, v20, v26
	v_add_f32_e32 v18, v18, v34
	s_waitcnt lgkmcnt(0)
	v_mul_f32_e32 v26, v7, v31
	v_mul_f32_e32 v27, v6, v31
	v_fma_f32 v26, v6, v30, -v26
	v_fmac_f32_e32 v27, v7, v30
	v_add_f32_e32 v16, v16, v26
	v_add_f32_e32 v26, v42, v27
	v_mul_f32_e32 v27, v7, v33
	v_fma_f32 v27, v6, v32, -v27
	v_mul_f32_e32 v6, v6, v33
	v_fmac_f32_e32 v6, v7, v32
	v_add_f32_e32 v34, v4, v6
	v_mul_f32_e32 v4, v29, v31
	v_add_f32_e32 v27, v5, v27
	v_fma_f32 v4, v28, v30, -v4
	v_mul_f32_e32 v5, v28, v31
	v_fmac_f32_e32 v5, v29, v30
	v_add_f32_e32 v22, v22, v4
	v_mul_f32_e32 v4, v29, v33
	v_add_f32_e32 v24, v24, v5
	v_fma_f32 v30, v28, v32, -v4
	ds_read2_b64 v[4:7], v23 offset0:192 offset1:208
	v_mul_f32_e32 v28, v28, v33
	v_fmac_f32_e32 v28, v29, v32
	v_add_f32_e32 v20, v20, v28
	v_add_f32_e32 v18, v18, v30
	s_waitcnt lgkmcnt(0)
	v_mul_f32_e32 v28, v1, v5
	v_fma_f32 v28, v0, v4, -v28
	v_add_f32_e32 v16, v16, v28
	v_mul_f32_e32 v28, v1, v7
	v_mul_f32_e32 v29, v0, v5
	v_fma_f32 v28, v0, v6, -v28
	v_mul_f32_e32 v0, v0, v7
	v_fmac_f32_e32 v0, v1, v6
	v_add_f32_e32 v0, v34, v0
	ds_read2_b64 v[34:37], v23 offset0:224 offset1:240
	v_fmac_f32_e32 v29, v1, v4
	v_add_f32_e32 v1, v27, v28
	v_mul_f32_e32 v27, v39, v5
	v_fma_f32 v27, v38, v4, -v27
	v_mul_f32_e32 v5, v38, v5
	v_fmac_f32_e32 v5, v39, v4
	v_add_f32_e32 v4, v22, v27
	v_mul_f32_e32 v22, v39, v7
	v_fma_f32 v22, v38, v6, -v22
	v_mul_f32_e32 v7, v38, v7
	v_fmac_f32_e32 v7, v39, v6
	v_add_f32_e32 v6, v18, v22
	s_waitcnt lgkmcnt(0)
	v_mul_f32_e32 v18, v3, v35
	v_fma_f32 v18, v2, v34, -v18
	v_add_f32_e32 v30, v16, v18
	v_mul_f32_e32 v16, v3, v37
	v_add_f32_e32 v7, v20, v7
	v_mul_f32_e32 v20, v2, v35
	v_fma_f32 v16, v2, v36, -v16
	v_mul_f32_e32 v2, v2, v37
	v_add_f32_e32 v26, v26, v29
	v_fmac_f32_e32 v20, v3, v34
	v_fmac_f32_e32 v2, v3, v36
	v_add_f32_e32 v32, v26, v20
	v_add_f32_e32 v26, v1, v16
	;; [unrolled: 1-line block ×3, first 2 shown]
	v_mul_f32_e32 v0, v41, v35
	v_mul_f32_e32 v1, v40, v35
	v_add_f32_e32 v5, v24, v5
	v_fma_f32 v0, v40, v34, -v0
	v_fmac_f32_e32 v1, v41, v34
	v_add_f32_e32 v22, v4, v0
	v_add_f32_e32 v24, v5, v1
	v_mul_f32_e32 v0, v41, v37
	v_mul_f32_e32 v1, v40, v37
	v_fma_f32 v0, v40, v36, -v0
	v_fmac_f32_e32 v1, v41, v36
	s_addc_u32 s9, s9, 0
	v_add_f32_e32 v18, v6, v0
	v_add_f32_e32 v20, v7, v1
	v_mov_b64_e32 v[0:1], s[8:9]
	v_cmp_gt_i64_e32 vcc, s[26:27], v[0:1]
	s_barrier
	s_cbranch_vccz .LBB235_14
.LBB235_8:                              ; =>This Inner Loop Header: Depth=1
	v_mov_b32_e32 v0, 0
	v_mov_b32_e32 v1, 0
	s_and_saveexec_b64 s[12:13], s[2:3]
	s_cbranch_execz .LBB235_12
; %bb.9:                                ;   in Loop: Header=BB235_8 Depth=1
	v_add_u32_e32 v16, s8, v10
	v_cmp_gt_u64_e32 vcc, s[26:27], v[16:17]
	v_mov_b32_e32 v1, 0
	v_mov_b32_e32 v0, 0
	s_and_saveexec_b64 s[14:15], vcc
	s_cbranch_execz .LBB235_11
; %bb.10:                               ;   in Loop: Header=BB235_8 Depth=1
	v_mad_u64_u32 v[0:1], s[18:19], s10, v16, 0
	v_mov_b32_e32 v2, v1
	v_mad_u64_u32 v[2:3], s[18:19], s11, v16, v[2:3]
	v_mov_b32_e32 v1, v2
	v_lshl_add_u64 v[0:1], v[0:1], 3, v[12:13]
	global_load_dwordx2 v[0:1], v[0:1], off
.LBB235_11:                             ;   in Loop: Header=BB235_8 Depth=1
	s_or_b64 exec, exec, s[14:15]
.LBB235_12:                             ;   in Loop: Header=BB235_8 Depth=1
	s_or_b64 exec, exec, s[12:13]
	v_add_u32_e32 v16, s8, v8
	v_cmp_gt_u64_e32 vcc, s[26:27], v[16:17]
	s_waitcnt vmcnt(0)
	ds_write_b64 v19, v[0:1]
	s_and_b64 s[14:15], vcc, s[6:7]
	v_mov_b32_e32 v0, 0
	v_mov_b32_e32 v1, 0
	s_and_saveexec_b64 s[12:13], s[14:15]
	s_cbranch_execz .LBB235_7
; %bb.13:                               ;   in Loop: Header=BB235_8 Depth=1
	v_mad_u64_u32 v[0:1], s[14:15], s16, v16, 0
	v_mov_b32_e32 v2, v1
	v_mad_u64_u32 v[2:3], s[14:15], s17, v16, v[2:3]
	v_mov_b32_e32 v1, v2
	v_lshl_add_u64 v[0:1], v[0:1], 3, v[14:15]
	global_load_dwordx2 v[0:1], v[0:1], off
	s_branch .LBB235_7
.LBB235_14:
	s_load_dwordx2 s[2:3], s[0:1], 0x60
	s_load_dwordx4 s[8:11], s[0:1], 0x50
	v_add_u32_e32 v10, s29, v9
	v_ashrrev_i32_e32 v1, 31, v10
	v_add_u32_e32 v0, s5, v11
	s_waitcnt lgkmcnt(0)
	s_mul_i32 s1, s3, s4
	s_mul_hi_u32 s3, s2, s4
	s_mul_i32 s0, s2, s4
	s_add_i32 s1, s3, s1
	s_lshl_b64 s[0:1], s[0:1], 3
	s_add_u32 s4, s8, s0
	s_addc_u32 s5, s9, s1
	v_cmp_neq_f32_e64 s[0:1], s20, 0
	s_xor_b64 s[6:7], s[24:25], -1
	v_mul_lo_u32 v1, s10, v1
	v_mul_lo_u32 v4, s11, v10
	v_mad_u64_u32 v[2:3], s[8:9], s10, v10, 0
	v_add3_u32 v3, v3, v1, v4
	s_or_b64 s[0:1], s[0:1], s[6:7]
	v_cmp_gt_i32_e64 s[2:3], s28, v10
	v_lshl_add_u64 v[4:5], v[2:3], 3, s[4:5]
	v_cmp_le_i32_e32 vcc, v0, v10
	v_cndmask_b32_e64 v2, 0, 1, s[0:1]
	s_and_b64 s[8:9], s[2:3], vcc
	v_ashrrev_i32_e32 v1, 31, v0
	v_cmp_ne_u32_e64 s[0:1], 1, v2
	s_and_saveexec_b64 s[6:7], s[8:9]
	s_cbranch_execz .LBB235_18
; %bb.15:
	v_pk_mul_f32 v[6:7], v[32:33], s[22:23] op_sel:[0,1] op_sel_hi:[0,0]
	v_pk_fma_f32 v[2:3], v[30:31], s[22:23], v[6:7] op_sel_hi:[0,1,1] neg_lo:[0,0,1] neg_hi:[0,0,1]
	v_pk_fma_f32 v[8:9], v[30:31], s[22:23], v[6:7] op_sel_hi:[0,1,1]
	s_and_b64 vcc, exec, s[0:1]
	v_lshl_add_u64 v[6:7], v[0:1], 3, v[4:5]
	s_cbranch_vccnz .LBB235_17
; %bb.16:
	global_load_dwordx2 v[12:13], v[6:7], off
	s_mov_b32 s8, s21
	v_mov_b32_e32 v3, v9
	s_waitcnt vmcnt(0)
	v_pk_mul_f32 v[8:9], v[12:13], s[8:9] op_sel:[1,0] op_sel_hi:[0,0]
	v_pk_fma_f32 v[14:15], v[12:13], s[20:21], v[8:9] neg_lo:[0,0,1] neg_hi:[0,0,1]
	v_pk_fma_f32 v[8:9], v[12:13], s[20:21], v[8:9] op_sel_hi:[1,0,1]
	s_nop 0
	v_mov_b32_e32 v15, v9
	v_pk_add_f32 v[2:3], v[2:3], v[14:15]
	s_nop 0
	v_mov_b32_e32 v9, v3
.LBB235_17:
	v_mov_b32_e32 v3, v9
	global_store_dwordx2 v[6:7], v[2:3], off
.LBB235_18:
	s_or_b64 exec, exec, s[6:7]
	v_add_u32_e32 v2, 16, v0
	v_cmp_le_i32_e32 vcc, v2, v10
	s_and_b64 s[6:7], s[2:3], vcc
	v_ashrrev_i32_e32 v3, 31, v2
	s_and_saveexec_b64 s[2:3], s[6:7]
	s_cbranch_execz .LBB235_22
; %bb.19:
	v_pk_mul_f32 v[8:9], v[28:29], s[22:23] op_sel:[0,1] op_sel_hi:[0,0]
	v_pk_fma_f32 v[6:7], v[26:27], s[22:23], v[8:9] op_sel_hi:[0,1,1] neg_lo:[0,0,1] neg_hi:[0,0,1]
	v_pk_fma_f32 v[8:9], v[26:27], s[22:23], v[8:9] op_sel_hi:[0,1,1]
	s_and_b64 vcc, exec, s[0:1]
	v_lshl_add_u64 v[4:5], v[2:3], 3, v[4:5]
	s_cbranch_vccnz .LBB235_21
; %bb.20:
	global_load_dwordx2 v[12:13], v[4:5], off
	s_mov_b32 s6, s21
	v_mov_b32_e32 v7, v9
	s_waitcnt vmcnt(0)
	v_pk_mul_f32 v[8:9], v[12:13], s[6:7] op_sel:[1,0] op_sel_hi:[0,0]
	v_pk_fma_f32 v[14:15], v[12:13], s[20:21], v[8:9] neg_lo:[0,0,1] neg_hi:[0,0,1]
	v_pk_fma_f32 v[8:9], v[12:13], s[20:21], v[8:9] op_sel_hi:[1,0,1]
	s_nop 0
	v_mov_b32_e32 v15, v9
	v_pk_add_f32 v[6:7], v[6:7], v[14:15]
	s_nop 0
	v_mov_b32_e32 v9, v7
.LBB235_21:
	v_mov_b32_e32 v7, v9
	global_store_dwordx2 v[4:5], v[6:7], off
.LBB235_22:
	s_or_b64 exec, exec, s[2:3]
	v_add_u32_e32 v10, 16, v10
	v_ashrrev_i32_e32 v4, 31, v10
	v_mul_lo_u32 v6, s10, v4
	v_mul_lo_u32 v7, s11, v10
	v_mad_u64_u32 v[4:5], s[6:7], s10, v10, 0
	v_cmp_gt_i32_e64 s[2:3], s28, v10
	v_add3_u32 v5, v5, v6, v7
	v_cmp_le_i32_e32 vcc, v0, v10
	v_lshl_add_u64 v[4:5], v[4:5], 3, s[4:5]
	s_and_b64 s[6:7], s[2:3], vcc
	s_and_saveexec_b64 s[4:5], s[6:7]
	s_cbranch_execz .LBB235_26
; %bb.23:
	v_pk_mul_f32 v[8:9], v[24:25], s[22:23] op_sel:[0,1] op_sel_hi:[0,0]
	v_pk_fma_f32 v[6:7], v[22:23], s[22:23], v[8:9] op_sel_hi:[0,1,1] neg_lo:[0,0,1] neg_hi:[0,0,1]
	v_pk_fma_f32 v[8:9], v[22:23], s[22:23], v[8:9] op_sel_hi:[0,1,1]
	s_and_b64 vcc, exec, s[0:1]
	v_lshl_add_u64 v[0:1], v[0:1], 3, v[4:5]
	s_cbranch_vccnz .LBB235_25
; %bb.24:
	global_load_dwordx2 v[12:13], v[0:1], off
	s_mov_b32 s6, s21
	v_mov_b32_e32 v7, v9
	s_waitcnt vmcnt(0)
	v_pk_mul_f32 v[8:9], v[12:13], s[6:7] op_sel:[1,0] op_sel_hi:[0,0]
	v_pk_fma_f32 v[14:15], v[12:13], s[20:21], v[8:9] neg_lo:[0,0,1] neg_hi:[0,0,1]
	v_pk_fma_f32 v[8:9], v[12:13], s[20:21], v[8:9] op_sel_hi:[1,0,1]
	s_nop 0
	v_mov_b32_e32 v15, v9
	v_pk_add_f32 v[6:7], v[6:7], v[14:15]
	s_nop 0
	v_mov_b32_e32 v9, v7
.LBB235_25:
	v_mov_b32_e32 v7, v9
	global_store_dwordx2 v[0:1], v[6:7], off
.LBB235_26:
	s_or_b64 exec, exec, s[4:5]
	v_cmp_le_i32_e32 vcc, v2, v10
	s_and_b64 s[2:3], s[2:3], vcc
	s_and_saveexec_b64 s[4:5], s[2:3]
	s_cbranch_execz .LBB235_30
; %bb.27:
	v_pk_mul_f32 v[6:7], v[20:21], s[22:23] op_sel:[0,1] op_sel_hi:[0,0]
	v_pk_fma_f32 v[0:1], v[18:19], s[22:23], v[6:7] op_sel_hi:[0,1,1] neg_lo:[0,0,1] neg_hi:[0,0,1]
	v_pk_fma_f32 v[6:7], v[18:19], s[22:23], v[6:7] op_sel_hi:[0,1,1]
	s_and_b64 vcc, exec, s[0:1]
	v_lshl_add_u64 v[2:3], v[2:3], 3, v[4:5]
	s_cbranch_vccnz .LBB235_29
; %bb.28:
	global_load_dwordx2 v[4:5], v[2:3], off
	s_mov_b32 s0, s21
	v_mov_b32_e32 v1, v7
	s_waitcnt vmcnt(0)
	v_pk_mul_f32 v[6:7], v[4:5], s[0:1] op_sel:[1,0] op_sel_hi:[0,0]
	v_pk_fma_f32 v[8:9], v[4:5], s[20:21], v[6:7] neg_lo:[0,0,1] neg_hi:[0,0,1]
	v_pk_fma_f32 v[4:5], v[4:5], s[20:21], v[6:7] op_sel_hi:[1,0,1]
	s_nop 0
	v_mov_b32_e32 v9, v5
	v_pk_add_f32 v[0:1], v[0:1], v[8:9]
	s_nop 0
	v_mov_b32_e32 v7, v1
.LBB235_29:
	v_mov_b32_e32 v1, v7
	global_store_dwordx2 v[2:3], v[0:1], off
.LBB235_30:
	s_endpgm
	.section	.rodata,"a",@progbits
	.p2align	6, 0x0
	.amdhsa_kernel _ZL29rocblas_internal_gemmt_kernelIlLi16ELi32ELi8ELc78ELc84ELc85ELb0ELb0E19rocblas_complex_numIfES1_PKS1_PS1_EviT_T9_T10_S5_lS7_S5_lS6_T11_S5_li
		.amdhsa_group_segment_fixed_size 4096
		.amdhsa_private_segment_fixed_size 0
		.amdhsa_kernarg_size 108
		.amdhsa_user_sgpr_count 2
		.amdhsa_user_sgpr_dispatch_ptr 0
		.amdhsa_user_sgpr_queue_ptr 0
		.amdhsa_user_sgpr_kernarg_segment_ptr 1
		.amdhsa_user_sgpr_dispatch_id 0
		.amdhsa_user_sgpr_kernarg_preload_length 0
		.amdhsa_user_sgpr_kernarg_preload_offset 0
		.amdhsa_user_sgpr_private_segment_size 0
		.amdhsa_uses_dynamic_stack 0
		.amdhsa_enable_private_segment 0
		.amdhsa_system_sgpr_workgroup_id_x 1
		.amdhsa_system_sgpr_workgroup_id_y 1
		.amdhsa_system_sgpr_workgroup_id_z 1
		.amdhsa_system_sgpr_workgroup_info 0
		.amdhsa_system_vgpr_workitem_id 1
		.amdhsa_next_free_vgpr 51
		.amdhsa_next_free_sgpr 30
		.amdhsa_accum_offset 52
		.amdhsa_reserve_vcc 1
		.amdhsa_float_round_mode_32 0
		.amdhsa_float_round_mode_16_64 0
		.amdhsa_float_denorm_mode_32 3
		.amdhsa_float_denorm_mode_16_64 3
		.amdhsa_dx10_clamp 1
		.amdhsa_ieee_mode 1
		.amdhsa_fp16_overflow 0
		.amdhsa_tg_split 0
		.amdhsa_exception_fp_ieee_invalid_op 0
		.amdhsa_exception_fp_denorm_src 0
		.amdhsa_exception_fp_ieee_div_zero 0
		.amdhsa_exception_fp_ieee_overflow 0
		.amdhsa_exception_fp_ieee_underflow 0
		.amdhsa_exception_fp_ieee_inexact 0
		.amdhsa_exception_int_div_zero 0
	.end_amdhsa_kernel
	.section	.text._ZL29rocblas_internal_gemmt_kernelIlLi16ELi32ELi8ELc78ELc84ELc85ELb0ELb0E19rocblas_complex_numIfES1_PKS1_PS1_EviT_T9_T10_S5_lS7_S5_lS6_T11_S5_li,"axG",@progbits,_ZL29rocblas_internal_gemmt_kernelIlLi16ELi32ELi8ELc78ELc84ELc85ELb0ELb0E19rocblas_complex_numIfES1_PKS1_PS1_EviT_T9_T10_S5_lS7_S5_lS6_T11_S5_li,comdat
.Lfunc_end235:
	.size	_ZL29rocblas_internal_gemmt_kernelIlLi16ELi32ELi8ELc78ELc84ELc85ELb0ELb0E19rocblas_complex_numIfES1_PKS1_PS1_EviT_T9_T10_S5_lS7_S5_lS6_T11_S5_li, .Lfunc_end235-_ZL29rocblas_internal_gemmt_kernelIlLi16ELi32ELi8ELc78ELc84ELc85ELb0ELb0E19rocblas_complex_numIfES1_PKS1_PS1_EviT_T9_T10_S5_lS7_S5_lS6_T11_S5_li
                                        ; -- End function
	.set _ZL29rocblas_internal_gemmt_kernelIlLi16ELi32ELi8ELc78ELc84ELc85ELb0ELb0E19rocblas_complex_numIfES1_PKS1_PS1_EviT_T9_T10_S5_lS7_S5_lS6_T11_S5_li.num_vgpr, 51
	.set _ZL29rocblas_internal_gemmt_kernelIlLi16ELi32ELi8ELc78ELc84ELc85ELb0ELb0E19rocblas_complex_numIfES1_PKS1_PS1_EviT_T9_T10_S5_lS7_S5_lS6_T11_S5_li.num_agpr, 0
	.set _ZL29rocblas_internal_gemmt_kernelIlLi16ELi32ELi8ELc78ELc84ELc85ELb0ELb0E19rocblas_complex_numIfES1_PKS1_PS1_EviT_T9_T10_S5_lS7_S5_lS6_T11_S5_li.numbered_sgpr, 30
	.set _ZL29rocblas_internal_gemmt_kernelIlLi16ELi32ELi8ELc78ELc84ELc85ELb0ELb0E19rocblas_complex_numIfES1_PKS1_PS1_EviT_T9_T10_S5_lS7_S5_lS6_T11_S5_li.num_named_barrier, 0
	.set _ZL29rocblas_internal_gemmt_kernelIlLi16ELi32ELi8ELc78ELc84ELc85ELb0ELb0E19rocblas_complex_numIfES1_PKS1_PS1_EviT_T9_T10_S5_lS7_S5_lS6_T11_S5_li.private_seg_size, 0
	.set _ZL29rocblas_internal_gemmt_kernelIlLi16ELi32ELi8ELc78ELc84ELc85ELb0ELb0E19rocblas_complex_numIfES1_PKS1_PS1_EviT_T9_T10_S5_lS7_S5_lS6_T11_S5_li.uses_vcc, 1
	.set _ZL29rocblas_internal_gemmt_kernelIlLi16ELi32ELi8ELc78ELc84ELc85ELb0ELb0E19rocblas_complex_numIfES1_PKS1_PS1_EviT_T9_T10_S5_lS7_S5_lS6_T11_S5_li.uses_flat_scratch, 0
	.set _ZL29rocblas_internal_gemmt_kernelIlLi16ELi32ELi8ELc78ELc84ELc85ELb0ELb0E19rocblas_complex_numIfES1_PKS1_PS1_EviT_T9_T10_S5_lS7_S5_lS6_T11_S5_li.has_dyn_sized_stack, 0
	.set _ZL29rocblas_internal_gemmt_kernelIlLi16ELi32ELi8ELc78ELc84ELc85ELb0ELb0E19rocblas_complex_numIfES1_PKS1_PS1_EviT_T9_T10_S5_lS7_S5_lS6_T11_S5_li.has_recursion, 0
	.set _ZL29rocblas_internal_gemmt_kernelIlLi16ELi32ELi8ELc78ELc84ELc85ELb0ELb0E19rocblas_complex_numIfES1_PKS1_PS1_EviT_T9_T10_S5_lS7_S5_lS6_T11_S5_li.has_indirect_call, 0
	.section	.AMDGPU.csdata,"",@progbits
; Kernel info:
; codeLenInByte = 2536
; TotalNumSgprs: 36
; NumVgprs: 51
; NumAgprs: 0
; TotalNumVgprs: 51
; ScratchSize: 0
; MemoryBound: 0
; FloatMode: 240
; IeeeMode: 1
; LDSByteSize: 4096 bytes/workgroup (compile time only)
; SGPRBlocks: 4
; VGPRBlocks: 6
; NumSGPRsForWavesPerEU: 36
; NumVGPRsForWavesPerEU: 51
; AccumOffset: 52
; Occupancy: 8
; WaveLimiterHint : 0
; COMPUTE_PGM_RSRC2:SCRATCH_EN: 0
; COMPUTE_PGM_RSRC2:USER_SGPR: 2
; COMPUTE_PGM_RSRC2:TRAP_HANDLER: 0
; COMPUTE_PGM_RSRC2:TGID_X_EN: 1
; COMPUTE_PGM_RSRC2:TGID_Y_EN: 1
; COMPUTE_PGM_RSRC2:TGID_Z_EN: 1
; COMPUTE_PGM_RSRC2:TIDIG_COMP_CNT: 1
; COMPUTE_PGM_RSRC3_GFX90A:ACCUM_OFFSET: 12
; COMPUTE_PGM_RSRC3_GFX90A:TG_SPLIT: 0
	.section	.text._ZL29rocblas_internal_gemmt_kernelIlLi16ELi32ELi8ELc78ELc67ELc85ELb0ELb1E19rocblas_complex_numIfES1_PKS1_PS1_EviT_T9_T10_S5_lS7_S5_lS6_T11_S5_li,"axG",@progbits,_ZL29rocblas_internal_gemmt_kernelIlLi16ELi32ELi8ELc78ELc67ELc85ELb0ELb1E19rocblas_complex_numIfES1_PKS1_PS1_EviT_T9_T10_S5_lS7_S5_lS6_T11_S5_li,comdat
	.globl	_ZL29rocblas_internal_gemmt_kernelIlLi16ELi32ELi8ELc78ELc67ELc85ELb0ELb1E19rocblas_complex_numIfES1_PKS1_PS1_EviT_T9_T10_S5_lS7_S5_lS6_T11_S5_li ; -- Begin function _ZL29rocblas_internal_gemmt_kernelIlLi16ELi32ELi8ELc78ELc67ELc85ELb0ELb1E19rocblas_complex_numIfES1_PKS1_PS1_EviT_T9_T10_S5_lS7_S5_lS6_T11_S5_li
	.p2align	8
	.type	_ZL29rocblas_internal_gemmt_kernelIlLi16ELi32ELi8ELc78ELc67ELc85ELb0ELb1E19rocblas_complex_numIfES1_PKS1_PS1_EviT_T9_T10_S5_lS7_S5_lS6_T11_S5_li,@function
_ZL29rocblas_internal_gemmt_kernelIlLi16ELi32ELi8ELc78ELc67ELc85ELb0ELb1E19rocblas_complex_numIfES1_PKS1_PS1_EviT_T9_T10_S5_lS7_S5_lS6_T11_S5_li: ; @_ZL29rocblas_internal_gemmt_kernelIlLi16ELi32ELi8ELc78ELc67ELc85ELb0ELb1E19rocblas_complex_numIfES1_PKS1_PS1_EviT_T9_T10_S5_lS7_S5_lS6_T11_S5_li
; %bb.0:
	s_load_dwordx2 s[6:7], s[0:1], 0x48
	s_load_dwordx2 s[20:21], s[0:1], 0x10
	s_waitcnt lgkmcnt(0)
	s_and_b32 s5, s7, 0x7fffffff
	s_cmp_eq_u32 s5, 0
	v_cmp_eq_f32_e64 s[8:9], s6, 1.0
	s_cselect_b64 s[22:23], -1, 0
	s_and_b64 s[8:9], s[8:9], s[22:23]
	s_and_b64 vcc, exec, s[8:9]
	s_cbranch_vccnz .LBB236_2
; %bb.1:
	s_mov_b64 s[8:9], -1
	s_load_dwordx2 s[24:25], s[0:1], 0x8
	s_cbranch_execz .LBB236_3
	s_branch .LBB236_4
.LBB236_2:
	s_mov_b64 s[8:9], 0
	s_load_dwordx2 s[24:25], s[0:1], 0x8
.LBB236_3:
	s_waitcnt lgkmcnt(0)
	s_cmp_lg_u64 s[24:25], 0
	v_cmp_neq_f32_e64 s[10:11], s20, 0
	v_cmp_neq_f32_e64 s[12:13], s21, 0
	s_cselect_b64 s[8:9], -1, 0
	s_or_b64 s[10:11], s[10:11], s[12:13]
	s_and_b64 s[8:9], s[8:9], s[10:11]
.LBB236_4:
	s_andn2_b64 vcc, exec, s[8:9]
	s_cbranch_vccnz .LBB236_32
; %bb.5:
	s_load_dword s26, s[0:1], 0x0
	s_lshl_b32 s5, s2, 5
	s_lshl_b32 s27, s3, 5
	v_cmp_eq_f32_e64 s[2:3], s20, 0
	v_cmp_eq_f32_e64 s[8:9], s21, 0
	s_and_b64 s[2:3], s[2:3], s[8:9]
	s_waitcnt lgkmcnt(0)
	v_cmp_lt_i64_e64 s[8:9], s[24:25], 1
	s_or_b64 s[2:3], s[2:3], s[8:9]
	v_and_b32_e32 v11, 0x3ff, v0
	v_bfe_u32 v9, v0, 10, 10
	v_mov_b32_e32 v30, 0
	s_and_b64 vcc, exec, s[2:3]
	v_mov_b32_e32 v32, 0
	v_mov_b32_e32 v26, 0
	;; [unrolled: 1-line block ×7, first 2 shown]
	s_cbranch_vccnz .LBB236_16
; %bb.6:
	s_load_dwordx8 s[8:15], s[0:1], 0x18
	s_load_dwordx4 s[16:19], s[0:1], 0x38
	v_lshl_add_u32 v1, v9, 4, v11
	v_lshrrev_b32_e32 v10, 5, v1
	v_lshrrev_b32_e32 v4, 3, v1
	v_and_b32_e32 v1, 31, v1
	s_waitcnt lgkmcnt(0)
	s_mul_i32 s2, s19, s4
	s_mul_hi_u32 s3, s18, s4
	s_add_i32 s3, s3, s2
	s_mul_i32 s2, s18, s4
	s_lshl_b64 s[2:3], s[2:3], 3
	s_add_u32 s14, s14, s2
	v_and_b32_e32 v8, 7, v11
	v_or_b32_e32 v2, s5, v1
	s_addc_u32 s15, s15, s3
	s_mul_i32 s2, s13, s4
	s_mul_hi_u32 s3, s12, s4
	v_lshlrev_b32_e32 v1, 3, v1
	s_add_i32 s3, s3, s2
	s_mul_i32 s2, s12, s4
	v_lshl_or_b32 v19, v10, 8, v1
	v_lshlrev_b32_e32 v1, 3, v8
	v_add_u32_e32 v0, s27, v4
	s_lshl_b64 s[2:3], s[2:3], 3
	v_lshl_or_b32 v1, v4, 6, v1
	s_add_u32 s8, s8, s2
	v_add_u32_e32 v21, 0x800, v1
	v_ashrrev_i32_e32 v1, 31, v0
	s_addc_u32 s9, s9, s3
	v_ashrrev_i32_e32 v3, 31, v2
	v_cmp_gt_i32_e32 vcc, s26, v0
	v_lshl_add_u64 v[14:15], v[0:1], 3, s[14:15]
	v_mov_b32_e32 v0, 0x800
	v_cmp_gt_i32_e64 s[2:3], s26, v2
	v_lshl_add_u64 v[12:13], v[2:3], 3, s[8:9]
	v_lshlrev_b32_e32 v23, 3, v11
	v_lshl_add_u32 v25, v9, 6, v0
	v_mov_b32_e32 v17, 0
	s_mov_b64 s[8:9], 0
	s_xor_b64 s[12:13], vcc, -1
	v_mov_b32_e32 v20, 0
	v_mov_b32_e32 v18, 0
	;; [unrolled: 1-line block ×8, first 2 shown]
	s_branch .LBB236_8
.LBB236_7:                              ;   in Loop: Header=BB236_8 Depth=1
	s_or_b64 exec, exec, s[14:15]
	ds_write_b32 v21, v0 offset:4
	s_waitcnt lgkmcnt(0)
	s_barrier
	ds_read2_b64 v[34:37], v23 offset1:16
	ds_read_b128 v[38:41], v25
	ds_read_b128 v[42:45], v25 offset:16
	ds_read_b128 v[4:7], v25 offset:32
	;; [unrolled: 1-line block ×3, first 2 shown]
	s_add_u32 s8, s8, 8
	s_waitcnt lgkmcnt(3)
	v_mul_f32_e32 v16, v39, v35
	v_mul_f32_e32 v27, v38, v35
	v_fma_f32 v16, v38, v34, -v16
	v_fmac_f32_e32 v27, v39, v34
	v_add_f32_e32 v16, v30, v16
	v_add_f32_e32 v50, v32, v27
	ds_read_b128 v[30:33], v25 offset:1024
	v_mul_f32_e32 v27, v39, v37
	v_mul_f32_e32 v29, v38, v37
	v_fma_f32 v27, v38, v36, -v27
	v_fmac_f32_e32 v29, v39, v36
	v_add_f32_e32 v38, v26, v27
	v_add_f32_e32 v39, v28, v29
	ds_read_b128 v[26:29], v25 offset:1040
	s_waitcnt lgkmcnt(1)
	v_mul_f32_e32 v46, v31, v35
	v_fma_f32 v46, v30, v34, -v46
	v_add_f32_e32 v22, v22, v46
	ds_read2_b64 v[46:49], v23 offset0:32 offset1:48
	v_mul_f32_e32 v35, v30, v35
	v_fmac_f32_e32 v35, v31, v34
	v_mul_f32_e32 v34, v31, v37
	v_fma_f32 v34, v30, v36, -v34
	v_mul_f32_e32 v30, v30, v37
	v_fmac_f32_e32 v30, v31, v36
	v_add_f32_e32 v20, v20, v30
	s_waitcnt lgkmcnt(0)
	v_mul_f32_e32 v30, v41, v47
	v_mul_f32_e32 v31, v40, v47
	v_fma_f32 v30, v40, v46, -v30
	v_fmac_f32_e32 v31, v41, v46
	v_add_f32_e32 v18, v18, v34
	v_add_f32_e32 v16, v16, v30
	;; [unrolled: 1-line block ×3, first 2 shown]
	v_mul_f32_e32 v31, v41, v49
	v_mul_f32_e32 v34, v40, v49
	v_fma_f32 v31, v40, v48, -v31
	v_fmac_f32_e32 v34, v41, v48
	v_add_f32_e32 v31, v38, v31
	v_add_f32_e32 v38, v39, v34
	v_mul_f32_e32 v34, v33, v47
	v_add_f32_e32 v24, v24, v35
	v_fma_f32 v34, v32, v46, -v34
	v_mul_f32_e32 v35, v32, v47
	v_fmac_f32_e32 v35, v33, v46
	v_add_f32_e32 v22, v22, v34
	v_mul_f32_e32 v34, v33, v49
	v_add_f32_e32 v24, v24, v35
	v_fma_f32 v39, v32, v48, -v34
	ds_read2_b64 v[34:37], v23 offset0:64 offset1:80
	v_mul_f32_e32 v32, v32, v49
	v_fmac_f32_e32 v32, v33, v48
	v_add_f32_e32 v18, v18, v39
	v_add_f32_e32 v20, v20, v32
	s_waitcnt lgkmcnt(0)
	v_mul_f32_e32 v33, v42, v35
	v_fmac_f32_e32 v33, v43, v34
	v_add_f32_e32 v39, v30, v33
	v_mul_f32_e32 v30, v43, v37
	v_mul_f32_e32 v32, v43, v35
	v_fma_f32 v30, v42, v36, -v30
	v_fma_f32 v32, v42, v34, -v32
	v_add_f32_e32 v40, v31, v30
	v_mul_f32_e32 v30, v27, v35
	v_add_f32_e32 v16, v16, v32
	v_mul_f32_e32 v32, v42, v37
	v_fma_f32 v30, v26, v34, -v30
	v_mul_f32_e32 v31, v26, v35
	v_fmac_f32_e32 v32, v43, v36
	v_fmac_f32_e32 v31, v27, v34
	v_add_f32_e32 v22, v22, v30
	v_mul_f32_e32 v30, v27, v37
	v_add_f32_e32 v38, v38, v32
	v_add_f32_e32 v24, v24, v31
	v_fma_f32 v34, v26, v36, -v30
	ds_read2_b64 v[30:33], v23 offset0:96 offset1:112
	v_mul_f32_e32 v26, v26, v37
	v_fmac_f32_e32 v26, v27, v36
	v_add_f32_e32 v20, v20, v26
	v_add_f32_e32 v18, v18, v34
	s_waitcnt lgkmcnt(0)
	v_mul_f32_e32 v26, v45, v31
	v_mul_f32_e32 v27, v44, v31
	v_fma_f32 v26, v44, v30, -v26
	v_fmac_f32_e32 v27, v45, v30
	v_add_f32_e32 v16, v16, v26
	v_add_f32_e32 v26, v39, v27
	v_mul_f32_e32 v27, v45, v33
	v_mul_f32_e32 v34, v44, v33
	v_fma_f32 v27, v44, v32, -v27
	v_fmac_f32_e32 v34, v45, v32
	v_add_f32_e32 v39, v40, v27
	v_add_f32_e32 v38, v38, v34
	v_mul_f32_e32 v27, v29, v31
	ds_read2_b64 v[34:37], v23 offset0:128 offset1:144
	v_fma_f32 v27, v28, v30, -v27
	v_add_f32_e32 v22, v22, v27
	v_mul_f32_e32 v27, v29, v33
	v_mul_f32_e32 v31, v28, v31
	v_fma_f32 v27, v28, v32, -v27
	v_mul_f32_e32 v28, v28, v33
	v_fmac_f32_e32 v28, v29, v32
	v_add_f32_e32 v20, v20, v28
	s_waitcnt lgkmcnt(0)
	v_mul_f32_e32 v28, v4, v35
	v_add_f32_e32 v18, v18, v27
	v_mul_f32_e32 v27, v5, v35
	v_fmac_f32_e32 v28, v5, v34
	v_fma_f32 v27, v4, v34, -v27
	v_add_f32_e32 v42, v26, v28
	v_mul_f32_e32 v26, v5, v37
	v_fmac_f32_e32 v31, v29, v30
	v_add_f32_e32 v16, v16, v27
	v_fma_f32 v30, v4, v36, -v26
	ds_read_b128 v[26:29], v25 offset:1056
	v_mul_f32_e32 v4, v4, v37
	v_fmac_f32_e32 v4, v5, v36
	v_add_f32_e32 v5, v39, v30
	v_add_f32_e32 v4, v38, v4
	ds_read_b128 v[38:41], v25 offset:1072
	s_waitcnt lgkmcnt(1)
	v_mul_f32_e32 v30, v27, v35
	v_add_f32_e32 v24, v24, v31
	v_fma_f32 v30, v26, v34, -v30
	v_mul_f32_e32 v31, v26, v35
	v_fmac_f32_e32 v31, v27, v34
	v_add_f32_e32 v22, v22, v30
	v_mul_f32_e32 v30, v27, v37
	v_add_f32_e32 v24, v24, v31
	v_fma_f32 v34, v26, v36, -v30
	ds_read2_b64 v[30:33], v23 offset0:160 offset1:176
	v_mul_f32_e32 v26, v26, v37
	v_fmac_f32_e32 v26, v27, v36
	v_add_f32_e32 v20, v20, v26
	v_add_f32_e32 v18, v18, v34
	s_waitcnt lgkmcnt(0)
	v_mul_f32_e32 v26, v7, v31
	v_mul_f32_e32 v27, v6, v31
	v_fma_f32 v26, v6, v30, -v26
	v_fmac_f32_e32 v27, v7, v30
	v_add_f32_e32 v16, v16, v26
	v_add_f32_e32 v26, v42, v27
	v_mul_f32_e32 v27, v7, v33
	v_fma_f32 v27, v6, v32, -v27
	v_mul_f32_e32 v6, v6, v33
	v_fmac_f32_e32 v6, v7, v32
	v_add_f32_e32 v34, v4, v6
	v_mul_f32_e32 v4, v29, v31
	v_add_f32_e32 v27, v5, v27
	v_fma_f32 v4, v28, v30, -v4
	v_mul_f32_e32 v5, v28, v31
	v_fmac_f32_e32 v5, v29, v30
	v_add_f32_e32 v22, v22, v4
	v_mul_f32_e32 v4, v29, v33
	v_add_f32_e32 v24, v24, v5
	v_fma_f32 v30, v28, v32, -v4
	ds_read2_b64 v[4:7], v23 offset0:192 offset1:208
	v_mul_f32_e32 v28, v28, v33
	v_fmac_f32_e32 v28, v29, v32
	v_add_f32_e32 v20, v20, v28
	v_add_f32_e32 v18, v18, v30
	s_waitcnt lgkmcnt(0)
	v_mul_f32_e32 v28, v1, v5
	v_fma_f32 v28, v0, v4, -v28
	v_add_f32_e32 v16, v16, v28
	v_mul_f32_e32 v28, v1, v7
	v_mul_f32_e32 v29, v0, v5
	v_fma_f32 v28, v0, v6, -v28
	v_mul_f32_e32 v0, v0, v7
	v_fmac_f32_e32 v0, v1, v6
	v_add_f32_e32 v0, v34, v0
	ds_read2_b64 v[34:37], v23 offset0:224 offset1:240
	v_fmac_f32_e32 v29, v1, v4
	v_add_f32_e32 v1, v27, v28
	v_mul_f32_e32 v27, v39, v5
	v_fma_f32 v27, v38, v4, -v27
	v_mul_f32_e32 v5, v38, v5
	v_fmac_f32_e32 v5, v39, v4
	v_add_f32_e32 v4, v22, v27
	v_mul_f32_e32 v22, v39, v7
	v_fma_f32 v22, v38, v6, -v22
	v_mul_f32_e32 v7, v38, v7
	v_fmac_f32_e32 v7, v39, v6
	v_add_f32_e32 v6, v18, v22
	s_waitcnt lgkmcnt(0)
	v_mul_f32_e32 v18, v3, v35
	v_fma_f32 v18, v2, v34, -v18
	v_add_f32_e32 v30, v16, v18
	v_mul_f32_e32 v16, v3, v37
	v_add_f32_e32 v7, v20, v7
	v_mul_f32_e32 v20, v2, v35
	v_fma_f32 v16, v2, v36, -v16
	v_mul_f32_e32 v2, v2, v37
	v_add_f32_e32 v26, v26, v29
	v_fmac_f32_e32 v20, v3, v34
	v_fmac_f32_e32 v2, v3, v36
	v_add_f32_e32 v32, v26, v20
	v_add_f32_e32 v26, v1, v16
	;; [unrolled: 1-line block ×3, first 2 shown]
	v_mul_f32_e32 v0, v41, v35
	v_mul_f32_e32 v1, v40, v35
	v_add_f32_e32 v5, v24, v5
	v_fma_f32 v0, v40, v34, -v0
	v_fmac_f32_e32 v1, v41, v34
	v_add_f32_e32 v22, v4, v0
	v_add_f32_e32 v24, v5, v1
	v_mul_f32_e32 v0, v41, v37
	v_mul_f32_e32 v1, v40, v37
	v_fma_f32 v0, v40, v36, -v0
	v_fmac_f32_e32 v1, v41, v36
	s_addc_u32 s9, s9, 0
	v_add_f32_e32 v18, v6, v0
	v_add_f32_e32 v20, v7, v1
	v_mov_b64_e32 v[0:1], s[8:9]
	v_cmp_gt_i64_e32 vcc, s[24:25], v[0:1]
	s_barrier
	s_cbranch_vccz .LBB236_16
.LBB236_8:                              ; =>This Inner Loop Header: Depth=1
	v_mov_b32_e32 v0, 0
	v_mov_b32_e32 v1, 0
	s_and_saveexec_b64 s[14:15], s[2:3]
	s_cbranch_execz .LBB236_12
; %bb.9:                                ;   in Loop: Header=BB236_8 Depth=1
	v_add_u32_e32 v16, s8, v10
	v_cmp_gt_u64_e32 vcc, s[24:25], v[16:17]
	v_mov_b32_e32 v1, 0
	v_mov_b32_e32 v0, 0
	s_and_saveexec_b64 s[18:19], vcc
	s_cbranch_execz .LBB236_11
; %bb.10:                               ;   in Loop: Header=BB236_8 Depth=1
	v_mad_u64_u32 v[0:1], s[28:29], s10, v16, 0
	v_mov_b32_e32 v2, v1
	v_mad_u64_u32 v[2:3], s[28:29], s11, v16, v[2:3]
	v_mov_b32_e32 v1, v2
	v_lshl_add_u64 v[0:1], v[0:1], 3, v[12:13]
	global_load_dwordx2 v[0:1], v[0:1], off
.LBB236_11:                             ;   in Loop: Header=BB236_8 Depth=1
	s_or_b64 exec, exec, s[18:19]
.LBB236_12:                             ;   in Loop: Header=BB236_8 Depth=1
	s_or_b64 exec, exec, s[14:15]
	v_add_u32_e32 v16, s8, v8
	v_cmp_le_u64_e32 vcc, s[24:25], v[16:17]
	s_or_b64 s[14:15], vcc, s[12:13]
	s_waitcnt vmcnt(0)
	ds_write_b64 v19, v[0:1]
	s_and_saveexec_b64 s[18:19], s[14:15]
	s_xor_b64 s[14:15], exec, s[18:19]
; %bb.13:                               ;   in Loop: Header=BB236_8 Depth=1
	ds_write_b32 v21, v17
; %bb.14:                               ;   in Loop: Header=BB236_8 Depth=1
	s_or_saveexec_b64 s[14:15], s[14:15]
	v_mov_b32_e32 v0, 0
	s_xor_b64 exec, exec, s[14:15]
	s_cbranch_execz .LBB236_7
; %bb.15:                               ;   in Loop: Header=BB236_8 Depth=1
	v_mad_u64_u32 v[0:1], s[18:19], s16, v16, 0
	v_mov_b32_e32 v2, v1
	v_mad_u64_u32 v[2:3], s[18:19], s17, v16, v[2:3]
	v_mov_b32_e32 v1, v2
	v_lshl_add_u64 v[0:1], v[0:1], 3, v[14:15]
	global_load_dwordx2 v[2:3], v[0:1], off
	s_waitcnt vmcnt(0)
	v_xor_b32_e32 v0, 0x80000000, v3
	ds_write_b32 v21, v2
	s_branch .LBB236_7
.LBB236_16:
	s_load_dwordx2 s[2:3], s[0:1], 0x60
	s_load_dwordx4 s[8:11], s[0:1], 0x50
	v_add_u32_e32 v10, s27, v9
	v_ashrrev_i32_e32 v1, 31, v10
	v_add_u32_e32 v0, s5, v11
	s_waitcnt lgkmcnt(0)
	s_mul_i32 s1, s3, s4
	s_mul_hi_u32 s3, s2, s4
	s_mul_i32 s0, s2, s4
	s_add_i32 s1, s3, s1
	s_lshl_b64 s[0:1], s[0:1], 3
	s_add_u32 s4, s8, s0
	s_addc_u32 s5, s9, s1
	v_cmp_neq_f32_e64 s[0:1], s6, 0
	s_xor_b64 s[8:9], s[22:23], -1
	v_mul_lo_u32 v1, s10, v1
	v_mul_lo_u32 v4, s11, v10
	v_mad_u64_u32 v[2:3], s[12:13], s10, v10, 0
	v_add3_u32 v3, v3, v1, v4
	s_or_b64 s[0:1], s[0:1], s[8:9]
	v_cmp_gt_i32_e64 s[2:3], s26, v10
	v_lshl_add_u64 v[4:5], v[2:3], 3, s[4:5]
	v_cmp_le_i32_e32 vcc, v0, v10
	v_cndmask_b32_e64 v2, 0, 1, s[0:1]
	s_and_b64 s[12:13], s[2:3], vcc
	v_ashrrev_i32_e32 v1, 31, v0
	v_cmp_ne_u32_e64 s[0:1], 1, v2
	s_and_saveexec_b64 s[8:9], s[12:13]
	s_cbranch_execz .LBB236_20
; %bb.17:
	v_pk_mul_f32 v[6:7], v[32:33], s[20:21] op_sel:[0,1] op_sel_hi:[0,0]
	v_pk_fma_f32 v[2:3], v[30:31], s[20:21], v[6:7] op_sel_hi:[0,1,1] neg_lo:[0,0,1] neg_hi:[0,0,1]
	v_pk_fma_f32 v[8:9], v[30:31], s[20:21], v[6:7] op_sel_hi:[0,1,1]
	s_and_b64 vcc, exec, s[0:1]
	v_lshl_add_u64 v[6:7], v[0:1], 3, v[4:5]
	s_cbranch_vccnz .LBB236_19
; %bb.18:
	global_load_dwordx2 v[12:13], v[6:7], off
	s_mov_b32 s12, s7
	v_mov_b32_e32 v3, v9
	s_waitcnt vmcnt(0)
	v_pk_mul_f32 v[8:9], v[12:13], s[12:13] op_sel:[1,0] op_sel_hi:[0,0]
	v_pk_fma_f32 v[14:15], v[12:13], s[6:7], v[8:9] neg_lo:[0,0,1] neg_hi:[0,0,1]
	v_pk_fma_f32 v[8:9], v[12:13], s[6:7], v[8:9] op_sel_hi:[1,0,1]
	s_nop 0
	v_mov_b32_e32 v15, v9
	v_pk_add_f32 v[2:3], v[2:3], v[14:15]
	s_nop 0
	v_mov_b32_e32 v9, v3
.LBB236_19:
	v_mov_b32_e32 v3, v9
	global_store_dwordx2 v[6:7], v[2:3], off
.LBB236_20:
	s_or_b64 exec, exec, s[8:9]
	v_add_u32_e32 v2, 16, v0
	v_cmp_le_i32_e32 vcc, v2, v10
	s_and_b64 s[8:9], s[2:3], vcc
	v_ashrrev_i32_e32 v3, 31, v2
	s_and_saveexec_b64 s[2:3], s[8:9]
	s_cbranch_execz .LBB236_24
; %bb.21:
	v_pk_mul_f32 v[8:9], v[28:29], s[20:21] op_sel:[0,1] op_sel_hi:[0,0]
	v_pk_fma_f32 v[6:7], v[26:27], s[20:21], v[8:9] op_sel_hi:[0,1,1] neg_lo:[0,0,1] neg_hi:[0,0,1]
	v_pk_fma_f32 v[8:9], v[26:27], s[20:21], v[8:9] op_sel_hi:[0,1,1]
	s_and_b64 vcc, exec, s[0:1]
	v_lshl_add_u64 v[4:5], v[2:3], 3, v[4:5]
	s_cbranch_vccnz .LBB236_23
; %bb.22:
	global_load_dwordx2 v[12:13], v[4:5], off
	s_mov_b32 s8, s7
	v_mov_b32_e32 v7, v9
	s_waitcnt vmcnt(0)
	v_pk_mul_f32 v[8:9], v[12:13], s[8:9] op_sel:[1,0] op_sel_hi:[0,0]
	v_pk_fma_f32 v[14:15], v[12:13], s[6:7], v[8:9] neg_lo:[0,0,1] neg_hi:[0,0,1]
	v_pk_fma_f32 v[8:9], v[12:13], s[6:7], v[8:9] op_sel_hi:[1,0,1]
	s_nop 0
	v_mov_b32_e32 v15, v9
	v_pk_add_f32 v[6:7], v[6:7], v[14:15]
	s_nop 0
	v_mov_b32_e32 v9, v7
.LBB236_23:
	v_mov_b32_e32 v7, v9
	global_store_dwordx2 v[4:5], v[6:7], off
.LBB236_24:
	s_or_b64 exec, exec, s[2:3]
	v_add_u32_e32 v10, 16, v10
	v_ashrrev_i32_e32 v4, 31, v10
	v_mul_lo_u32 v6, s10, v4
	v_mul_lo_u32 v7, s11, v10
	v_mad_u64_u32 v[4:5], s[8:9], s10, v10, 0
	v_cmp_gt_i32_e64 s[2:3], s26, v10
	v_add3_u32 v5, v5, v6, v7
	v_cmp_le_i32_e32 vcc, v0, v10
	v_lshl_add_u64 v[4:5], v[4:5], 3, s[4:5]
	s_and_b64 s[8:9], s[2:3], vcc
	s_and_saveexec_b64 s[4:5], s[8:9]
	s_cbranch_execz .LBB236_28
; %bb.25:
	v_pk_mul_f32 v[8:9], v[24:25], s[20:21] op_sel:[0,1] op_sel_hi:[0,0]
	v_pk_fma_f32 v[6:7], v[22:23], s[20:21], v[8:9] op_sel_hi:[0,1,1] neg_lo:[0,0,1] neg_hi:[0,0,1]
	v_pk_fma_f32 v[8:9], v[22:23], s[20:21], v[8:9] op_sel_hi:[0,1,1]
	s_and_b64 vcc, exec, s[0:1]
	v_lshl_add_u64 v[0:1], v[0:1], 3, v[4:5]
	s_cbranch_vccnz .LBB236_27
; %bb.26:
	global_load_dwordx2 v[12:13], v[0:1], off
	s_mov_b32 s8, s7
	v_mov_b32_e32 v7, v9
	s_waitcnt vmcnt(0)
	v_pk_mul_f32 v[8:9], v[12:13], s[8:9] op_sel:[1,0] op_sel_hi:[0,0]
	v_pk_fma_f32 v[14:15], v[12:13], s[6:7], v[8:9] neg_lo:[0,0,1] neg_hi:[0,0,1]
	v_pk_fma_f32 v[8:9], v[12:13], s[6:7], v[8:9] op_sel_hi:[1,0,1]
	s_nop 0
	v_mov_b32_e32 v15, v9
	v_pk_add_f32 v[6:7], v[6:7], v[14:15]
	s_nop 0
	v_mov_b32_e32 v9, v7
.LBB236_27:
	v_mov_b32_e32 v7, v9
	global_store_dwordx2 v[0:1], v[6:7], off
.LBB236_28:
	s_or_b64 exec, exec, s[4:5]
	v_cmp_le_i32_e32 vcc, v2, v10
	s_and_b64 s[2:3], s[2:3], vcc
	s_and_saveexec_b64 s[4:5], s[2:3]
	s_cbranch_execz .LBB236_32
; %bb.29:
	v_pk_mul_f32 v[6:7], v[20:21], s[20:21] op_sel:[0,1] op_sel_hi:[0,0]
	v_pk_fma_f32 v[0:1], v[18:19], s[20:21], v[6:7] op_sel_hi:[0,1,1] neg_lo:[0,0,1] neg_hi:[0,0,1]
	v_pk_fma_f32 v[6:7], v[18:19], s[20:21], v[6:7] op_sel_hi:[0,1,1]
	s_and_b64 vcc, exec, s[0:1]
	v_lshl_add_u64 v[2:3], v[2:3], 3, v[4:5]
	s_cbranch_vccnz .LBB236_31
; %bb.30:
	global_load_dwordx2 v[4:5], v[2:3], off
	s_mov_b32 s0, s7
	v_mov_b32_e32 v1, v7
	s_waitcnt vmcnt(0)
	v_pk_mul_f32 v[6:7], v[4:5], s[0:1] op_sel:[1,0] op_sel_hi:[0,0]
	v_pk_fma_f32 v[8:9], v[4:5], s[6:7], v[6:7] neg_lo:[0,0,1] neg_hi:[0,0,1]
	v_pk_fma_f32 v[4:5], v[4:5], s[6:7], v[6:7] op_sel_hi:[1,0,1]
	s_nop 0
	v_mov_b32_e32 v9, v5
	v_pk_add_f32 v[0:1], v[0:1], v[8:9]
	s_nop 0
	v_mov_b32_e32 v7, v1
.LBB236_31:
	v_mov_b32_e32 v1, v7
	global_store_dwordx2 v[2:3], v[0:1], off
.LBB236_32:
	s_endpgm
	.section	.rodata,"a",@progbits
	.p2align	6, 0x0
	.amdhsa_kernel _ZL29rocblas_internal_gemmt_kernelIlLi16ELi32ELi8ELc78ELc67ELc85ELb0ELb1E19rocblas_complex_numIfES1_PKS1_PS1_EviT_T9_T10_S5_lS7_S5_lS6_T11_S5_li
		.amdhsa_group_segment_fixed_size 4096
		.amdhsa_private_segment_fixed_size 0
		.amdhsa_kernarg_size 108
		.amdhsa_user_sgpr_count 2
		.amdhsa_user_sgpr_dispatch_ptr 0
		.amdhsa_user_sgpr_queue_ptr 0
		.amdhsa_user_sgpr_kernarg_segment_ptr 1
		.amdhsa_user_sgpr_dispatch_id 0
		.amdhsa_user_sgpr_kernarg_preload_length 0
		.amdhsa_user_sgpr_kernarg_preload_offset 0
		.amdhsa_user_sgpr_private_segment_size 0
		.amdhsa_uses_dynamic_stack 0
		.amdhsa_enable_private_segment 0
		.amdhsa_system_sgpr_workgroup_id_x 1
		.amdhsa_system_sgpr_workgroup_id_y 1
		.amdhsa_system_sgpr_workgroup_id_z 1
		.amdhsa_system_sgpr_workgroup_info 0
		.amdhsa_system_vgpr_workitem_id 1
		.amdhsa_next_free_vgpr 51
		.amdhsa_next_free_sgpr 30
		.amdhsa_accum_offset 52
		.amdhsa_reserve_vcc 1
		.amdhsa_float_round_mode_32 0
		.amdhsa_float_round_mode_16_64 0
		.amdhsa_float_denorm_mode_32 3
		.amdhsa_float_denorm_mode_16_64 3
		.amdhsa_dx10_clamp 1
		.amdhsa_ieee_mode 1
		.amdhsa_fp16_overflow 0
		.amdhsa_tg_split 0
		.amdhsa_exception_fp_ieee_invalid_op 0
		.amdhsa_exception_fp_denorm_src 0
		.amdhsa_exception_fp_ieee_div_zero 0
		.amdhsa_exception_fp_ieee_overflow 0
		.amdhsa_exception_fp_ieee_underflow 0
		.amdhsa_exception_fp_ieee_inexact 0
		.amdhsa_exception_int_div_zero 0
	.end_amdhsa_kernel
	.section	.text._ZL29rocblas_internal_gemmt_kernelIlLi16ELi32ELi8ELc78ELc67ELc85ELb0ELb1E19rocblas_complex_numIfES1_PKS1_PS1_EviT_T9_T10_S5_lS7_S5_lS6_T11_S5_li,"axG",@progbits,_ZL29rocblas_internal_gemmt_kernelIlLi16ELi32ELi8ELc78ELc67ELc85ELb0ELb1E19rocblas_complex_numIfES1_PKS1_PS1_EviT_T9_T10_S5_lS7_S5_lS6_T11_S5_li,comdat
.Lfunc_end236:
	.size	_ZL29rocblas_internal_gemmt_kernelIlLi16ELi32ELi8ELc78ELc67ELc85ELb0ELb1E19rocblas_complex_numIfES1_PKS1_PS1_EviT_T9_T10_S5_lS7_S5_lS6_T11_S5_li, .Lfunc_end236-_ZL29rocblas_internal_gemmt_kernelIlLi16ELi32ELi8ELc78ELc67ELc85ELb0ELb1E19rocblas_complex_numIfES1_PKS1_PS1_EviT_T9_T10_S5_lS7_S5_lS6_T11_S5_li
                                        ; -- End function
	.set _ZL29rocblas_internal_gemmt_kernelIlLi16ELi32ELi8ELc78ELc67ELc85ELb0ELb1E19rocblas_complex_numIfES1_PKS1_PS1_EviT_T9_T10_S5_lS7_S5_lS6_T11_S5_li.num_vgpr, 51
	.set _ZL29rocblas_internal_gemmt_kernelIlLi16ELi32ELi8ELc78ELc67ELc85ELb0ELb1E19rocblas_complex_numIfES1_PKS1_PS1_EviT_T9_T10_S5_lS7_S5_lS6_T11_S5_li.num_agpr, 0
	.set _ZL29rocblas_internal_gemmt_kernelIlLi16ELi32ELi8ELc78ELc67ELc85ELb0ELb1E19rocblas_complex_numIfES1_PKS1_PS1_EviT_T9_T10_S5_lS7_S5_lS6_T11_S5_li.numbered_sgpr, 30
	.set _ZL29rocblas_internal_gemmt_kernelIlLi16ELi32ELi8ELc78ELc67ELc85ELb0ELb1E19rocblas_complex_numIfES1_PKS1_PS1_EviT_T9_T10_S5_lS7_S5_lS6_T11_S5_li.num_named_barrier, 0
	.set _ZL29rocblas_internal_gemmt_kernelIlLi16ELi32ELi8ELc78ELc67ELc85ELb0ELb1E19rocblas_complex_numIfES1_PKS1_PS1_EviT_T9_T10_S5_lS7_S5_lS6_T11_S5_li.private_seg_size, 0
	.set _ZL29rocblas_internal_gemmt_kernelIlLi16ELi32ELi8ELc78ELc67ELc85ELb0ELb1E19rocblas_complex_numIfES1_PKS1_PS1_EviT_T9_T10_S5_lS7_S5_lS6_T11_S5_li.uses_vcc, 1
	.set _ZL29rocblas_internal_gemmt_kernelIlLi16ELi32ELi8ELc78ELc67ELc85ELb0ELb1E19rocblas_complex_numIfES1_PKS1_PS1_EviT_T9_T10_S5_lS7_S5_lS6_T11_S5_li.uses_flat_scratch, 0
	.set _ZL29rocblas_internal_gemmt_kernelIlLi16ELi32ELi8ELc78ELc67ELc85ELb0ELb1E19rocblas_complex_numIfES1_PKS1_PS1_EviT_T9_T10_S5_lS7_S5_lS6_T11_S5_li.has_dyn_sized_stack, 0
	.set _ZL29rocblas_internal_gemmt_kernelIlLi16ELi32ELi8ELc78ELc67ELc85ELb0ELb1E19rocblas_complex_numIfES1_PKS1_PS1_EviT_T9_T10_S5_lS7_S5_lS6_T11_S5_li.has_recursion, 0
	.set _ZL29rocblas_internal_gemmt_kernelIlLi16ELi32ELi8ELc78ELc67ELc85ELb0ELb1E19rocblas_complex_numIfES1_PKS1_PS1_EviT_T9_T10_S5_lS7_S5_lS6_T11_S5_li.has_indirect_call, 0
	.section	.AMDGPU.csdata,"",@progbits
; Kernel info:
; codeLenInByte = 2568
; TotalNumSgprs: 36
; NumVgprs: 51
; NumAgprs: 0
; TotalNumVgprs: 51
; ScratchSize: 0
; MemoryBound: 0
; FloatMode: 240
; IeeeMode: 1
; LDSByteSize: 4096 bytes/workgroup (compile time only)
; SGPRBlocks: 4
; VGPRBlocks: 6
; NumSGPRsForWavesPerEU: 36
; NumVGPRsForWavesPerEU: 51
; AccumOffset: 52
; Occupancy: 8
; WaveLimiterHint : 0
; COMPUTE_PGM_RSRC2:SCRATCH_EN: 0
; COMPUTE_PGM_RSRC2:USER_SGPR: 2
; COMPUTE_PGM_RSRC2:TRAP_HANDLER: 0
; COMPUTE_PGM_RSRC2:TGID_X_EN: 1
; COMPUTE_PGM_RSRC2:TGID_Y_EN: 1
; COMPUTE_PGM_RSRC2:TGID_Z_EN: 1
; COMPUTE_PGM_RSRC2:TIDIG_COMP_CNT: 1
; COMPUTE_PGM_RSRC3_GFX90A:ACCUM_OFFSET: 12
; COMPUTE_PGM_RSRC3_GFX90A:TG_SPLIT: 0
	.section	.text._ZL29rocblas_internal_gemmt_kernelIlLi16ELi32ELi8ELc84ELc78ELc85ELb0ELb0E19rocblas_complex_numIfES1_PKS1_PS1_EviT_T9_T10_S5_lS7_S5_lS6_T11_S5_li,"axG",@progbits,_ZL29rocblas_internal_gemmt_kernelIlLi16ELi32ELi8ELc84ELc78ELc85ELb0ELb0E19rocblas_complex_numIfES1_PKS1_PS1_EviT_T9_T10_S5_lS7_S5_lS6_T11_S5_li,comdat
	.globl	_ZL29rocblas_internal_gemmt_kernelIlLi16ELi32ELi8ELc84ELc78ELc85ELb0ELb0E19rocblas_complex_numIfES1_PKS1_PS1_EviT_T9_T10_S5_lS7_S5_lS6_T11_S5_li ; -- Begin function _ZL29rocblas_internal_gemmt_kernelIlLi16ELi32ELi8ELc84ELc78ELc85ELb0ELb0E19rocblas_complex_numIfES1_PKS1_PS1_EviT_T9_T10_S5_lS7_S5_lS6_T11_S5_li
	.p2align	8
	.type	_ZL29rocblas_internal_gemmt_kernelIlLi16ELi32ELi8ELc84ELc78ELc85ELb0ELb0E19rocblas_complex_numIfES1_PKS1_PS1_EviT_T9_T10_S5_lS7_S5_lS6_T11_S5_li,@function
_ZL29rocblas_internal_gemmt_kernelIlLi16ELi32ELi8ELc84ELc78ELc85ELb0ELb0E19rocblas_complex_numIfES1_PKS1_PS1_EviT_T9_T10_S5_lS7_S5_lS6_T11_S5_li: ; @_ZL29rocblas_internal_gemmt_kernelIlLi16ELi32ELi8ELc84ELc78ELc85ELb0ELb0E19rocblas_complex_numIfES1_PKS1_PS1_EviT_T9_T10_S5_lS7_S5_lS6_T11_S5_li
; %bb.0:
	s_load_dwordx2 s[12:13], s[0:1], 0x48
	s_load_dwordx2 s[14:15], s[0:1], 0x10
	s_waitcnt lgkmcnt(0)
	s_and_b32 s5, s13, 0x7fffffff
	s_cmp_eq_u32 s5, 0
	v_cmp_eq_f32_e64 s[6:7], s12, 1.0
	s_cselect_b64 s[16:17], -1, 0
	s_and_b64 s[6:7], s[6:7], s[16:17]
	s_and_b64 vcc, exec, s[6:7]
	s_cbranch_vccnz .LBB237_2
; %bb.1:
	s_mov_b64 s[6:7], -1
	s_load_dwordx2 s[8:9], s[0:1], 0x8
	s_cbranch_execz .LBB237_3
	s_branch .LBB237_4
.LBB237_2:
	s_mov_b64 s[6:7], 0
	s_load_dwordx2 s[8:9], s[0:1], 0x8
.LBB237_3:
	s_waitcnt lgkmcnt(0)
	s_cmp_lg_u64 s[8:9], 0
	v_cmp_neq_f32_e64 s[10:11], s14, 0
	v_cmp_neq_f32_e64 s[18:19], s15, 0
	s_cselect_b64 s[6:7], -1, 0
	s_or_b64 s[10:11], s[10:11], s[18:19]
	s_and_b64 s[6:7], s[6:7], s[10:11]
.LBB237_4:
	s_andn2_b64 vcc, exec, s[6:7]
	s_cbranch_vccnz .LBB237_30
; %bb.5:
	s_load_dword s22, s[0:1], 0x0
	s_lshl_b32 s5, s2, 5
	s_lshl_b32 s23, s3, 5
	v_cmp_eq_f32_e64 s[2:3], s14, 0
	v_cmp_eq_f32_e64 s[6:7], s15, 0
	s_and_b64 s[2:3], s[2:3], s[6:7]
	s_waitcnt lgkmcnt(0)
	v_cmp_lt_i64_e64 s[6:7], s[8:9], 1
	s_or_b64 s[2:3], s[2:3], s[6:7]
	v_and_b32_e32 v11, 0x3ff, v0
	v_bfe_u32 v9, v0, 10, 10
	v_mov_b32_e32 v30, 0
	s_and_b64 vcc, exec, s[2:3]
	v_mov_b32_e32 v32, 0
	v_mov_b32_e32 v26, 0
	;; [unrolled: 1-line block ×7, first 2 shown]
	s_cbranch_vccnz .LBB237_14
; %bb.6:
	s_load_dwordx8 s[24:31], s[0:1], 0x18
	s_load_dwordx4 s[36:39], s[0:1], 0x38
	v_lshl_add_u32 v0, v9, 4, v11
	v_lshrrev_b32_e32 v10, 5, v0
	v_lshrrev_b32_e32 v2, 3, v0
	v_and_b32_e32 v0, 31, v0
	s_waitcnt lgkmcnt(0)
	s_mul_i32 s2, s39, s4
	s_mul_hi_u32 s3, s38, s4
	s_add_i32 s3, s3, s2
	s_mul_i32 s2, s38, s4
	s_lshl_b64 s[2:3], s[2:3], 3
	s_add_u32 s10, s30, s2
	s_addc_u32 s11, s31, s3
	s_mul_i32 s2, s29, s4
	s_mul_hi_u32 s3, s28, s4
	s_add_i32 s3, s3, s2
	s_mul_i32 s2, s28, s4
	s_lshl_b64 s[2:3], s[2:3], 3
	v_or_b32_e32 v1, s5, v0
	s_add_u32 s6, s24, s2
	v_lshlrev_b32_e32 v0, 3, v0
	s_addc_u32 s7, s25, s3
	v_cmp_gt_i32_e64 s[2:3], s22, v1
	v_lshl_or_b32 v19, v10, 8, v0
	s_ashr_i32 s20, s5, 31
	v_mul_lo_u32 v4, s27, v1
	v_mad_u64_u32 v[0:1], s[18:19], s26, v1, 0
	s_mul_i32 s18, s26, s20
	v_and_b32_e32 v8, 7, v11
	v_add3_u32 v1, v1, s18, v4
	v_lshl_add_u64 v[12:13], v[0:1], 3, s[6:7]
	v_lshlrev_b32_e32 v0, 3, v8
	v_add_u32_e32 v3, s23, v2
	v_lshl_or_b32 v0, v2, 6, v0
	v_add_u32_e32 v21, 0x800, v0
	v_ashrrev_i32_e32 v0, 31, v3
	v_mul_lo_u32 v2, s36, v0
	v_mul_lo_u32 v4, s37, v3
	v_mad_u64_u32 v[0:1], s[18:19], s36, v3, 0
	v_add3_u32 v1, v1, v2, v4
	v_lshl_add_u64 v[14:15], v[0:1], 3, s[10:11]
	v_mov_b32_e32 v0, 0x800
	v_cmp_gt_i32_e64 s[6:7], s22, v3
	v_lshlrev_b32_e32 v23, 3, v11
	v_lshl_add_u32 v25, v9, 6, v0
	v_mov_b32_e32 v17, 0
	s_mov_b64 s[10:11], 0
	v_mov_b32_e32 v20, 0
	v_mov_b32_e32 v18, 0
	;; [unrolled: 1-line block ×8, first 2 shown]
	s_branch .LBB237_8
.LBB237_7:                              ;   in Loop: Header=BB237_8 Depth=1
	s_or_b64 exec, exec, s[18:19]
	s_waitcnt vmcnt(0)
	ds_write_b64 v21, v[0:1]
	s_waitcnt lgkmcnt(0)
	s_barrier
	ds_read2_b64 v[34:37], v23 offset1:16
	ds_read_b128 v[38:41], v25
	ds_read_b128 v[42:45], v25 offset:16
	ds_read_b128 v[4:7], v25 offset:32
	;; [unrolled: 1-line block ×3, first 2 shown]
	s_add_u32 s10, s10, 8
	s_waitcnt lgkmcnt(3)
	v_mul_f32_e32 v16, v39, v35
	v_mul_f32_e32 v27, v38, v35
	v_fma_f32 v16, v38, v34, -v16
	v_fmac_f32_e32 v27, v39, v34
	v_add_f32_e32 v16, v30, v16
	v_add_f32_e32 v50, v32, v27
	ds_read_b128 v[30:33], v25 offset:1024
	v_mul_f32_e32 v27, v39, v37
	v_mul_f32_e32 v29, v38, v37
	v_fma_f32 v27, v38, v36, -v27
	v_fmac_f32_e32 v29, v39, v36
	v_add_f32_e32 v38, v26, v27
	v_add_f32_e32 v39, v28, v29
	ds_read_b128 v[26:29], v25 offset:1040
	s_waitcnt lgkmcnt(1)
	v_mul_f32_e32 v46, v31, v35
	v_fma_f32 v46, v30, v34, -v46
	v_add_f32_e32 v22, v22, v46
	ds_read2_b64 v[46:49], v23 offset0:32 offset1:48
	v_mul_f32_e32 v35, v30, v35
	v_fmac_f32_e32 v35, v31, v34
	v_mul_f32_e32 v34, v31, v37
	v_fma_f32 v34, v30, v36, -v34
	v_mul_f32_e32 v30, v30, v37
	v_fmac_f32_e32 v30, v31, v36
	v_add_f32_e32 v20, v20, v30
	s_waitcnt lgkmcnt(0)
	v_mul_f32_e32 v30, v41, v47
	v_mul_f32_e32 v31, v40, v47
	v_fma_f32 v30, v40, v46, -v30
	v_fmac_f32_e32 v31, v41, v46
	v_add_f32_e32 v18, v18, v34
	v_add_f32_e32 v16, v16, v30
	;; [unrolled: 1-line block ×3, first 2 shown]
	v_mul_f32_e32 v31, v41, v49
	v_mul_f32_e32 v34, v40, v49
	v_fma_f32 v31, v40, v48, -v31
	v_fmac_f32_e32 v34, v41, v48
	v_add_f32_e32 v31, v38, v31
	v_add_f32_e32 v38, v39, v34
	v_mul_f32_e32 v34, v33, v47
	v_add_f32_e32 v24, v24, v35
	v_fma_f32 v34, v32, v46, -v34
	v_mul_f32_e32 v35, v32, v47
	v_fmac_f32_e32 v35, v33, v46
	v_add_f32_e32 v22, v22, v34
	v_mul_f32_e32 v34, v33, v49
	v_add_f32_e32 v24, v24, v35
	v_fma_f32 v39, v32, v48, -v34
	ds_read2_b64 v[34:37], v23 offset0:64 offset1:80
	v_mul_f32_e32 v32, v32, v49
	v_fmac_f32_e32 v32, v33, v48
	v_add_f32_e32 v18, v18, v39
	v_add_f32_e32 v20, v20, v32
	s_waitcnt lgkmcnt(0)
	v_mul_f32_e32 v33, v42, v35
	v_fmac_f32_e32 v33, v43, v34
	v_add_f32_e32 v39, v30, v33
	v_mul_f32_e32 v30, v43, v37
	v_mul_f32_e32 v32, v43, v35
	v_fma_f32 v30, v42, v36, -v30
	v_fma_f32 v32, v42, v34, -v32
	v_add_f32_e32 v40, v31, v30
	v_mul_f32_e32 v30, v27, v35
	v_add_f32_e32 v16, v16, v32
	v_mul_f32_e32 v32, v42, v37
	v_fma_f32 v30, v26, v34, -v30
	v_mul_f32_e32 v31, v26, v35
	v_fmac_f32_e32 v32, v43, v36
	v_fmac_f32_e32 v31, v27, v34
	v_add_f32_e32 v22, v22, v30
	v_mul_f32_e32 v30, v27, v37
	v_add_f32_e32 v38, v38, v32
	v_add_f32_e32 v24, v24, v31
	v_fma_f32 v34, v26, v36, -v30
	ds_read2_b64 v[30:33], v23 offset0:96 offset1:112
	v_mul_f32_e32 v26, v26, v37
	v_fmac_f32_e32 v26, v27, v36
	v_add_f32_e32 v20, v20, v26
	v_add_f32_e32 v18, v18, v34
	s_waitcnt lgkmcnt(0)
	v_mul_f32_e32 v26, v45, v31
	v_mul_f32_e32 v27, v44, v31
	v_fma_f32 v26, v44, v30, -v26
	v_fmac_f32_e32 v27, v45, v30
	v_add_f32_e32 v16, v16, v26
	v_add_f32_e32 v26, v39, v27
	v_mul_f32_e32 v27, v45, v33
	v_mul_f32_e32 v34, v44, v33
	v_fma_f32 v27, v44, v32, -v27
	v_fmac_f32_e32 v34, v45, v32
	v_add_f32_e32 v39, v40, v27
	v_add_f32_e32 v38, v38, v34
	v_mul_f32_e32 v27, v29, v31
	ds_read2_b64 v[34:37], v23 offset0:128 offset1:144
	v_fma_f32 v27, v28, v30, -v27
	v_add_f32_e32 v22, v22, v27
	v_mul_f32_e32 v27, v29, v33
	v_mul_f32_e32 v31, v28, v31
	v_fma_f32 v27, v28, v32, -v27
	v_mul_f32_e32 v28, v28, v33
	v_fmac_f32_e32 v28, v29, v32
	v_add_f32_e32 v20, v20, v28
	s_waitcnt lgkmcnt(0)
	v_mul_f32_e32 v28, v4, v35
	v_add_f32_e32 v18, v18, v27
	v_mul_f32_e32 v27, v5, v35
	v_fmac_f32_e32 v28, v5, v34
	v_fma_f32 v27, v4, v34, -v27
	v_add_f32_e32 v42, v26, v28
	v_mul_f32_e32 v26, v5, v37
	v_fmac_f32_e32 v31, v29, v30
	v_add_f32_e32 v16, v16, v27
	v_fma_f32 v30, v4, v36, -v26
	ds_read_b128 v[26:29], v25 offset:1056
	v_mul_f32_e32 v4, v4, v37
	v_fmac_f32_e32 v4, v5, v36
	v_add_f32_e32 v5, v39, v30
	v_add_f32_e32 v4, v38, v4
	ds_read_b128 v[38:41], v25 offset:1072
	s_waitcnt lgkmcnt(1)
	v_mul_f32_e32 v30, v27, v35
	v_add_f32_e32 v24, v24, v31
	v_fma_f32 v30, v26, v34, -v30
	v_mul_f32_e32 v31, v26, v35
	v_fmac_f32_e32 v31, v27, v34
	v_add_f32_e32 v22, v22, v30
	v_mul_f32_e32 v30, v27, v37
	v_add_f32_e32 v24, v24, v31
	v_fma_f32 v34, v26, v36, -v30
	ds_read2_b64 v[30:33], v23 offset0:160 offset1:176
	v_mul_f32_e32 v26, v26, v37
	v_fmac_f32_e32 v26, v27, v36
	v_add_f32_e32 v20, v20, v26
	v_add_f32_e32 v18, v18, v34
	s_waitcnt lgkmcnt(0)
	v_mul_f32_e32 v26, v7, v31
	v_mul_f32_e32 v27, v6, v31
	v_fma_f32 v26, v6, v30, -v26
	v_fmac_f32_e32 v27, v7, v30
	v_add_f32_e32 v16, v16, v26
	v_add_f32_e32 v26, v42, v27
	v_mul_f32_e32 v27, v7, v33
	v_fma_f32 v27, v6, v32, -v27
	v_mul_f32_e32 v6, v6, v33
	v_fmac_f32_e32 v6, v7, v32
	v_add_f32_e32 v34, v4, v6
	v_mul_f32_e32 v4, v29, v31
	v_add_f32_e32 v27, v5, v27
	v_fma_f32 v4, v28, v30, -v4
	v_mul_f32_e32 v5, v28, v31
	v_fmac_f32_e32 v5, v29, v30
	v_add_f32_e32 v22, v22, v4
	v_mul_f32_e32 v4, v29, v33
	v_add_f32_e32 v24, v24, v5
	v_fma_f32 v30, v28, v32, -v4
	ds_read2_b64 v[4:7], v23 offset0:192 offset1:208
	v_mul_f32_e32 v28, v28, v33
	v_fmac_f32_e32 v28, v29, v32
	v_add_f32_e32 v20, v20, v28
	v_add_f32_e32 v18, v18, v30
	s_waitcnt lgkmcnt(0)
	v_mul_f32_e32 v28, v1, v5
	v_fma_f32 v28, v0, v4, -v28
	v_add_f32_e32 v16, v16, v28
	v_mul_f32_e32 v28, v1, v7
	v_mul_f32_e32 v29, v0, v5
	v_fma_f32 v28, v0, v6, -v28
	v_mul_f32_e32 v0, v0, v7
	v_fmac_f32_e32 v0, v1, v6
	v_add_f32_e32 v0, v34, v0
	ds_read2_b64 v[34:37], v23 offset0:224 offset1:240
	v_fmac_f32_e32 v29, v1, v4
	v_add_f32_e32 v1, v27, v28
	v_mul_f32_e32 v27, v39, v5
	v_fma_f32 v27, v38, v4, -v27
	v_mul_f32_e32 v5, v38, v5
	v_fmac_f32_e32 v5, v39, v4
	v_add_f32_e32 v4, v22, v27
	v_mul_f32_e32 v22, v39, v7
	v_fma_f32 v22, v38, v6, -v22
	v_mul_f32_e32 v7, v38, v7
	v_fmac_f32_e32 v7, v39, v6
	v_add_f32_e32 v6, v18, v22
	s_waitcnt lgkmcnt(0)
	v_mul_f32_e32 v18, v3, v35
	v_fma_f32 v18, v2, v34, -v18
	v_add_f32_e32 v30, v16, v18
	v_mul_f32_e32 v16, v3, v37
	v_add_f32_e32 v7, v20, v7
	v_mul_f32_e32 v20, v2, v35
	v_fma_f32 v16, v2, v36, -v16
	v_mul_f32_e32 v2, v2, v37
	v_add_f32_e32 v26, v26, v29
	v_fmac_f32_e32 v20, v3, v34
	v_fmac_f32_e32 v2, v3, v36
	v_add_f32_e32 v32, v26, v20
	v_add_f32_e32 v26, v1, v16
	;; [unrolled: 1-line block ×3, first 2 shown]
	v_mul_f32_e32 v0, v41, v35
	v_mul_f32_e32 v1, v40, v35
	v_add_f32_e32 v5, v24, v5
	v_fma_f32 v0, v40, v34, -v0
	v_fmac_f32_e32 v1, v41, v34
	v_add_f32_e32 v22, v4, v0
	v_add_f32_e32 v24, v5, v1
	v_mul_f32_e32 v0, v41, v37
	v_mul_f32_e32 v1, v40, v37
	v_fma_f32 v0, v40, v36, -v0
	v_fmac_f32_e32 v1, v41, v36
	s_addc_u32 s11, s11, 0
	v_add_f32_e32 v18, v6, v0
	v_add_f32_e32 v20, v7, v1
	v_mov_b64_e32 v[0:1], s[10:11]
	v_cmp_gt_i64_e32 vcc, s[8:9], v[0:1]
	s_barrier
	s_cbranch_vccz .LBB237_14
.LBB237_8:                              ; =>This Inner Loop Header: Depth=1
	v_mov_b32_e32 v0, 0
	v_mov_b32_e32 v1, 0
	s_and_saveexec_b64 s[18:19], s[2:3]
	s_cbranch_execz .LBB237_12
; %bb.9:                                ;   in Loop: Header=BB237_8 Depth=1
	v_add_u32_e32 v16, s10, v10
	v_cmp_gt_u64_e32 vcc, s[8:9], v[16:17]
	v_mov_b32_e32 v1, 0
	v_mov_b32_e32 v0, 0
	s_and_saveexec_b64 s[20:21], vcc
	s_cbranch_execz .LBB237_11
; %bb.10:                               ;   in Loop: Header=BB237_8 Depth=1
	v_lshl_add_u64 v[0:1], v[16:17], 3, v[12:13]
	global_load_dwordx2 v[0:1], v[0:1], off
.LBB237_11:                             ;   in Loop: Header=BB237_8 Depth=1
	s_or_b64 exec, exec, s[20:21]
.LBB237_12:                             ;   in Loop: Header=BB237_8 Depth=1
	s_or_b64 exec, exec, s[18:19]
	v_add_u32_e32 v16, s10, v8
	v_cmp_gt_u64_e32 vcc, s[8:9], v[16:17]
	s_waitcnt vmcnt(0)
	ds_write_b64 v19, v[0:1]
	s_and_b64 s[20:21], vcc, s[6:7]
	v_mov_b32_e32 v0, 0
	v_mov_b32_e32 v1, 0
	s_and_saveexec_b64 s[18:19], s[20:21]
	s_cbranch_execz .LBB237_7
; %bb.13:                               ;   in Loop: Header=BB237_8 Depth=1
	v_lshl_add_u64 v[0:1], v[16:17], 3, v[14:15]
	global_load_dwordx2 v[0:1], v[0:1], off
	s_branch .LBB237_7
.LBB237_14:
	s_load_dwordx2 s[2:3], s[0:1], 0x60
	s_load_dwordx4 s[8:11], s[0:1], 0x50
	v_add_u32_e32 v10, s23, v9
	v_ashrrev_i32_e32 v1, 31, v10
	v_add_u32_e32 v0, s5, v11
	s_waitcnt lgkmcnt(0)
	s_mul_i32 s1, s3, s4
	s_mul_hi_u32 s3, s2, s4
	s_mul_i32 s0, s2, s4
	s_add_i32 s1, s3, s1
	s_lshl_b64 s[0:1], s[0:1], 3
	s_add_u32 s4, s8, s0
	s_addc_u32 s5, s9, s1
	v_cmp_neq_f32_e64 s[0:1], s12, 0
	s_xor_b64 s[6:7], s[16:17], -1
	v_mul_lo_u32 v1, s10, v1
	v_mul_lo_u32 v4, s11, v10
	v_mad_u64_u32 v[2:3], s[8:9], s10, v10, 0
	v_add3_u32 v3, v3, v1, v4
	s_or_b64 s[0:1], s[0:1], s[6:7]
	v_cmp_gt_i32_e64 s[2:3], s22, v10
	v_lshl_add_u64 v[4:5], v[2:3], 3, s[4:5]
	v_cmp_le_i32_e32 vcc, v0, v10
	v_cndmask_b32_e64 v2, 0, 1, s[0:1]
	s_and_b64 s[8:9], s[2:3], vcc
	v_ashrrev_i32_e32 v1, 31, v0
	v_cmp_ne_u32_e64 s[0:1], 1, v2
	s_and_saveexec_b64 s[6:7], s[8:9]
	s_cbranch_execz .LBB237_18
; %bb.15:
	v_pk_mul_f32 v[6:7], v[32:33], s[14:15] op_sel:[0,1] op_sel_hi:[0,0]
	v_pk_fma_f32 v[2:3], v[30:31], s[14:15], v[6:7] op_sel_hi:[0,1,1] neg_lo:[0,0,1] neg_hi:[0,0,1]
	v_pk_fma_f32 v[8:9], v[30:31], s[14:15], v[6:7] op_sel_hi:[0,1,1]
	s_and_b64 vcc, exec, s[0:1]
	v_lshl_add_u64 v[6:7], v[0:1], 3, v[4:5]
	s_cbranch_vccnz .LBB237_17
; %bb.16:
	global_load_dwordx2 v[12:13], v[6:7], off
	s_mov_b32 s8, s13
	v_mov_b32_e32 v3, v9
	s_waitcnt vmcnt(0)
	v_pk_mul_f32 v[8:9], v[12:13], s[8:9] op_sel:[1,0] op_sel_hi:[0,0]
	v_pk_fma_f32 v[14:15], v[12:13], s[12:13], v[8:9] neg_lo:[0,0,1] neg_hi:[0,0,1]
	v_pk_fma_f32 v[8:9], v[12:13], s[12:13], v[8:9] op_sel_hi:[1,0,1]
	s_nop 0
	v_mov_b32_e32 v15, v9
	v_pk_add_f32 v[2:3], v[2:3], v[14:15]
	s_nop 0
	v_mov_b32_e32 v9, v3
.LBB237_17:
	v_mov_b32_e32 v3, v9
	global_store_dwordx2 v[6:7], v[2:3], off
.LBB237_18:
	s_or_b64 exec, exec, s[6:7]
	v_add_u32_e32 v2, 16, v0
	v_cmp_le_i32_e32 vcc, v2, v10
	s_and_b64 s[6:7], s[2:3], vcc
	v_ashrrev_i32_e32 v3, 31, v2
	s_and_saveexec_b64 s[2:3], s[6:7]
	s_cbranch_execz .LBB237_22
; %bb.19:
	v_pk_mul_f32 v[8:9], v[28:29], s[14:15] op_sel:[0,1] op_sel_hi:[0,0]
	v_pk_fma_f32 v[6:7], v[26:27], s[14:15], v[8:9] op_sel_hi:[0,1,1] neg_lo:[0,0,1] neg_hi:[0,0,1]
	v_pk_fma_f32 v[8:9], v[26:27], s[14:15], v[8:9] op_sel_hi:[0,1,1]
	s_and_b64 vcc, exec, s[0:1]
	v_lshl_add_u64 v[4:5], v[2:3], 3, v[4:5]
	s_cbranch_vccnz .LBB237_21
; %bb.20:
	global_load_dwordx2 v[12:13], v[4:5], off
	s_mov_b32 s6, s13
	v_mov_b32_e32 v7, v9
	s_waitcnt vmcnt(0)
	v_pk_mul_f32 v[8:9], v[12:13], s[6:7] op_sel:[1,0] op_sel_hi:[0,0]
	v_pk_fma_f32 v[14:15], v[12:13], s[12:13], v[8:9] neg_lo:[0,0,1] neg_hi:[0,0,1]
	v_pk_fma_f32 v[8:9], v[12:13], s[12:13], v[8:9] op_sel_hi:[1,0,1]
	s_nop 0
	v_mov_b32_e32 v15, v9
	v_pk_add_f32 v[6:7], v[6:7], v[14:15]
	s_nop 0
	v_mov_b32_e32 v9, v7
.LBB237_21:
	v_mov_b32_e32 v7, v9
	global_store_dwordx2 v[4:5], v[6:7], off
.LBB237_22:
	s_or_b64 exec, exec, s[2:3]
	v_add_u32_e32 v10, 16, v10
	v_ashrrev_i32_e32 v4, 31, v10
	v_mul_lo_u32 v6, s10, v4
	v_mul_lo_u32 v7, s11, v10
	v_mad_u64_u32 v[4:5], s[6:7], s10, v10, 0
	v_cmp_gt_i32_e64 s[2:3], s22, v10
	v_add3_u32 v5, v5, v6, v7
	v_cmp_le_i32_e32 vcc, v0, v10
	v_lshl_add_u64 v[4:5], v[4:5], 3, s[4:5]
	s_and_b64 s[6:7], s[2:3], vcc
	s_and_saveexec_b64 s[4:5], s[6:7]
	s_cbranch_execz .LBB237_26
; %bb.23:
	v_pk_mul_f32 v[8:9], v[24:25], s[14:15] op_sel:[0,1] op_sel_hi:[0,0]
	v_pk_fma_f32 v[6:7], v[22:23], s[14:15], v[8:9] op_sel_hi:[0,1,1] neg_lo:[0,0,1] neg_hi:[0,0,1]
	v_pk_fma_f32 v[8:9], v[22:23], s[14:15], v[8:9] op_sel_hi:[0,1,1]
	s_and_b64 vcc, exec, s[0:1]
	v_lshl_add_u64 v[0:1], v[0:1], 3, v[4:5]
	s_cbranch_vccnz .LBB237_25
; %bb.24:
	global_load_dwordx2 v[12:13], v[0:1], off
	s_mov_b32 s6, s13
	v_mov_b32_e32 v7, v9
	s_waitcnt vmcnt(0)
	v_pk_mul_f32 v[8:9], v[12:13], s[6:7] op_sel:[1,0] op_sel_hi:[0,0]
	v_pk_fma_f32 v[14:15], v[12:13], s[12:13], v[8:9] neg_lo:[0,0,1] neg_hi:[0,0,1]
	v_pk_fma_f32 v[8:9], v[12:13], s[12:13], v[8:9] op_sel_hi:[1,0,1]
	s_nop 0
	v_mov_b32_e32 v15, v9
	v_pk_add_f32 v[6:7], v[6:7], v[14:15]
	s_nop 0
	v_mov_b32_e32 v9, v7
.LBB237_25:
	v_mov_b32_e32 v7, v9
	global_store_dwordx2 v[0:1], v[6:7], off
.LBB237_26:
	s_or_b64 exec, exec, s[4:5]
	v_cmp_le_i32_e32 vcc, v2, v10
	s_and_b64 s[2:3], s[2:3], vcc
	s_and_saveexec_b64 s[4:5], s[2:3]
	s_cbranch_execz .LBB237_30
; %bb.27:
	v_pk_mul_f32 v[6:7], v[20:21], s[14:15] op_sel:[0,1] op_sel_hi:[0,0]
	v_pk_fma_f32 v[0:1], v[18:19], s[14:15], v[6:7] op_sel_hi:[0,1,1] neg_lo:[0,0,1] neg_hi:[0,0,1]
	v_pk_fma_f32 v[6:7], v[18:19], s[14:15], v[6:7] op_sel_hi:[0,1,1]
	s_and_b64 vcc, exec, s[0:1]
	v_lshl_add_u64 v[2:3], v[2:3], 3, v[4:5]
	s_cbranch_vccnz .LBB237_29
; %bb.28:
	global_load_dwordx2 v[4:5], v[2:3], off
	s_mov_b32 s0, s13
	v_mov_b32_e32 v1, v7
	s_waitcnt vmcnt(0)
	v_pk_mul_f32 v[6:7], v[4:5], s[0:1] op_sel:[1,0] op_sel_hi:[0,0]
	v_pk_fma_f32 v[8:9], v[4:5], s[12:13], v[6:7] neg_lo:[0,0,1] neg_hi:[0,0,1]
	v_pk_fma_f32 v[4:5], v[4:5], s[12:13], v[6:7] op_sel_hi:[1,0,1]
	s_nop 0
	v_mov_b32_e32 v9, v5
	v_pk_add_f32 v[0:1], v[0:1], v[8:9]
	s_nop 0
	v_mov_b32_e32 v7, v1
.LBB237_29:
	v_mov_b32_e32 v1, v7
	global_store_dwordx2 v[2:3], v[0:1], off
.LBB237_30:
	s_endpgm
	.section	.rodata,"a",@progbits
	.p2align	6, 0x0
	.amdhsa_kernel _ZL29rocblas_internal_gemmt_kernelIlLi16ELi32ELi8ELc84ELc78ELc85ELb0ELb0E19rocblas_complex_numIfES1_PKS1_PS1_EviT_T9_T10_S5_lS7_S5_lS6_T11_S5_li
		.amdhsa_group_segment_fixed_size 4096
		.amdhsa_private_segment_fixed_size 0
		.amdhsa_kernarg_size 108
		.amdhsa_user_sgpr_count 2
		.amdhsa_user_sgpr_dispatch_ptr 0
		.amdhsa_user_sgpr_queue_ptr 0
		.amdhsa_user_sgpr_kernarg_segment_ptr 1
		.amdhsa_user_sgpr_dispatch_id 0
		.amdhsa_user_sgpr_kernarg_preload_length 0
		.amdhsa_user_sgpr_kernarg_preload_offset 0
		.amdhsa_user_sgpr_private_segment_size 0
		.amdhsa_uses_dynamic_stack 0
		.amdhsa_enable_private_segment 0
		.amdhsa_system_sgpr_workgroup_id_x 1
		.amdhsa_system_sgpr_workgroup_id_y 1
		.amdhsa_system_sgpr_workgroup_id_z 1
		.amdhsa_system_sgpr_workgroup_info 0
		.amdhsa_system_vgpr_workitem_id 1
		.amdhsa_next_free_vgpr 51
		.amdhsa_next_free_sgpr 40
		.amdhsa_accum_offset 52
		.amdhsa_reserve_vcc 1
		.amdhsa_float_round_mode_32 0
		.amdhsa_float_round_mode_16_64 0
		.amdhsa_float_denorm_mode_32 3
		.amdhsa_float_denorm_mode_16_64 3
		.amdhsa_dx10_clamp 1
		.amdhsa_ieee_mode 1
		.amdhsa_fp16_overflow 0
		.amdhsa_tg_split 0
		.amdhsa_exception_fp_ieee_invalid_op 0
		.amdhsa_exception_fp_denorm_src 0
		.amdhsa_exception_fp_ieee_div_zero 0
		.amdhsa_exception_fp_ieee_overflow 0
		.amdhsa_exception_fp_ieee_underflow 0
		.amdhsa_exception_fp_ieee_inexact 0
		.amdhsa_exception_int_div_zero 0
	.end_amdhsa_kernel
	.section	.text._ZL29rocblas_internal_gemmt_kernelIlLi16ELi32ELi8ELc84ELc78ELc85ELb0ELb0E19rocblas_complex_numIfES1_PKS1_PS1_EviT_T9_T10_S5_lS7_S5_lS6_T11_S5_li,"axG",@progbits,_ZL29rocblas_internal_gemmt_kernelIlLi16ELi32ELi8ELc84ELc78ELc85ELb0ELb0E19rocblas_complex_numIfES1_PKS1_PS1_EviT_T9_T10_S5_lS7_S5_lS6_T11_S5_li,comdat
.Lfunc_end237:
	.size	_ZL29rocblas_internal_gemmt_kernelIlLi16ELi32ELi8ELc84ELc78ELc85ELb0ELb0E19rocblas_complex_numIfES1_PKS1_PS1_EviT_T9_T10_S5_lS7_S5_lS6_T11_S5_li, .Lfunc_end237-_ZL29rocblas_internal_gemmt_kernelIlLi16ELi32ELi8ELc84ELc78ELc85ELb0ELb0E19rocblas_complex_numIfES1_PKS1_PS1_EviT_T9_T10_S5_lS7_S5_lS6_T11_S5_li
                                        ; -- End function
	.set _ZL29rocblas_internal_gemmt_kernelIlLi16ELi32ELi8ELc84ELc78ELc85ELb0ELb0E19rocblas_complex_numIfES1_PKS1_PS1_EviT_T9_T10_S5_lS7_S5_lS6_T11_S5_li.num_vgpr, 51
	.set _ZL29rocblas_internal_gemmt_kernelIlLi16ELi32ELi8ELc84ELc78ELc85ELb0ELb0E19rocblas_complex_numIfES1_PKS1_PS1_EviT_T9_T10_S5_lS7_S5_lS6_T11_S5_li.num_agpr, 0
	.set _ZL29rocblas_internal_gemmt_kernelIlLi16ELi32ELi8ELc84ELc78ELc85ELb0ELb0E19rocblas_complex_numIfES1_PKS1_PS1_EviT_T9_T10_S5_lS7_S5_lS6_T11_S5_li.numbered_sgpr, 40
	.set _ZL29rocblas_internal_gemmt_kernelIlLi16ELi32ELi8ELc84ELc78ELc85ELb0ELb0E19rocblas_complex_numIfES1_PKS1_PS1_EviT_T9_T10_S5_lS7_S5_lS6_T11_S5_li.num_named_barrier, 0
	.set _ZL29rocblas_internal_gemmt_kernelIlLi16ELi32ELi8ELc84ELc78ELc85ELb0ELb0E19rocblas_complex_numIfES1_PKS1_PS1_EviT_T9_T10_S5_lS7_S5_lS6_T11_S5_li.private_seg_size, 0
	.set _ZL29rocblas_internal_gemmt_kernelIlLi16ELi32ELi8ELc84ELc78ELc85ELb0ELb0E19rocblas_complex_numIfES1_PKS1_PS1_EviT_T9_T10_S5_lS7_S5_lS6_T11_S5_li.uses_vcc, 1
	.set _ZL29rocblas_internal_gemmt_kernelIlLi16ELi32ELi8ELc84ELc78ELc85ELb0ELb0E19rocblas_complex_numIfES1_PKS1_PS1_EviT_T9_T10_S5_lS7_S5_lS6_T11_S5_li.uses_flat_scratch, 0
	.set _ZL29rocblas_internal_gemmt_kernelIlLi16ELi32ELi8ELc84ELc78ELc85ELb0ELb0E19rocblas_complex_numIfES1_PKS1_PS1_EviT_T9_T10_S5_lS7_S5_lS6_T11_S5_li.has_dyn_sized_stack, 0
	.set _ZL29rocblas_internal_gemmt_kernelIlLi16ELi32ELi8ELc84ELc78ELc85ELb0ELb0E19rocblas_complex_numIfES1_PKS1_PS1_EviT_T9_T10_S5_lS7_S5_lS6_T11_S5_li.has_recursion, 0
	.set _ZL29rocblas_internal_gemmt_kernelIlLi16ELi32ELi8ELc84ELc78ELc85ELb0ELb0E19rocblas_complex_numIfES1_PKS1_PS1_EviT_T9_T10_S5_lS7_S5_lS6_T11_S5_li.has_indirect_call, 0
	.section	.AMDGPU.csdata,"",@progbits
; Kernel info:
; codeLenInByte = 2548
; TotalNumSgprs: 46
; NumVgprs: 51
; NumAgprs: 0
; TotalNumVgprs: 51
; ScratchSize: 0
; MemoryBound: 0
; FloatMode: 240
; IeeeMode: 1
; LDSByteSize: 4096 bytes/workgroup (compile time only)
; SGPRBlocks: 5
; VGPRBlocks: 6
; NumSGPRsForWavesPerEU: 46
; NumVGPRsForWavesPerEU: 51
; AccumOffset: 52
; Occupancy: 8
; WaveLimiterHint : 0
; COMPUTE_PGM_RSRC2:SCRATCH_EN: 0
; COMPUTE_PGM_RSRC2:USER_SGPR: 2
; COMPUTE_PGM_RSRC2:TRAP_HANDLER: 0
; COMPUTE_PGM_RSRC2:TGID_X_EN: 1
; COMPUTE_PGM_RSRC2:TGID_Y_EN: 1
; COMPUTE_PGM_RSRC2:TGID_Z_EN: 1
; COMPUTE_PGM_RSRC2:TIDIG_COMP_CNT: 1
; COMPUTE_PGM_RSRC3_GFX90A:ACCUM_OFFSET: 12
; COMPUTE_PGM_RSRC3_GFX90A:TG_SPLIT: 0
	.section	.text._ZL29rocblas_internal_gemmt_kernelIlLi16ELi32ELi8ELc84ELc84ELc85ELb0ELb0E19rocblas_complex_numIfES1_PKS1_PS1_EviT_T9_T10_S5_lS7_S5_lS6_T11_S5_li,"axG",@progbits,_ZL29rocblas_internal_gemmt_kernelIlLi16ELi32ELi8ELc84ELc84ELc85ELb0ELb0E19rocblas_complex_numIfES1_PKS1_PS1_EviT_T9_T10_S5_lS7_S5_lS6_T11_S5_li,comdat
	.globl	_ZL29rocblas_internal_gemmt_kernelIlLi16ELi32ELi8ELc84ELc84ELc85ELb0ELb0E19rocblas_complex_numIfES1_PKS1_PS1_EviT_T9_T10_S5_lS7_S5_lS6_T11_S5_li ; -- Begin function _ZL29rocblas_internal_gemmt_kernelIlLi16ELi32ELi8ELc84ELc84ELc85ELb0ELb0E19rocblas_complex_numIfES1_PKS1_PS1_EviT_T9_T10_S5_lS7_S5_lS6_T11_S5_li
	.p2align	8
	.type	_ZL29rocblas_internal_gemmt_kernelIlLi16ELi32ELi8ELc84ELc84ELc85ELb0ELb0E19rocblas_complex_numIfES1_PKS1_PS1_EviT_T9_T10_S5_lS7_S5_lS6_T11_S5_li,@function
_ZL29rocblas_internal_gemmt_kernelIlLi16ELi32ELi8ELc84ELc84ELc85ELb0ELb0E19rocblas_complex_numIfES1_PKS1_PS1_EviT_T9_T10_S5_lS7_S5_lS6_T11_S5_li: ; @_ZL29rocblas_internal_gemmt_kernelIlLi16ELi32ELi8ELc84ELc84ELc85ELb0ELb0E19rocblas_complex_numIfES1_PKS1_PS1_EviT_T9_T10_S5_lS7_S5_lS6_T11_S5_li
; %bb.0:
	s_load_dwordx2 s[12:13], s[0:1], 0x48
	s_load_dwordx2 s[14:15], s[0:1], 0x10
	s_waitcnt lgkmcnt(0)
	s_and_b32 s5, s13, 0x7fffffff
	s_cmp_eq_u32 s5, 0
	v_cmp_eq_f32_e64 s[6:7], s12, 1.0
	s_cselect_b64 s[16:17], -1, 0
	s_and_b64 s[6:7], s[6:7], s[16:17]
	s_and_b64 vcc, exec, s[6:7]
	s_cbranch_vccnz .LBB238_2
; %bb.1:
	s_mov_b64 s[6:7], -1
	s_load_dwordx2 s[18:19], s[0:1], 0x8
	s_cbranch_execz .LBB238_3
	s_branch .LBB238_4
.LBB238_2:
	s_mov_b64 s[6:7], 0
	s_load_dwordx2 s[18:19], s[0:1], 0x8
.LBB238_3:
	s_waitcnt lgkmcnt(0)
	s_cmp_lg_u64 s[18:19], 0
	v_cmp_neq_f32_e64 s[8:9], s14, 0
	v_cmp_neq_f32_e64 s[10:11], s15, 0
	s_cselect_b64 s[6:7], -1, 0
	s_or_b64 s[8:9], s[8:9], s[10:11]
	s_and_b64 s[6:7], s[6:7], s[8:9]
.LBB238_4:
	s_andn2_b64 vcc, exec, s[6:7]
	s_cbranch_vccnz .LBB238_30
; %bb.5:
	s_load_dword s24, s[0:1], 0x0
	s_lshl_b32 s5, s2, 5
	s_lshl_b32 s25, s3, 5
	v_cmp_eq_f32_e64 s[2:3], s14, 0
	v_cmp_eq_f32_e64 s[6:7], s15, 0
	s_and_b64 s[2:3], s[2:3], s[6:7]
	s_waitcnt lgkmcnt(0)
	v_cmp_lt_i64_e64 s[6:7], s[18:19], 1
	s_or_b64 s[2:3], s[2:3], s[6:7]
	v_and_b32_e32 v11, 0x3ff, v0
	v_bfe_u32 v9, v0, 10, 10
	v_mov_b32_e32 v30, 0
	s_and_b64 vcc, exec, s[2:3]
	v_mov_b32_e32 v32, 0
	v_mov_b32_e32 v26, 0
	v_mov_b32_e32 v28, 0
	v_mov_b32_e32 v22, 0
	v_mov_b32_e32 v24, 0
	v_mov_b32_e32 v18, 0
	v_mov_b32_e32 v20, 0
	s_cbranch_vccnz .LBB238_14
; %bb.6:
	s_load_dwordx8 s[36:43], s[0:1], 0x18
	s_load_dwordx4 s[8:11], s[0:1], 0x38
	v_lshl_add_u32 v1, v9, 4, v11
	v_lshrrev_b32_e32 v10, 5, v1
	v_lshrrev_b32_e32 v4, 3, v1
	v_and_b32_e32 v1, 31, v1
	s_waitcnt lgkmcnt(0)
	s_mul_i32 s2, s11, s4
	s_mul_hi_u32 s3, s10, s4
	s_add_i32 s3, s3, s2
	s_mul_i32 s2, s10, s4
	s_lshl_b64 s[2:3], s[2:3], 3
	s_add_u32 s10, s42, s2
	s_addc_u32 s11, s43, s3
	s_mul_i32 s2, s41, s4
	s_mul_hi_u32 s3, s40, s4
	s_add_i32 s3, s3, s2
	s_mul_i32 s2, s40, s4
	s_lshl_b64 s[2:3], s[2:3], 3
	v_or_b32_e32 v2, s5, v1
	s_add_u32 s6, s36, s2
	v_lshlrev_b32_e32 v1, 3, v1
	s_addc_u32 s7, s37, s3
	v_cmp_gt_i32_e64 s[2:3], s24, v2
	v_lshl_or_b32 v19, v10, 8, v1
	s_ashr_i32 s22, s5, 31
	v_mul_lo_u32 v1, s39, v2
	v_mad_u64_u32 v[2:3], s[20:21], s38, v2, 0
	v_and_b32_e32 v8, 7, v11
	s_mul_i32 s20, s38, s22
	v_add3_u32 v3, v3, s20, v1
	v_lshlrev_b32_e32 v1, 3, v8
	v_add_u32_e32 v0, s25, v4
	v_lshl_or_b32 v1, v4, 6, v1
	v_add_u32_e32 v21, 0x800, v1
	v_ashrrev_i32_e32 v1, 31, v0
	v_lshl_add_u64 v[12:13], v[2:3], 3, s[6:7]
	v_cmp_gt_i32_e64 s[6:7], s24, v0
	v_lshl_add_u64 v[14:15], v[0:1], 3, s[10:11]
	v_mov_b32_e32 v0, 0x800
	v_lshlrev_b32_e32 v23, 3, v11
	v_lshl_add_u32 v25, v9, 6, v0
	v_mov_b32_e32 v17, 0
	s_mov_b64 s[10:11], 0
	v_mov_b32_e32 v20, 0
	v_mov_b32_e32 v18, 0
	;; [unrolled: 1-line block ×8, first 2 shown]
	s_branch .LBB238_8
.LBB238_7:                              ;   in Loop: Header=BB238_8 Depth=1
	s_or_b64 exec, exec, s[20:21]
	s_waitcnt vmcnt(0)
	ds_write_b64 v21, v[0:1]
	s_waitcnt lgkmcnt(0)
	s_barrier
	ds_read2_b64 v[34:37], v23 offset1:16
	ds_read_b128 v[38:41], v25
	ds_read_b128 v[42:45], v25 offset:16
	ds_read_b128 v[4:7], v25 offset:32
	;; [unrolled: 1-line block ×3, first 2 shown]
	s_add_u32 s10, s10, 8
	s_waitcnt lgkmcnt(3)
	v_mul_f32_e32 v16, v39, v35
	v_mul_f32_e32 v27, v38, v35
	v_fma_f32 v16, v38, v34, -v16
	v_fmac_f32_e32 v27, v39, v34
	v_add_f32_e32 v16, v30, v16
	v_add_f32_e32 v50, v32, v27
	ds_read_b128 v[30:33], v25 offset:1024
	v_mul_f32_e32 v27, v39, v37
	v_mul_f32_e32 v29, v38, v37
	v_fma_f32 v27, v38, v36, -v27
	v_fmac_f32_e32 v29, v39, v36
	v_add_f32_e32 v38, v26, v27
	v_add_f32_e32 v39, v28, v29
	ds_read_b128 v[26:29], v25 offset:1040
	s_waitcnt lgkmcnt(1)
	v_mul_f32_e32 v46, v31, v35
	v_fma_f32 v46, v30, v34, -v46
	v_add_f32_e32 v22, v22, v46
	ds_read2_b64 v[46:49], v23 offset0:32 offset1:48
	v_mul_f32_e32 v35, v30, v35
	v_fmac_f32_e32 v35, v31, v34
	v_mul_f32_e32 v34, v31, v37
	v_fma_f32 v34, v30, v36, -v34
	v_mul_f32_e32 v30, v30, v37
	v_fmac_f32_e32 v30, v31, v36
	v_add_f32_e32 v20, v20, v30
	s_waitcnt lgkmcnt(0)
	v_mul_f32_e32 v30, v41, v47
	v_mul_f32_e32 v31, v40, v47
	v_fma_f32 v30, v40, v46, -v30
	v_fmac_f32_e32 v31, v41, v46
	v_add_f32_e32 v18, v18, v34
	v_add_f32_e32 v16, v16, v30
	;; [unrolled: 1-line block ×3, first 2 shown]
	v_mul_f32_e32 v31, v41, v49
	v_mul_f32_e32 v34, v40, v49
	v_fma_f32 v31, v40, v48, -v31
	v_fmac_f32_e32 v34, v41, v48
	v_add_f32_e32 v31, v38, v31
	v_add_f32_e32 v38, v39, v34
	v_mul_f32_e32 v34, v33, v47
	v_add_f32_e32 v24, v24, v35
	v_fma_f32 v34, v32, v46, -v34
	v_mul_f32_e32 v35, v32, v47
	v_fmac_f32_e32 v35, v33, v46
	v_add_f32_e32 v22, v22, v34
	v_mul_f32_e32 v34, v33, v49
	v_add_f32_e32 v24, v24, v35
	v_fma_f32 v39, v32, v48, -v34
	ds_read2_b64 v[34:37], v23 offset0:64 offset1:80
	v_mul_f32_e32 v32, v32, v49
	v_fmac_f32_e32 v32, v33, v48
	v_add_f32_e32 v18, v18, v39
	v_add_f32_e32 v20, v20, v32
	s_waitcnt lgkmcnt(0)
	v_mul_f32_e32 v33, v42, v35
	v_fmac_f32_e32 v33, v43, v34
	v_add_f32_e32 v39, v30, v33
	v_mul_f32_e32 v30, v43, v37
	v_mul_f32_e32 v32, v43, v35
	v_fma_f32 v30, v42, v36, -v30
	v_fma_f32 v32, v42, v34, -v32
	v_add_f32_e32 v40, v31, v30
	v_mul_f32_e32 v30, v27, v35
	v_add_f32_e32 v16, v16, v32
	v_mul_f32_e32 v32, v42, v37
	v_fma_f32 v30, v26, v34, -v30
	v_mul_f32_e32 v31, v26, v35
	v_fmac_f32_e32 v32, v43, v36
	v_fmac_f32_e32 v31, v27, v34
	v_add_f32_e32 v22, v22, v30
	v_mul_f32_e32 v30, v27, v37
	v_add_f32_e32 v38, v38, v32
	v_add_f32_e32 v24, v24, v31
	v_fma_f32 v34, v26, v36, -v30
	ds_read2_b64 v[30:33], v23 offset0:96 offset1:112
	v_mul_f32_e32 v26, v26, v37
	v_fmac_f32_e32 v26, v27, v36
	v_add_f32_e32 v20, v20, v26
	v_add_f32_e32 v18, v18, v34
	s_waitcnt lgkmcnt(0)
	v_mul_f32_e32 v26, v45, v31
	v_mul_f32_e32 v27, v44, v31
	v_fma_f32 v26, v44, v30, -v26
	v_fmac_f32_e32 v27, v45, v30
	v_add_f32_e32 v16, v16, v26
	v_add_f32_e32 v26, v39, v27
	v_mul_f32_e32 v27, v45, v33
	v_mul_f32_e32 v34, v44, v33
	v_fma_f32 v27, v44, v32, -v27
	v_fmac_f32_e32 v34, v45, v32
	v_add_f32_e32 v39, v40, v27
	v_add_f32_e32 v38, v38, v34
	v_mul_f32_e32 v27, v29, v31
	ds_read2_b64 v[34:37], v23 offset0:128 offset1:144
	v_fma_f32 v27, v28, v30, -v27
	v_add_f32_e32 v22, v22, v27
	v_mul_f32_e32 v27, v29, v33
	v_mul_f32_e32 v31, v28, v31
	v_fma_f32 v27, v28, v32, -v27
	v_mul_f32_e32 v28, v28, v33
	v_fmac_f32_e32 v28, v29, v32
	v_add_f32_e32 v20, v20, v28
	s_waitcnt lgkmcnt(0)
	v_mul_f32_e32 v28, v4, v35
	v_add_f32_e32 v18, v18, v27
	v_mul_f32_e32 v27, v5, v35
	v_fmac_f32_e32 v28, v5, v34
	v_fma_f32 v27, v4, v34, -v27
	v_add_f32_e32 v42, v26, v28
	v_mul_f32_e32 v26, v5, v37
	v_fmac_f32_e32 v31, v29, v30
	v_add_f32_e32 v16, v16, v27
	v_fma_f32 v30, v4, v36, -v26
	ds_read_b128 v[26:29], v25 offset:1056
	v_mul_f32_e32 v4, v4, v37
	v_fmac_f32_e32 v4, v5, v36
	v_add_f32_e32 v5, v39, v30
	v_add_f32_e32 v4, v38, v4
	ds_read_b128 v[38:41], v25 offset:1072
	s_waitcnt lgkmcnt(1)
	v_mul_f32_e32 v30, v27, v35
	v_add_f32_e32 v24, v24, v31
	v_fma_f32 v30, v26, v34, -v30
	v_mul_f32_e32 v31, v26, v35
	v_fmac_f32_e32 v31, v27, v34
	v_add_f32_e32 v22, v22, v30
	v_mul_f32_e32 v30, v27, v37
	v_add_f32_e32 v24, v24, v31
	v_fma_f32 v34, v26, v36, -v30
	ds_read2_b64 v[30:33], v23 offset0:160 offset1:176
	v_mul_f32_e32 v26, v26, v37
	v_fmac_f32_e32 v26, v27, v36
	v_add_f32_e32 v20, v20, v26
	v_add_f32_e32 v18, v18, v34
	s_waitcnt lgkmcnt(0)
	v_mul_f32_e32 v26, v7, v31
	v_mul_f32_e32 v27, v6, v31
	v_fma_f32 v26, v6, v30, -v26
	v_fmac_f32_e32 v27, v7, v30
	v_add_f32_e32 v16, v16, v26
	v_add_f32_e32 v26, v42, v27
	v_mul_f32_e32 v27, v7, v33
	v_fma_f32 v27, v6, v32, -v27
	v_mul_f32_e32 v6, v6, v33
	v_fmac_f32_e32 v6, v7, v32
	v_add_f32_e32 v34, v4, v6
	v_mul_f32_e32 v4, v29, v31
	v_add_f32_e32 v27, v5, v27
	v_fma_f32 v4, v28, v30, -v4
	v_mul_f32_e32 v5, v28, v31
	v_fmac_f32_e32 v5, v29, v30
	v_add_f32_e32 v22, v22, v4
	v_mul_f32_e32 v4, v29, v33
	v_add_f32_e32 v24, v24, v5
	v_fma_f32 v30, v28, v32, -v4
	ds_read2_b64 v[4:7], v23 offset0:192 offset1:208
	v_mul_f32_e32 v28, v28, v33
	v_fmac_f32_e32 v28, v29, v32
	v_add_f32_e32 v20, v20, v28
	v_add_f32_e32 v18, v18, v30
	s_waitcnt lgkmcnt(0)
	v_mul_f32_e32 v28, v1, v5
	v_fma_f32 v28, v0, v4, -v28
	v_add_f32_e32 v16, v16, v28
	v_mul_f32_e32 v28, v1, v7
	v_mul_f32_e32 v29, v0, v5
	v_fma_f32 v28, v0, v6, -v28
	v_mul_f32_e32 v0, v0, v7
	v_fmac_f32_e32 v0, v1, v6
	v_add_f32_e32 v0, v34, v0
	ds_read2_b64 v[34:37], v23 offset0:224 offset1:240
	v_fmac_f32_e32 v29, v1, v4
	v_add_f32_e32 v1, v27, v28
	v_mul_f32_e32 v27, v39, v5
	v_fma_f32 v27, v38, v4, -v27
	v_mul_f32_e32 v5, v38, v5
	v_fmac_f32_e32 v5, v39, v4
	v_add_f32_e32 v4, v22, v27
	v_mul_f32_e32 v22, v39, v7
	v_fma_f32 v22, v38, v6, -v22
	v_mul_f32_e32 v7, v38, v7
	v_fmac_f32_e32 v7, v39, v6
	v_add_f32_e32 v6, v18, v22
	s_waitcnt lgkmcnt(0)
	v_mul_f32_e32 v18, v3, v35
	v_fma_f32 v18, v2, v34, -v18
	v_add_f32_e32 v30, v16, v18
	v_mul_f32_e32 v16, v3, v37
	v_add_f32_e32 v7, v20, v7
	v_mul_f32_e32 v20, v2, v35
	v_fma_f32 v16, v2, v36, -v16
	v_mul_f32_e32 v2, v2, v37
	v_add_f32_e32 v26, v26, v29
	v_fmac_f32_e32 v20, v3, v34
	v_fmac_f32_e32 v2, v3, v36
	v_add_f32_e32 v32, v26, v20
	v_add_f32_e32 v26, v1, v16
	;; [unrolled: 1-line block ×3, first 2 shown]
	v_mul_f32_e32 v0, v41, v35
	v_mul_f32_e32 v1, v40, v35
	v_add_f32_e32 v5, v24, v5
	v_fma_f32 v0, v40, v34, -v0
	v_fmac_f32_e32 v1, v41, v34
	v_add_f32_e32 v22, v4, v0
	v_add_f32_e32 v24, v5, v1
	v_mul_f32_e32 v0, v41, v37
	v_mul_f32_e32 v1, v40, v37
	v_fma_f32 v0, v40, v36, -v0
	v_fmac_f32_e32 v1, v41, v36
	s_addc_u32 s11, s11, 0
	v_add_f32_e32 v18, v6, v0
	v_add_f32_e32 v20, v7, v1
	v_mov_b64_e32 v[0:1], s[10:11]
	v_cmp_gt_i64_e32 vcc, s[18:19], v[0:1]
	s_barrier
	s_cbranch_vccz .LBB238_14
.LBB238_8:                              ; =>This Inner Loop Header: Depth=1
	v_mov_b32_e32 v0, 0
	v_mov_b32_e32 v1, 0
	s_and_saveexec_b64 s[20:21], s[2:3]
	s_cbranch_execz .LBB238_12
; %bb.9:                                ;   in Loop: Header=BB238_8 Depth=1
	v_add_u32_e32 v16, s10, v10
	v_cmp_gt_u64_e32 vcc, s[18:19], v[16:17]
	v_mov_b32_e32 v1, 0
	v_mov_b32_e32 v0, 0
	s_and_saveexec_b64 s[22:23], vcc
	s_cbranch_execz .LBB238_11
; %bb.10:                               ;   in Loop: Header=BB238_8 Depth=1
	v_lshl_add_u64 v[0:1], v[16:17], 3, v[12:13]
	global_load_dwordx2 v[0:1], v[0:1], off
.LBB238_11:                             ;   in Loop: Header=BB238_8 Depth=1
	s_or_b64 exec, exec, s[22:23]
.LBB238_12:                             ;   in Loop: Header=BB238_8 Depth=1
	s_or_b64 exec, exec, s[20:21]
	v_add_u32_e32 v16, s10, v8
	v_cmp_gt_u64_e32 vcc, s[18:19], v[16:17]
	s_waitcnt vmcnt(0)
	ds_write_b64 v19, v[0:1]
	s_and_b64 s[22:23], vcc, s[6:7]
	v_mov_b32_e32 v0, 0
	v_mov_b32_e32 v1, 0
	s_and_saveexec_b64 s[20:21], s[22:23]
	s_cbranch_execz .LBB238_7
; %bb.13:                               ;   in Loop: Header=BB238_8 Depth=1
	v_mad_u64_u32 v[0:1], s[22:23], s8, v16, 0
	v_mov_b32_e32 v2, v1
	v_mad_u64_u32 v[2:3], s[22:23], s9, v16, v[2:3]
	v_mov_b32_e32 v1, v2
	v_lshl_add_u64 v[0:1], v[0:1], 3, v[14:15]
	global_load_dwordx2 v[0:1], v[0:1], off
	s_branch .LBB238_7
.LBB238_14:
	s_load_dwordx2 s[2:3], s[0:1], 0x60
	s_load_dwordx4 s[8:11], s[0:1], 0x50
	v_add_u32_e32 v10, s25, v9
	v_ashrrev_i32_e32 v1, 31, v10
	v_add_u32_e32 v0, s5, v11
	s_waitcnt lgkmcnt(0)
	s_mul_i32 s1, s3, s4
	s_mul_hi_u32 s3, s2, s4
	s_mul_i32 s0, s2, s4
	s_add_i32 s1, s3, s1
	s_lshl_b64 s[0:1], s[0:1], 3
	s_add_u32 s4, s8, s0
	s_addc_u32 s5, s9, s1
	v_cmp_neq_f32_e64 s[0:1], s12, 0
	s_xor_b64 s[6:7], s[16:17], -1
	v_mul_lo_u32 v1, s10, v1
	v_mul_lo_u32 v4, s11, v10
	v_mad_u64_u32 v[2:3], s[8:9], s10, v10, 0
	v_add3_u32 v3, v3, v1, v4
	s_or_b64 s[0:1], s[0:1], s[6:7]
	v_cmp_gt_i32_e64 s[2:3], s24, v10
	v_lshl_add_u64 v[4:5], v[2:3], 3, s[4:5]
	v_cmp_le_i32_e32 vcc, v0, v10
	v_cndmask_b32_e64 v2, 0, 1, s[0:1]
	s_and_b64 s[8:9], s[2:3], vcc
	v_ashrrev_i32_e32 v1, 31, v0
	v_cmp_ne_u32_e64 s[0:1], 1, v2
	s_and_saveexec_b64 s[6:7], s[8:9]
	s_cbranch_execz .LBB238_18
; %bb.15:
	v_pk_mul_f32 v[6:7], v[32:33], s[14:15] op_sel:[0,1] op_sel_hi:[0,0]
	v_pk_fma_f32 v[2:3], v[30:31], s[14:15], v[6:7] op_sel_hi:[0,1,1] neg_lo:[0,0,1] neg_hi:[0,0,1]
	v_pk_fma_f32 v[8:9], v[30:31], s[14:15], v[6:7] op_sel_hi:[0,1,1]
	s_and_b64 vcc, exec, s[0:1]
	v_lshl_add_u64 v[6:7], v[0:1], 3, v[4:5]
	s_cbranch_vccnz .LBB238_17
; %bb.16:
	global_load_dwordx2 v[12:13], v[6:7], off
	s_mov_b32 s8, s13
	v_mov_b32_e32 v3, v9
	s_waitcnt vmcnt(0)
	v_pk_mul_f32 v[8:9], v[12:13], s[8:9] op_sel:[1,0] op_sel_hi:[0,0]
	v_pk_fma_f32 v[14:15], v[12:13], s[12:13], v[8:9] neg_lo:[0,0,1] neg_hi:[0,0,1]
	v_pk_fma_f32 v[8:9], v[12:13], s[12:13], v[8:9] op_sel_hi:[1,0,1]
	s_nop 0
	v_mov_b32_e32 v15, v9
	v_pk_add_f32 v[2:3], v[2:3], v[14:15]
	s_nop 0
	v_mov_b32_e32 v9, v3
.LBB238_17:
	v_mov_b32_e32 v3, v9
	global_store_dwordx2 v[6:7], v[2:3], off
.LBB238_18:
	s_or_b64 exec, exec, s[6:7]
	v_add_u32_e32 v2, 16, v0
	v_cmp_le_i32_e32 vcc, v2, v10
	s_and_b64 s[6:7], s[2:3], vcc
	v_ashrrev_i32_e32 v3, 31, v2
	s_and_saveexec_b64 s[2:3], s[6:7]
	s_cbranch_execz .LBB238_22
; %bb.19:
	v_pk_mul_f32 v[8:9], v[28:29], s[14:15] op_sel:[0,1] op_sel_hi:[0,0]
	v_pk_fma_f32 v[6:7], v[26:27], s[14:15], v[8:9] op_sel_hi:[0,1,1] neg_lo:[0,0,1] neg_hi:[0,0,1]
	v_pk_fma_f32 v[8:9], v[26:27], s[14:15], v[8:9] op_sel_hi:[0,1,1]
	s_and_b64 vcc, exec, s[0:1]
	v_lshl_add_u64 v[4:5], v[2:3], 3, v[4:5]
	s_cbranch_vccnz .LBB238_21
; %bb.20:
	global_load_dwordx2 v[12:13], v[4:5], off
	s_mov_b32 s6, s13
	v_mov_b32_e32 v7, v9
	s_waitcnt vmcnt(0)
	v_pk_mul_f32 v[8:9], v[12:13], s[6:7] op_sel:[1,0] op_sel_hi:[0,0]
	v_pk_fma_f32 v[14:15], v[12:13], s[12:13], v[8:9] neg_lo:[0,0,1] neg_hi:[0,0,1]
	v_pk_fma_f32 v[8:9], v[12:13], s[12:13], v[8:9] op_sel_hi:[1,0,1]
	s_nop 0
	v_mov_b32_e32 v15, v9
	v_pk_add_f32 v[6:7], v[6:7], v[14:15]
	s_nop 0
	v_mov_b32_e32 v9, v7
.LBB238_21:
	v_mov_b32_e32 v7, v9
	global_store_dwordx2 v[4:5], v[6:7], off
.LBB238_22:
	s_or_b64 exec, exec, s[2:3]
	v_add_u32_e32 v10, 16, v10
	v_ashrrev_i32_e32 v4, 31, v10
	v_mul_lo_u32 v6, s10, v4
	v_mul_lo_u32 v7, s11, v10
	v_mad_u64_u32 v[4:5], s[6:7], s10, v10, 0
	v_cmp_gt_i32_e64 s[2:3], s24, v10
	v_add3_u32 v5, v5, v6, v7
	v_cmp_le_i32_e32 vcc, v0, v10
	v_lshl_add_u64 v[4:5], v[4:5], 3, s[4:5]
	s_and_b64 s[6:7], s[2:3], vcc
	s_and_saveexec_b64 s[4:5], s[6:7]
	s_cbranch_execz .LBB238_26
; %bb.23:
	v_pk_mul_f32 v[8:9], v[24:25], s[14:15] op_sel:[0,1] op_sel_hi:[0,0]
	v_pk_fma_f32 v[6:7], v[22:23], s[14:15], v[8:9] op_sel_hi:[0,1,1] neg_lo:[0,0,1] neg_hi:[0,0,1]
	v_pk_fma_f32 v[8:9], v[22:23], s[14:15], v[8:9] op_sel_hi:[0,1,1]
	s_and_b64 vcc, exec, s[0:1]
	v_lshl_add_u64 v[0:1], v[0:1], 3, v[4:5]
	s_cbranch_vccnz .LBB238_25
; %bb.24:
	global_load_dwordx2 v[12:13], v[0:1], off
	s_mov_b32 s6, s13
	v_mov_b32_e32 v7, v9
	s_waitcnt vmcnt(0)
	v_pk_mul_f32 v[8:9], v[12:13], s[6:7] op_sel:[1,0] op_sel_hi:[0,0]
	v_pk_fma_f32 v[14:15], v[12:13], s[12:13], v[8:9] neg_lo:[0,0,1] neg_hi:[0,0,1]
	v_pk_fma_f32 v[8:9], v[12:13], s[12:13], v[8:9] op_sel_hi:[1,0,1]
	s_nop 0
	v_mov_b32_e32 v15, v9
	v_pk_add_f32 v[6:7], v[6:7], v[14:15]
	s_nop 0
	v_mov_b32_e32 v9, v7
.LBB238_25:
	v_mov_b32_e32 v7, v9
	global_store_dwordx2 v[0:1], v[6:7], off
.LBB238_26:
	s_or_b64 exec, exec, s[4:5]
	v_cmp_le_i32_e32 vcc, v2, v10
	s_and_b64 s[2:3], s[2:3], vcc
	s_and_saveexec_b64 s[4:5], s[2:3]
	s_cbranch_execz .LBB238_30
; %bb.27:
	v_pk_mul_f32 v[6:7], v[20:21], s[14:15] op_sel:[0,1] op_sel_hi:[0,0]
	v_pk_fma_f32 v[0:1], v[18:19], s[14:15], v[6:7] op_sel_hi:[0,1,1] neg_lo:[0,0,1] neg_hi:[0,0,1]
	v_pk_fma_f32 v[6:7], v[18:19], s[14:15], v[6:7] op_sel_hi:[0,1,1]
	s_and_b64 vcc, exec, s[0:1]
	v_lshl_add_u64 v[2:3], v[2:3], 3, v[4:5]
	s_cbranch_vccnz .LBB238_29
; %bb.28:
	global_load_dwordx2 v[4:5], v[2:3], off
	s_mov_b32 s0, s13
	v_mov_b32_e32 v1, v7
	s_waitcnt vmcnt(0)
	v_pk_mul_f32 v[6:7], v[4:5], s[0:1] op_sel:[1,0] op_sel_hi:[0,0]
	v_pk_fma_f32 v[8:9], v[4:5], s[12:13], v[6:7] neg_lo:[0,0,1] neg_hi:[0,0,1]
	v_pk_fma_f32 v[4:5], v[4:5], s[12:13], v[6:7] op_sel_hi:[1,0,1]
	s_nop 0
	v_mov_b32_e32 v9, v5
	v_pk_add_f32 v[0:1], v[0:1], v[8:9]
	s_nop 0
	v_mov_b32_e32 v7, v1
.LBB238_29:
	v_mov_b32_e32 v1, v7
	global_store_dwordx2 v[2:3], v[0:1], off
.LBB238_30:
	s_endpgm
	.section	.rodata,"a",@progbits
	.p2align	6, 0x0
	.amdhsa_kernel _ZL29rocblas_internal_gemmt_kernelIlLi16ELi32ELi8ELc84ELc84ELc85ELb0ELb0E19rocblas_complex_numIfES1_PKS1_PS1_EviT_T9_T10_S5_lS7_S5_lS6_T11_S5_li
		.amdhsa_group_segment_fixed_size 4096
		.amdhsa_private_segment_fixed_size 0
		.amdhsa_kernarg_size 108
		.amdhsa_user_sgpr_count 2
		.amdhsa_user_sgpr_dispatch_ptr 0
		.amdhsa_user_sgpr_queue_ptr 0
		.amdhsa_user_sgpr_kernarg_segment_ptr 1
		.amdhsa_user_sgpr_dispatch_id 0
		.amdhsa_user_sgpr_kernarg_preload_length 0
		.amdhsa_user_sgpr_kernarg_preload_offset 0
		.amdhsa_user_sgpr_private_segment_size 0
		.amdhsa_uses_dynamic_stack 0
		.amdhsa_enable_private_segment 0
		.amdhsa_system_sgpr_workgroup_id_x 1
		.amdhsa_system_sgpr_workgroup_id_y 1
		.amdhsa_system_sgpr_workgroup_id_z 1
		.amdhsa_system_sgpr_workgroup_info 0
		.amdhsa_system_vgpr_workitem_id 1
		.amdhsa_next_free_vgpr 51
		.amdhsa_next_free_sgpr 44
		.amdhsa_accum_offset 52
		.amdhsa_reserve_vcc 1
		.amdhsa_float_round_mode_32 0
		.amdhsa_float_round_mode_16_64 0
		.amdhsa_float_denorm_mode_32 3
		.amdhsa_float_denorm_mode_16_64 3
		.amdhsa_dx10_clamp 1
		.amdhsa_ieee_mode 1
		.amdhsa_fp16_overflow 0
		.amdhsa_tg_split 0
		.amdhsa_exception_fp_ieee_invalid_op 0
		.amdhsa_exception_fp_denorm_src 0
		.amdhsa_exception_fp_ieee_div_zero 0
		.amdhsa_exception_fp_ieee_overflow 0
		.amdhsa_exception_fp_ieee_underflow 0
		.amdhsa_exception_fp_ieee_inexact 0
		.amdhsa_exception_int_div_zero 0
	.end_amdhsa_kernel
	.section	.text._ZL29rocblas_internal_gemmt_kernelIlLi16ELi32ELi8ELc84ELc84ELc85ELb0ELb0E19rocblas_complex_numIfES1_PKS1_PS1_EviT_T9_T10_S5_lS7_S5_lS6_T11_S5_li,"axG",@progbits,_ZL29rocblas_internal_gemmt_kernelIlLi16ELi32ELi8ELc84ELc84ELc85ELb0ELb0E19rocblas_complex_numIfES1_PKS1_PS1_EviT_T9_T10_S5_lS7_S5_lS6_T11_S5_li,comdat
.Lfunc_end238:
	.size	_ZL29rocblas_internal_gemmt_kernelIlLi16ELi32ELi8ELc84ELc84ELc85ELb0ELb0E19rocblas_complex_numIfES1_PKS1_PS1_EviT_T9_T10_S5_lS7_S5_lS6_T11_S5_li, .Lfunc_end238-_ZL29rocblas_internal_gemmt_kernelIlLi16ELi32ELi8ELc84ELc84ELc85ELb0ELb0E19rocblas_complex_numIfES1_PKS1_PS1_EviT_T9_T10_S5_lS7_S5_lS6_T11_S5_li
                                        ; -- End function
	.set _ZL29rocblas_internal_gemmt_kernelIlLi16ELi32ELi8ELc84ELc84ELc85ELb0ELb0E19rocblas_complex_numIfES1_PKS1_PS1_EviT_T9_T10_S5_lS7_S5_lS6_T11_S5_li.num_vgpr, 51
	.set _ZL29rocblas_internal_gemmt_kernelIlLi16ELi32ELi8ELc84ELc84ELc85ELb0ELb0E19rocblas_complex_numIfES1_PKS1_PS1_EviT_T9_T10_S5_lS7_S5_lS6_T11_S5_li.num_agpr, 0
	.set _ZL29rocblas_internal_gemmt_kernelIlLi16ELi32ELi8ELc84ELc84ELc85ELb0ELb0E19rocblas_complex_numIfES1_PKS1_PS1_EviT_T9_T10_S5_lS7_S5_lS6_T11_S5_li.numbered_sgpr, 44
	.set _ZL29rocblas_internal_gemmt_kernelIlLi16ELi32ELi8ELc84ELc84ELc85ELb0ELb0E19rocblas_complex_numIfES1_PKS1_PS1_EviT_T9_T10_S5_lS7_S5_lS6_T11_S5_li.num_named_barrier, 0
	.set _ZL29rocblas_internal_gemmt_kernelIlLi16ELi32ELi8ELc84ELc84ELc85ELb0ELb0E19rocblas_complex_numIfES1_PKS1_PS1_EviT_T9_T10_S5_lS7_S5_lS6_T11_S5_li.private_seg_size, 0
	.set _ZL29rocblas_internal_gemmt_kernelIlLi16ELi32ELi8ELc84ELc84ELc85ELb0ELb0E19rocblas_complex_numIfES1_PKS1_PS1_EviT_T9_T10_S5_lS7_S5_lS6_T11_S5_li.uses_vcc, 1
	.set _ZL29rocblas_internal_gemmt_kernelIlLi16ELi32ELi8ELc84ELc84ELc85ELb0ELb0E19rocblas_complex_numIfES1_PKS1_PS1_EviT_T9_T10_S5_lS7_S5_lS6_T11_S5_li.uses_flat_scratch, 0
	.set _ZL29rocblas_internal_gemmt_kernelIlLi16ELi32ELi8ELc84ELc84ELc85ELb0ELb0E19rocblas_complex_numIfES1_PKS1_PS1_EviT_T9_T10_S5_lS7_S5_lS6_T11_S5_li.has_dyn_sized_stack, 0
	.set _ZL29rocblas_internal_gemmt_kernelIlLi16ELi32ELi8ELc84ELc84ELc85ELb0ELb0E19rocblas_complex_numIfES1_PKS1_PS1_EviT_T9_T10_S5_lS7_S5_lS6_T11_S5_li.has_recursion, 0
	.set _ZL29rocblas_internal_gemmt_kernelIlLi16ELi32ELi8ELc84ELc84ELc85ELb0ELb0E19rocblas_complex_numIfES1_PKS1_PS1_EviT_T9_T10_S5_lS7_S5_lS6_T11_S5_li.has_indirect_call, 0
	.section	.AMDGPU.csdata,"",@progbits
; Kernel info:
; codeLenInByte = 2540
; TotalNumSgprs: 50
; NumVgprs: 51
; NumAgprs: 0
; TotalNumVgprs: 51
; ScratchSize: 0
; MemoryBound: 0
; FloatMode: 240
; IeeeMode: 1
; LDSByteSize: 4096 bytes/workgroup (compile time only)
; SGPRBlocks: 6
; VGPRBlocks: 6
; NumSGPRsForWavesPerEU: 50
; NumVGPRsForWavesPerEU: 51
; AccumOffset: 52
; Occupancy: 8
; WaveLimiterHint : 0
; COMPUTE_PGM_RSRC2:SCRATCH_EN: 0
; COMPUTE_PGM_RSRC2:USER_SGPR: 2
; COMPUTE_PGM_RSRC2:TRAP_HANDLER: 0
; COMPUTE_PGM_RSRC2:TGID_X_EN: 1
; COMPUTE_PGM_RSRC2:TGID_Y_EN: 1
; COMPUTE_PGM_RSRC2:TGID_Z_EN: 1
; COMPUTE_PGM_RSRC2:TIDIG_COMP_CNT: 1
; COMPUTE_PGM_RSRC3_GFX90A:ACCUM_OFFSET: 12
; COMPUTE_PGM_RSRC3_GFX90A:TG_SPLIT: 0
	.section	.text._ZL29rocblas_internal_gemmt_kernelIlLi16ELi32ELi8ELc84ELc67ELc85ELb0ELb1E19rocblas_complex_numIfES1_PKS1_PS1_EviT_T9_T10_S5_lS7_S5_lS6_T11_S5_li,"axG",@progbits,_ZL29rocblas_internal_gemmt_kernelIlLi16ELi32ELi8ELc84ELc67ELc85ELb0ELb1E19rocblas_complex_numIfES1_PKS1_PS1_EviT_T9_T10_S5_lS7_S5_lS6_T11_S5_li,comdat
	.globl	_ZL29rocblas_internal_gemmt_kernelIlLi16ELi32ELi8ELc84ELc67ELc85ELb0ELb1E19rocblas_complex_numIfES1_PKS1_PS1_EviT_T9_T10_S5_lS7_S5_lS6_T11_S5_li ; -- Begin function _ZL29rocblas_internal_gemmt_kernelIlLi16ELi32ELi8ELc84ELc67ELc85ELb0ELb1E19rocblas_complex_numIfES1_PKS1_PS1_EviT_T9_T10_S5_lS7_S5_lS6_T11_S5_li
	.p2align	8
	.type	_ZL29rocblas_internal_gemmt_kernelIlLi16ELi32ELi8ELc84ELc67ELc85ELb0ELb1E19rocblas_complex_numIfES1_PKS1_PS1_EviT_T9_T10_S5_lS7_S5_lS6_T11_S5_li,@function
_ZL29rocblas_internal_gemmt_kernelIlLi16ELi32ELi8ELc84ELc67ELc85ELb0ELb1E19rocblas_complex_numIfES1_PKS1_PS1_EviT_T9_T10_S5_lS7_S5_lS6_T11_S5_li: ; @_ZL29rocblas_internal_gemmt_kernelIlLi16ELi32ELi8ELc84ELc67ELc85ELb0ELb1E19rocblas_complex_numIfES1_PKS1_PS1_EviT_T9_T10_S5_lS7_S5_lS6_T11_S5_li
; %bb.0:
	s_load_dwordx2 s[6:7], s[0:1], 0x48
	s_load_dwordx2 s[12:13], s[0:1], 0x10
	s_waitcnt lgkmcnt(0)
	s_and_b32 s5, s7, 0x7fffffff
	s_cmp_eq_u32 s5, 0
	v_cmp_eq_f32_e64 s[8:9], s6, 1.0
	s_cselect_b64 s[14:15], -1, 0
	s_and_b64 s[8:9], s[8:9], s[14:15]
	s_and_b64 vcc, exec, s[8:9]
	s_cbranch_vccnz .LBB239_2
; %bb.1:
	s_mov_b64 s[8:9], -1
	s_load_dwordx2 s[16:17], s[0:1], 0x8
	s_cbranch_execz .LBB239_3
	s_branch .LBB239_4
.LBB239_2:
	s_mov_b64 s[8:9], 0
	s_load_dwordx2 s[16:17], s[0:1], 0x8
.LBB239_3:
	s_waitcnt lgkmcnt(0)
	s_cmp_lg_u64 s[16:17], 0
	v_cmp_neq_f32_e64 s[10:11], s12, 0
	v_cmp_neq_f32_e64 s[18:19], s13, 0
	s_cselect_b64 s[8:9], -1, 0
	s_or_b64 s[10:11], s[10:11], s[18:19]
	s_and_b64 s[8:9], s[8:9], s[10:11]
.LBB239_4:
	s_andn2_b64 vcc, exec, s[8:9]
	s_cbranch_vccnz .LBB239_32
; %bb.5:
	s_load_dword s24, s[0:1], 0x0
	s_lshl_b32 s5, s2, 5
	s_lshl_b32 s25, s3, 5
	v_cmp_eq_f32_e64 s[2:3], s12, 0
	v_cmp_eq_f32_e64 s[8:9], s13, 0
	s_and_b64 s[2:3], s[2:3], s[8:9]
	s_waitcnt lgkmcnt(0)
	v_cmp_lt_i64_e64 s[8:9], s[16:17], 1
	s_or_b64 s[2:3], s[2:3], s[8:9]
	v_and_b32_e32 v11, 0x3ff, v0
	v_bfe_u32 v9, v0, 10, 10
	v_mov_b32_e32 v30, 0
	s_and_b64 vcc, exec, s[2:3]
	v_mov_b32_e32 v32, 0
	v_mov_b32_e32 v26, 0
	;; [unrolled: 1-line block ×7, first 2 shown]
	s_cbranch_vccnz .LBB239_16
; %bb.6:
	s_load_dwordx8 s[36:43], s[0:1], 0x18
	s_load_dwordx4 s[8:11], s[0:1], 0x38
	v_lshl_add_u32 v1, v9, 4, v11
	v_lshrrev_b32_e32 v10, 5, v1
	v_lshrrev_b32_e32 v4, 3, v1
	v_and_b32_e32 v1, 31, v1
	s_waitcnt lgkmcnt(0)
	s_mul_i32 s2, s11, s4
	s_mul_hi_u32 s3, s10, s4
	s_add_i32 s3, s3, s2
	s_mul_i32 s2, s10, s4
	s_lshl_b64 s[2:3], s[2:3], 3
	s_add_u32 s10, s42, s2
	s_addc_u32 s11, s43, s3
	s_mul_i32 s2, s41, s4
	s_mul_hi_u32 s3, s40, s4
	s_add_i32 s3, s3, s2
	s_mul_i32 s2, s40, s4
	s_lshl_b64 s[2:3], s[2:3], 3
	v_or_b32_e32 v2, s5, v1
	s_add_u32 s18, s36, s2
	v_lshlrev_b32_e32 v1, 3, v1
	s_addc_u32 s19, s37, s3
	v_cmp_gt_i32_e64 s[2:3], s24, v2
	v_lshl_or_b32 v19, v10, 8, v1
	s_ashr_i32 s22, s5, 31
	v_mul_lo_u32 v1, s39, v2
	v_mad_u64_u32 v[2:3], s[20:21], s38, v2, 0
	v_and_b32_e32 v8, 7, v11
	s_mul_i32 s20, s38, s22
	v_add3_u32 v3, v3, s20, v1
	v_lshlrev_b32_e32 v1, 3, v8
	v_add_u32_e32 v0, s25, v4
	v_lshl_or_b32 v1, v4, 6, v1
	v_add_u32_e32 v21, 0x800, v1
	v_ashrrev_i32_e32 v1, 31, v0
	v_cmp_gt_i32_e32 vcc, s24, v0
	v_lshl_add_u64 v[14:15], v[0:1], 3, s[10:11]
	v_mov_b32_e32 v0, 0x800
	v_lshl_add_u64 v[12:13], v[2:3], 3, s[18:19]
	v_lshlrev_b32_e32 v23, 3, v11
	v_lshl_add_u32 v25, v9, 6, v0
	v_mov_b32_e32 v17, 0
	s_mov_b64 s[10:11], 0
	s_xor_b64 s[18:19], vcc, -1
	v_mov_b32_e32 v20, 0
	v_mov_b32_e32 v18, 0
	;; [unrolled: 1-line block ×8, first 2 shown]
	s_branch .LBB239_8
.LBB239_7:                              ;   in Loop: Header=BB239_8 Depth=1
	s_or_b64 exec, exec, s[20:21]
	ds_write_b32 v21, v0 offset:4
	s_waitcnt lgkmcnt(0)
	s_barrier
	ds_read2_b64 v[34:37], v23 offset1:16
	ds_read_b128 v[38:41], v25
	ds_read_b128 v[42:45], v25 offset:16
	ds_read_b128 v[4:7], v25 offset:32
	;; [unrolled: 1-line block ×3, first 2 shown]
	s_add_u32 s10, s10, 8
	s_waitcnt lgkmcnt(3)
	v_mul_f32_e32 v16, v39, v35
	v_mul_f32_e32 v27, v38, v35
	v_fma_f32 v16, v38, v34, -v16
	v_fmac_f32_e32 v27, v39, v34
	v_add_f32_e32 v16, v30, v16
	v_add_f32_e32 v50, v32, v27
	ds_read_b128 v[30:33], v25 offset:1024
	v_mul_f32_e32 v27, v39, v37
	v_mul_f32_e32 v29, v38, v37
	v_fma_f32 v27, v38, v36, -v27
	v_fmac_f32_e32 v29, v39, v36
	v_add_f32_e32 v38, v26, v27
	v_add_f32_e32 v39, v28, v29
	ds_read_b128 v[26:29], v25 offset:1040
	s_waitcnt lgkmcnt(1)
	v_mul_f32_e32 v46, v31, v35
	v_fma_f32 v46, v30, v34, -v46
	v_add_f32_e32 v22, v22, v46
	ds_read2_b64 v[46:49], v23 offset0:32 offset1:48
	v_mul_f32_e32 v35, v30, v35
	v_fmac_f32_e32 v35, v31, v34
	v_mul_f32_e32 v34, v31, v37
	v_fma_f32 v34, v30, v36, -v34
	v_mul_f32_e32 v30, v30, v37
	v_fmac_f32_e32 v30, v31, v36
	v_add_f32_e32 v20, v20, v30
	s_waitcnt lgkmcnt(0)
	v_mul_f32_e32 v30, v41, v47
	v_mul_f32_e32 v31, v40, v47
	v_fma_f32 v30, v40, v46, -v30
	v_fmac_f32_e32 v31, v41, v46
	v_add_f32_e32 v18, v18, v34
	v_add_f32_e32 v16, v16, v30
	v_add_f32_e32 v30, v50, v31
	v_mul_f32_e32 v31, v41, v49
	v_mul_f32_e32 v34, v40, v49
	v_fma_f32 v31, v40, v48, -v31
	v_fmac_f32_e32 v34, v41, v48
	v_add_f32_e32 v31, v38, v31
	v_add_f32_e32 v38, v39, v34
	v_mul_f32_e32 v34, v33, v47
	v_add_f32_e32 v24, v24, v35
	v_fma_f32 v34, v32, v46, -v34
	v_mul_f32_e32 v35, v32, v47
	v_fmac_f32_e32 v35, v33, v46
	v_add_f32_e32 v22, v22, v34
	v_mul_f32_e32 v34, v33, v49
	v_add_f32_e32 v24, v24, v35
	v_fma_f32 v39, v32, v48, -v34
	ds_read2_b64 v[34:37], v23 offset0:64 offset1:80
	v_mul_f32_e32 v32, v32, v49
	v_fmac_f32_e32 v32, v33, v48
	v_add_f32_e32 v18, v18, v39
	v_add_f32_e32 v20, v20, v32
	s_waitcnt lgkmcnt(0)
	v_mul_f32_e32 v33, v42, v35
	v_fmac_f32_e32 v33, v43, v34
	v_add_f32_e32 v39, v30, v33
	v_mul_f32_e32 v30, v43, v37
	v_mul_f32_e32 v32, v43, v35
	v_fma_f32 v30, v42, v36, -v30
	v_fma_f32 v32, v42, v34, -v32
	v_add_f32_e32 v40, v31, v30
	v_mul_f32_e32 v30, v27, v35
	v_add_f32_e32 v16, v16, v32
	v_mul_f32_e32 v32, v42, v37
	v_fma_f32 v30, v26, v34, -v30
	v_mul_f32_e32 v31, v26, v35
	v_fmac_f32_e32 v32, v43, v36
	v_fmac_f32_e32 v31, v27, v34
	v_add_f32_e32 v22, v22, v30
	v_mul_f32_e32 v30, v27, v37
	v_add_f32_e32 v38, v38, v32
	v_add_f32_e32 v24, v24, v31
	v_fma_f32 v34, v26, v36, -v30
	ds_read2_b64 v[30:33], v23 offset0:96 offset1:112
	v_mul_f32_e32 v26, v26, v37
	v_fmac_f32_e32 v26, v27, v36
	v_add_f32_e32 v20, v20, v26
	v_add_f32_e32 v18, v18, v34
	s_waitcnt lgkmcnt(0)
	v_mul_f32_e32 v26, v45, v31
	v_mul_f32_e32 v27, v44, v31
	v_fma_f32 v26, v44, v30, -v26
	v_fmac_f32_e32 v27, v45, v30
	v_add_f32_e32 v16, v16, v26
	v_add_f32_e32 v26, v39, v27
	v_mul_f32_e32 v27, v45, v33
	v_mul_f32_e32 v34, v44, v33
	v_fma_f32 v27, v44, v32, -v27
	v_fmac_f32_e32 v34, v45, v32
	v_add_f32_e32 v39, v40, v27
	v_add_f32_e32 v38, v38, v34
	v_mul_f32_e32 v27, v29, v31
	ds_read2_b64 v[34:37], v23 offset0:128 offset1:144
	v_fma_f32 v27, v28, v30, -v27
	v_add_f32_e32 v22, v22, v27
	v_mul_f32_e32 v27, v29, v33
	v_mul_f32_e32 v31, v28, v31
	v_fma_f32 v27, v28, v32, -v27
	v_mul_f32_e32 v28, v28, v33
	v_fmac_f32_e32 v28, v29, v32
	v_add_f32_e32 v20, v20, v28
	s_waitcnt lgkmcnt(0)
	v_mul_f32_e32 v28, v4, v35
	v_add_f32_e32 v18, v18, v27
	v_mul_f32_e32 v27, v5, v35
	v_fmac_f32_e32 v28, v5, v34
	v_fma_f32 v27, v4, v34, -v27
	v_add_f32_e32 v42, v26, v28
	v_mul_f32_e32 v26, v5, v37
	v_fmac_f32_e32 v31, v29, v30
	v_add_f32_e32 v16, v16, v27
	v_fma_f32 v30, v4, v36, -v26
	ds_read_b128 v[26:29], v25 offset:1056
	v_mul_f32_e32 v4, v4, v37
	v_fmac_f32_e32 v4, v5, v36
	v_add_f32_e32 v5, v39, v30
	v_add_f32_e32 v4, v38, v4
	ds_read_b128 v[38:41], v25 offset:1072
	s_waitcnt lgkmcnt(1)
	v_mul_f32_e32 v30, v27, v35
	v_add_f32_e32 v24, v24, v31
	v_fma_f32 v30, v26, v34, -v30
	v_mul_f32_e32 v31, v26, v35
	v_fmac_f32_e32 v31, v27, v34
	v_add_f32_e32 v22, v22, v30
	v_mul_f32_e32 v30, v27, v37
	v_add_f32_e32 v24, v24, v31
	v_fma_f32 v34, v26, v36, -v30
	ds_read2_b64 v[30:33], v23 offset0:160 offset1:176
	v_mul_f32_e32 v26, v26, v37
	v_fmac_f32_e32 v26, v27, v36
	v_add_f32_e32 v20, v20, v26
	v_add_f32_e32 v18, v18, v34
	s_waitcnt lgkmcnt(0)
	v_mul_f32_e32 v26, v7, v31
	v_mul_f32_e32 v27, v6, v31
	v_fma_f32 v26, v6, v30, -v26
	v_fmac_f32_e32 v27, v7, v30
	v_add_f32_e32 v16, v16, v26
	v_add_f32_e32 v26, v42, v27
	v_mul_f32_e32 v27, v7, v33
	v_fma_f32 v27, v6, v32, -v27
	v_mul_f32_e32 v6, v6, v33
	v_fmac_f32_e32 v6, v7, v32
	v_add_f32_e32 v34, v4, v6
	v_mul_f32_e32 v4, v29, v31
	v_add_f32_e32 v27, v5, v27
	v_fma_f32 v4, v28, v30, -v4
	v_mul_f32_e32 v5, v28, v31
	v_fmac_f32_e32 v5, v29, v30
	v_add_f32_e32 v22, v22, v4
	v_mul_f32_e32 v4, v29, v33
	v_add_f32_e32 v24, v24, v5
	v_fma_f32 v30, v28, v32, -v4
	ds_read2_b64 v[4:7], v23 offset0:192 offset1:208
	v_mul_f32_e32 v28, v28, v33
	v_fmac_f32_e32 v28, v29, v32
	v_add_f32_e32 v20, v20, v28
	v_add_f32_e32 v18, v18, v30
	s_waitcnt lgkmcnt(0)
	v_mul_f32_e32 v28, v1, v5
	v_fma_f32 v28, v0, v4, -v28
	v_add_f32_e32 v16, v16, v28
	v_mul_f32_e32 v28, v1, v7
	v_mul_f32_e32 v29, v0, v5
	v_fma_f32 v28, v0, v6, -v28
	v_mul_f32_e32 v0, v0, v7
	v_fmac_f32_e32 v0, v1, v6
	v_add_f32_e32 v0, v34, v0
	ds_read2_b64 v[34:37], v23 offset0:224 offset1:240
	v_fmac_f32_e32 v29, v1, v4
	v_add_f32_e32 v1, v27, v28
	v_mul_f32_e32 v27, v39, v5
	v_fma_f32 v27, v38, v4, -v27
	v_mul_f32_e32 v5, v38, v5
	v_fmac_f32_e32 v5, v39, v4
	v_add_f32_e32 v4, v22, v27
	v_mul_f32_e32 v22, v39, v7
	v_fma_f32 v22, v38, v6, -v22
	v_mul_f32_e32 v7, v38, v7
	v_fmac_f32_e32 v7, v39, v6
	v_add_f32_e32 v6, v18, v22
	s_waitcnt lgkmcnt(0)
	v_mul_f32_e32 v18, v3, v35
	v_fma_f32 v18, v2, v34, -v18
	v_add_f32_e32 v30, v16, v18
	v_mul_f32_e32 v16, v3, v37
	v_add_f32_e32 v7, v20, v7
	v_mul_f32_e32 v20, v2, v35
	v_fma_f32 v16, v2, v36, -v16
	v_mul_f32_e32 v2, v2, v37
	v_add_f32_e32 v26, v26, v29
	v_fmac_f32_e32 v20, v3, v34
	v_fmac_f32_e32 v2, v3, v36
	v_add_f32_e32 v32, v26, v20
	v_add_f32_e32 v26, v1, v16
	v_add_f32_e32 v28, v0, v2
	v_mul_f32_e32 v0, v41, v35
	v_mul_f32_e32 v1, v40, v35
	v_add_f32_e32 v5, v24, v5
	v_fma_f32 v0, v40, v34, -v0
	v_fmac_f32_e32 v1, v41, v34
	v_add_f32_e32 v22, v4, v0
	v_add_f32_e32 v24, v5, v1
	v_mul_f32_e32 v0, v41, v37
	v_mul_f32_e32 v1, v40, v37
	v_fma_f32 v0, v40, v36, -v0
	v_fmac_f32_e32 v1, v41, v36
	s_addc_u32 s11, s11, 0
	v_add_f32_e32 v18, v6, v0
	v_add_f32_e32 v20, v7, v1
	v_mov_b64_e32 v[0:1], s[10:11]
	v_cmp_gt_i64_e32 vcc, s[16:17], v[0:1]
	s_barrier
	s_cbranch_vccz .LBB239_16
.LBB239_8:                              ; =>This Inner Loop Header: Depth=1
	v_mov_b32_e32 v0, 0
	v_mov_b32_e32 v1, 0
	s_and_saveexec_b64 s[20:21], s[2:3]
	s_cbranch_execz .LBB239_12
; %bb.9:                                ;   in Loop: Header=BB239_8 Depth=1
	v_add_u32_e32 v16, s10, v10
	v_cmp_gt_u64_e32 vcc, s[16:17], v[16:17]
	v_mov_b32_e32 v1, 0
	v_mov_b32_e32 v0, 0
	s_and_saveexec_b64 s[22:23], vcc
	s_cbranch_execz .LBB239_11
; %bb.10:                               ;   in Loop: Header=BB239_8 Depth=1
	v_lshl_add_u64 v[0:1], v[16:17], 3, v[12:13]
	global_load_dwordx2 v[0:1], v[0:1], off
.LBB239_11:                             ;   in Loop: Header=BB239_8 Depth=1
	s_or_b64 exec, exec, s[22:23]
.LBB239_12:                             ;   in Loop: Header=BB239_8 Depth=1
	s_or_b64 exec, exec, s[20:21]
	v_add_u32_e32 v16, s10, v8
	v_cmp_le_u64_e32 vcc, s[16:17], v[16:17]
	s_or_b64 s[20:21], vcc, s[18:19]
	s_waitcnt vmcnt(0)
	ds_write_b64 v19, v[0:1]
	s_and_saveexec_b64 s[22:23], s[20:21]
	s_xor_b64 s[20:21], exec, s[22:23]
; %bb.13:                               ;   in Loop: Header=BB239_8 Depth=1
	ds_write_b32 v21, v17
; %bb.14:                               ;   in Loop: Header=BB239_8 Depth=1
	s_or_saveexec_b64 s[20:21], s[20:21]
	v_mov_b32_e32 v0, 0
	s_xor_b64 exec, exec, s[20:21]
	s_cbranch_execz .LBB239_7
; %bb.15:                               ;   in Loop: Header=BB239_8 Depth=1
	v_mad_u64_u32 v[0:1], s[22:23], s8, v16, 0
	v_mov_b32_e32 v2, v1
	v_mad_u64_u32 v[2:3], s[22:23], s9, v16, v[2:3]
	v_mov_b32_e32 v1, v2
	v_lshl_add_u64 v[0:1], v[0:1], 3, v[14:15]
	global_load_dwordx2 v[2:3], v[0:1], off
	s_waitcnt vmcnt(0)
	v_xor_b32_e32 v0, 0x80000000, v3
	ds_write_b32 v21, v2
	s_branch .LBB239_7
.LBB239_16:
	s_load_dwordx2 s[2:3], s[0:1], 0x60
	s_load_dwordx4 s[8:11], s[0:1], 0x50
	v_add_u32_e32 v10, s25, v9
	v_ashrrev_i32_e32 v1, 31, v10
	v_add_u32_e32 v0, s5, v11
	s_waitcnt lgkmcnt(0)
	s_mul_i32 s1, s3, s4
	s_mul_hi_u32 s3, s2, s4
	s_mul_i32 s0, s2, s4
	s_add_i32 s1, s3, s1
	s_lshl_b64 s[0:1], s[0:1], 3
	s_add_u32 s4, s8, s0
	s_addc_u32 s5, s9, s1
	v_cmp_neq_f32_e64 s[0:1], s6, 0
	s_xor_b64 s[8:9], s[14:15], -1
	v_mul_lo_u32 v1, s10, v1
	v_mul_lo_u32 v4, s11, v10
	v_mad_u64_u32 v[2:3], s[14:15], s10, v10, 0
	v_add3_u32 v3, v3, v1, v4
	s_or_b64 s[0:1], s[0:1], s[8:9]
	v_cmp_gt_i32_e64 s[2:3], s24, v10
	v_lshl_add_u64 v[4:5], v[2:3], 3, s[4:5]
	v_cmp_le_i32_e32 vcc, v0, v10
	v_cndmask_b32_e64 v2, 0, 1, s[0:1]
	s_and_b64 s[14:15], s[2:3], vcc
	v_ashrrev_i32_e32 v1, 31, v0
	v_cmp_ne_u32_e64 s[0:1], 1, v2
	s_and_saveexec_b64 s[8:9], s[14:15]
	s_cbranch_execz .LBB239_20
; %bb.17:
	v_pk_mul_f32 v[6:7], v[32:33], s[12:13] op_sel:[0,1] op_sel_hi:[0,0]
	v_pk_fma_f32 v[2:3], v[30:31], s[12:13], v[6:7] op_sel_hi:[0,1,1] neg_lo:[0,0,1] neg_hi:[0,0,1]
	v_pk_fma_f32 v[8:9], v[30:31], s[12:13], v[6:7] op_sel_hi:[0,1,1]
	s_and_b64 vcc, exec, s[0:1]
	v_lshl_add_u64 v[6:7], v[0:1], 3, v[4:5]
	s_cbranch_vccnz .LBB239_19
; %bb.18:
	global_load_dwordx2 v[12:13], v[6:7], off
	s_mov_b32 s14, s7
	v_mov_b32_e32 v3, v9
	s_waitcnt vmcnt(0)
	v_pk_mul_f32 v[8:9], v[12:13], s[14:15] op_sel:[1,0] op_sel_hi:[0,0]
	v_pk_fma_f32 v[14:15], v[12:13], s[6:7], v[8:9] neg_lo:[0,0,1] neg_hi:[0,0,1]
	v_pk_fma_f32 v[8:9], v[12:13], s[6:7], v[8:9] op_sel_hi:[1,0,1]
	s_nop 0
	v_mov_b32_e32 v15, v9
	v_pk_add_f32 v[2:3], v[2:3], v[14:15]
	s_nop 0
	v_mov_b32_e32 v9, v3
.LBB239_19:
	v_mov_b32_e32 v3, v9
	global_store_dwordx2 v[6:7], v[2:3], off
.LBB239_20:
	s_or_b64 exec, exec, s[8:9]
	v_add_u32_e32 v2, 16, v0
	v_cmp_le_i32_e32 vcc, v2, v10
	s_and_b64 s[8:9], s[2:3], vcc
	v_ashrrev_i32_e32 v3, 31, v2
	s_and_saveexec_b64 s[2:3], s[8:9]
	s_cbranch_execz .LBB239_24
; %bb.21:
	v_pk_mul_f32 v[8:9], v[28:29], s[12:13] op_sel:[0,1] op_sel_hi:[0,0]
	v_pk_fma_f32 v[6:7], v[26:27], s[12:13], v[8:9] op_sel_hi:[0,1,1] neg_lo:[0,0,1] neg_hi:[0,0,1]
	v_pk_fma_f32 v[8:9], v[26:27], s[12:13], v[8:9] op_sel_hi:[0,1,1]
	s_and_b64 vcc, exec, s[0:1]
	v_lshl_add_u64 v[4:5], v[2:3], 3, v[4:5]
	s_cbranch_vccnz .LBB239_23
; %bb.22:
	global_load_dwordx2 v[12:13], v[4:5], off
	s_mov_b32 s8, s7
	v_mov_b32_e32 v7, v9
	s_waitcnt vmcnt(0)
	v_pk_mul_f32 v[8:9], v[12:13], s[8:9] op_sel:[1,0] op_sel_hi:[0,0]
	v_pk_fma_f32 v[14:15], v[12:13], s[6:7], v[8:9] neg_lo:[0,0,1] neg_hi:[0,0,1]
	v_pk_fma_f32 v[8:9], v[12:13], s[6:7], v[8:9] op_sel_hi:[1,0,1]
	s_nop 0
	v_mov_b32_e32 v15, v9
	v_pk_add_f32 v[6:7], v[6:7], v[14:15]
	s_nop 0
	v_mov_b32_e32 v9, v7
.LBB239_23:
	v_mov_b32_e32 v7, v9
	global_store_dwordx2 v[4:5], v[6:7], off
.LBB239_24:
	s_or_b64 exec, exec, s[2:3]
	v_add_u32_e32 v10, 16, v10
	v_ashrrev_i32_e32 v4, 31, v10
	v_mul_lo_u32 v6, s10, v4
	v_mul_lo_u32 v7, s11, v10
	v_mad_u64_u32 v[4:5], s[8:9], s10, v10, 0
	v_cmp_gt_i32_e64 s[2:3], s24, v10
	v_add3_u32 v5, v5, v6, v7
	v_cmp_le_i32_e32 vcc, v0, v10
	v_lshl_add_u64 v[4:5], v[4:5], 3, s[4:5]
	s_and_b64 s[8:9], s[2:3], vcc
	s_and_saveexec_b64 s[4:5], s[8:9]
	s_cbranch_execz .LBB239_28
; %bb.25:
	v_pk_mul_f32 v[8:9], v[24:25], s[12:13] op_sel:[0,1] op_sel_hi:[0,0]
	v_pk_fma_f32 v[6:7], v[22:23], s[12:13], v[8:9] op_sel_hi:[0,1,1] neg_lo:[0,0,1] neg_hi:[0,0,1]
	v_pk_fma_f32 v[8:9], v[22:23], s[12:13], v[8:9] op_sel_hi:[0,1,1]
	s_and_b64 vcc, exec, s[0:1]
	v_lshl_add_u64 v[0:1], v[0:1], 3, v[4:5]
	s_cbranch_vccnz .LBB239_27
; %bb.26:
	global_load_dwordx2 v[12:13], v[0:1], off
	s_mov_b32 s8, s7
	v_mov_b32_e32 v7, v9
	s_waitcnt vmcnt(0)
	v_pk_mul_f32 v[8:9], v[12:13], s[8:9] op_sel:[1,0] op_sel_hi:[0,0]
	v_pk_fma_f32 v[14:15], v[12:13], s[6:7], v[8:9] neg_lo:[0,0,1] neg_hi:[0,0,1]
	v_pk_fma_f32 v[8:9], v[12:13], s[6:7], v[8:9] op_sel_hi:[1,0,1]
	s_nop 0
	v_mov_b32_e32 v15, v9
	v_pk_add_f32 v[6:7], v[6:7], v[14:15]
	s_nop 0
	v_mov_b32_e32 v9, v7
.LBB239_27:
	v_mov_b32_e32 v7, v9
	global_store_dwordx2 v[0:1], v[6:7], off
.LBB239_28:
	s_or_b64 exec, exec, s[4:5]
	v_cmp_le_i32_e32 vcc, v2, v10
	s_and_b64 s[2:3], s[2:3], vcc
	s_and_saveexec_b64 s[4:5], s[2:3]
	s_cbranch_execz .LBB239_32
; %bb.29:
	v_pk_mul_f32 v[6:7], v[20:21], s[12:13] op_sel:[0,1] op_sel_hi:[0,0]
	v_pk_fma_f32 v[0:1], v[18:19], s[12:13], v[6:7] op_sel_hi:[0,1,1] neg_lo:[0,0,1] neg_hi:[0,0,1]
	v_pk_fma_f32 v[6:7], v[18:19], s[12:13], v[6:7] op_sel_hi:[0,1,1]
	s_and_b64 vcc, exec, s[0:1]
	v_lshl_add_u64 v[2:3], v[2:3], 3, v[4:5]
	s_cbranch_vccnz .LBB239_31
; %bb.30:
	global_load_dwordx2 v[4:5], v[2:3], off
	s_mov_b32 s0, s7
	v_mov_b32_e32 v1, v7
	s_waitcnt vmcnt(0)
	v_pk_mul_f32 v[6:7], v[4:5], s[0:1] op_sel:[1,0] op_sel_hi:[0,0]
	v_pk_fma_f32 v[8:9], v[4:5], s[6:7], v[6:7] neg_lo:[0,0,1] neg_hi:[0,0,1]
	v_pk_fma_f32 v[4:5], v[4:5], s[6:7], v[6:7] op_sel_hi:[1,0,1]
	s_nop 0
	v_mov_b32_e32 v9, v5
	v_pk_add_f32 v[0:1], v[0:1], v[8:9]
	s_nop 0
	v_mov_b32_e32 v7, v1
.LBB239_31:
	v_mov_b32_e32 v1, v7
	global_store_dwordx2 v[2:3], v[0:1], off
.LBB239_32:
	s_endpgm
	.section	.rodata,"a",@progbits
	.p2align	6, 0x0
	.amdhsa_kernel _ZL29rocblas_internal_gemmt_kernelIlLi16ELi32ELi8ELc84ELc67ELc85ELb0ELb1E19rocblas_complex_numIfES1_PKS1_PS1_EviT_T9_T10_S5_lS7_S5_lS6_T11_S5_li
		.amdhsa_group_segment_fixed_size 4096
		.amdhsa_private_segment_fixed_size 0
		.amdhsa_kernarg_size 108
		.amdhsa_user_sgpr_count 2
		.amdhsa_user_sgpr_dispatch_ptr 0
		.amdhsa_user_sgpr_queue_ptr 0
		.amdhsa_user_sgpr_kernarg_segment_ptr 1
		.amdhsa_user_sgpr_dispatch_id 0
		.amdhsa_user_sgpr_kernarg_preload_length 0
		.amdhsa_user_sgpr_kernarg_preload_offset 0
		.amdhsa_user_sgpr_private_segment_size 0
		.amdhsa_uses_dynamic_stack 0
		.amdhsa_enable_private_segment 0
		.amdhsa_system_sgpr_workgroup_id_x 1
		.amdhsa_system_sgpr_workgroup_id_y 1
		.amdhsa_system_sgpr_workgroup_id_z 1
		.amdhsa_system_sgpr_workgroup_info 0
		.amdhsa_system_vgpr_workitem_id 1
		.amdhsa_next_free_vgpr 51
		.amdhsa_next_free_sgpr 44
		.amdhsa_accum_offset 52
		.amdhsa_reserve_vcc 1
		.amdhsa_float_round_mode_32 0
		.amdhsa_float_round_mode_16_64 0
		.amdhsa_float_denorm_mode_32 3
		.amdhsa_float_denorm_mode_16_64 3
		.amdhsa_dx10_clamp 1
		.amdhsa_ieee_mode 1
		.amdhsa_fp16_overflow 0
		.amdhsa_tg_split 0
		.amdhsa_exception_fp_ieee_invalid_op 0
		.amdhsa_exception_fp_denorm_src 0
		.amdhsa_exception_fp_ieee_div_zero 0
		.amdhsa_exception_fp_ieee_overflow 0
		.amdhsa_exception_fp_ieee_underflow 0
		.amdhsa_exception_fp_ieee_inexact 0
		.amdhsa_exception_int_div_zero 0
	.end_amdhsa_kernel
	.section	.text._ZL29rocblas_internal_gemmt_kernelIlLi16ELi32ELi8ELc84ELc67ELc85ELb0ELb1E19rocblas_complex_numIfES1_PKS1_PS1_EviT_T9_T10_S5_lS7_S5_lS6_T11_S5_li,"axG",@progbits,_ZL29rocblas_internal_gemmt_kernelIlLi16ELi32ELi8ELc84ELc67ELc85ELb0ELb1E19rocblas_complex_numIfES1_PKS1_PS1_EviT_T9_T10_S5_lS7_S5_lS6_T11_S5_li,comdat
.Lfunc_end239:
	.size	_ZL29rocblas_internal_gemmt_kernelIlLi16ELi32ELi8ELc84ELc67ELc85ELb0ELb1E19rocblas_complex_numIfES1_PKS1_PS1_EviT_T9_T10_S5_lS7_S5_lS6_T11_S5_li, .Lfunc_end239-_ZL29rocblas_internal_gemmt_kernelIlLi16ELi32ELi8ELc84ELc67ELc85ELb0ELb1E19rocblas_complex_numIfES1_PKS1_PS1_EviT_T9_T10_S5_lS7_S5_lS6_T11_S5_li
                                        ; -- End function
	.set _ZL29rocblas_internal_gemmt_kernelIlLi16ELi32ELi8ELc84ELc67ELc85ELb0ELb1E19rocblas_complex_numIfES1_PKS1_PS1_EviT_T9_T10_S5_lS7_S5_lS6_T11_S5_li.num_vgpr, 51
	.set _ZL29rocblas_internal_gemmt_kernelIlLi16ELi32ELi8ELc84ELc67ELc85ELb0ELb1E19rocblas_complex_numIfES1_PKS1_PS1_EviT_T9_T10_S5_lS7_S5_lS6_T11_S5_li.num_agpr, 0
	.set _ZL29rocblas_internal_gemmt_kernelIlLi16ELi32ELi8ELc84ELc67ELc85ELb0ELb1E19rocblas_complex_numIfES1_PKS1_PS1_EviT_T9_T10_S5_lS7_S5_lS6_T11_S5_li.numbered_sgpr, 44
	.set _ZL29rocblas_internal_gemmt_kernelIlLi16ELi32ELi8ELc84ELc67ELc85ELb0ELb1E19rocblas_complex_numIfES1_PKS1_PS1_EviT_T9_T10_S5_lS7_S5_lS6_T11_S5_li.num_named_barrier, 0
	.set _ZL29rocblas_internal_gemmt_kernelIlLi16ELi32ELi8ELc84ELc67ELc85ELb0ELb1E19rocblas_complex_numIfES1_PKS1_PS1_EviT_T9_T10_S5_lS7_S5_lS6_T11_S5_li.private_seg_size, 0
	.set _ZL29rocblas_internal_gemmt_kernelIlLi16ELi32ELi8ELc84ELc67ELc85ELb0ELb1E19rocblas_complex_numIfES1_PKS1_PS1_EviT_T9_T10_S5_lS7_S5_lS6_T11_S5_li.uses_vcc, 1
	.set _ZL29rocblas_internal_gemmt_kernelIlLi16ELi32ELi8ELc84ELc67ELc85ELb0ELb1E19rocblas_complex_numIfES1_PKS1_PS1_EviT_T9_T10_S5_lS7_S5_lS6_T11_S5_li.uses_flat_scratch, 0
	.set _ZL29rocblas_internal_gemmt_kernelIlLi16ELi32ELi8ELc84ELc67ELc85ELb0ELb1E19rocblas_complex_numIfES1_PKS1_PS1_EviT_T9_T10_S5_lS7_S5_lS6_T11_S5_li.has_dyn_sized_stack, 0
	.set _ZL29rocblas_internal_gemmt_kernelIlLi16ELi32ELi8ELc84ELc67ELc85ELb0ELb1E19rocblas_complex_numIfES1_PKS1_PS1_EviT_T9_T10_S5_lS7_S5_lS6_T11_S5_li.has_recursion, 0
	.set _ZL29rocblas_internal_gemmt_kernelIlLi16ELi32ELi8ELc84ELc67ELc85ELb0ELb1E19rocblas_complex_numIfES1_PKS1_PS1_EviT_T9_T10_S5_lS7_S5_lS6_T11_S5_li.has_indirect_call, 0
	.section	.AMDGPU.csdata,"",@progbits
; Kernel info:
; codeLenInByte = 2572
; TotalNumSgprs: 50
; NumVgprs: 51
; NumAgprs: 0
; TotalNumVgprs: 51
; ScratchSize: 0
; MemoryBound: 0
; FloatMode: 240
; IeeeMode: 1
; LDSByteSize: 4096 bytes/workgroup (compile time only)
; SGPRBlocks: 6
; VGPRBlocks: 6
; NumSGPRsForWavesPerEU: 50
; NumVGPRsForWavesPerEU: 51
; AccumOffset: 52
; Occupancy: 8
; WaveLimiterHint : 0
; COMPUTE_PGM_RSRC2:SCRATCH_EN: 0
; COMPUTE_PGM_RSRC2:USER_SGPR: 2
; COMPUTE_PGM_RSRC2:TRAP_HANDLER: 0
; COMPUTE_PGM_RSRC2:TGID_X_EN: 1
; COMPUTE_PGM_RSRC2:TGID_Y_EN: 1
; COMPUTE_PGM_RSRC2:TGID_Z_EN: 1
; COMPUTE_PGM_RSRC2:TIDIG_COMP_CNT: 1
; COMPUTE_PGM_RSRC3_GFX90A:ACCUM_OFFSET: 12
; COMPUTE_PGM_RSRC3_GFX90A:TG_SPLIT: 0
	.section	.text._ZL29rocblas_internal_gemmt_kernelIlLi16ELi32ELi8ELc67ELc78ELc85ELb1ELb0E19rocblas_complex_numIfES1_PKS1_PS1_EviT_T9_T10_S5_lS7_S5_lS6_T11_S5_li,"axG",@progbits,_ZL29rocblas_internal_gemmt_kernelIlLi16ELi32ELi8ELc67ELc78ELc85ELb1ELb0E19rocblas_complex_numIfES1_PKS1_PS1_EviT_T9_T10_S5_lS7_S5_lS6_T11_S5_li,comdat
	.globl	_ZL29rocblas_internal_gemmt_kernelIlLi16ELi32ELi8ELc67ELc78ELc85ELb1ELb0E19rocblas_complex_numIfES1_PKS1_PS1_EviT_T9_T10_S5_lS7_S5_lS6_T11_S5_li ; -- Begin function _ZL29rocblas_internal_gemmt_kernelIlLi16ELi32ELi8ELc67ELc78ELc85ELb1ELb0E19rocblas_complex_numIfES1_PKS1_PS1_EviT_T9_T10_S5_lS7_S5_lS6_T11_S5_li
	.p2align	8
	.type	_ZL29rocblas_internal_gemmt_kernelIlLi16ELi32ELi8ELc67ELc78ELc85ELb1ELb0E19rocblas_complex_numIfES1_PKS1_PS1_EviT_T9_T10_S5_lS7_S5_lS6_T11_S5_li,@function
_ZL29rocblas_internal_gemmt_kernelIlLi16ELi32ELi8ELc67ELc78ELc85ELb1ELb0E19rocblas_complex_numIfES1_PKS1_PS1_EviT_T9_T10_S5_lS7_S5_lS6_T11_S5_li: ; @_ZL29rocblas_internal_gemmt_kernelIlLi16ELi32ELi8ELc67ELc78ELc85ELb1ELb0E19rocblas_complex_numIfES1_PKS1_PS1_EviT_T9_T10_S5_lS7_S5_lS6_T11_S5_li
; %bb.0:
	s_load_dwordx2 s[12:13], s[0:1], 0x48
	s_load_dwordx2 s[14:15], s[0:1], 0x10
	s_waitcnt lgkmcnt(0)
	s_and_b32 s5, s13, 0x7fffffff
	s_cmp_eq_u32 s5, 0
	v_cmp_eq_f32_e64 s[6:7], s12, 1.0
	s_cselect_b64 s[16:17], -1, 0
	s_and_b64 s[6:7], s[6:7], s[16:17]
	s_and_b64 vcc, exec, s[6:7]
	s_cbranch_vccnz .LBB240_2
; %bb.1:
	s_mov_b64 s[6:7], -1
	s_load_dwordx2 s[8:9], s[0:1], 0x8
	s_cbranch_execz .LBB240_3
	s_branch .LBB240_4
.LBB240_2:
	s_mov_b64 s[6:7], 0
	s_load_dwordx2 s[8:9], s[0:1], 0x8
.LBB240_3:
	s_waitcnt lgkmcnt(0)
	s_cmp_lg_u64 s[8:9], 0
	v_cmp_neq_f32_e64 s[10:11], s14, 0
	v_cmp_neq_f32_e64 s[18:19], s15, 0
	s_cselect_b64 s[6:7], -1, 0
	s_or_b64 s[10:11], s[10:11], s[18:19]
	s_and_b64 s[6:7], s[6:7], s[10:11]
.LBB240_4:
	s_andn2_b64 vcc, exec, s[6:7]
	s_cbranch_vccnz .LBB240_32
; %bb.5:
	s_load_dword s26, s[0:1], 0x0
	s_lshl_b32 s5, s2, 5
	s_lshl_b32 s27, s3, 5
	v_cmp_eq_f32_e64 s[2:3], s14, 0
	v_cmp_eq_f32_e64 s[6:7], s15, 0
	s_and_b64 s[2:3], s[2:3], s[6:7]
	s_waitcnt lgkmcnt(0)
	v_cmp_lt_i64_e64 s[6:7], s[8:9], 1
	s_or_b64 s[2:3], s[2:3], s[6:7]
	v_and_b32_e32 v11, 0x3ff, v0
	v_bfe_u32 v9, v0, 10, 10
	v_mov_b32_e32 v32, 0
	s_and_b64 vcc, exec, s[2:3]
	v_mov_b32_e32 v34, 0
	v_mov_b32_e32 v28, 0
	;; [unrolled: 1-line block ×7, first 2 shown]
	s_cbranch_vccnz .LBB240_16
; %bb.6:
	s_load_dwordx8 s[36:43], s[0:1], 0x18
	s_load_dwordx4 s[20:23], s[0:1], 0x38
	v_lshl_add_u32 v0, v9, 4, v11
	v_lshrrev_b32_e32 v10, 5, v0
	v_lshrrev_b32_e32 v2, 3, v0
	v_and_b32_e32 v0, 31, v0
	s_waitcnt lgkmcnt(0)
	s_mul_i32 s2, s23, s4
	s_mul_hi_u32 s3, s22, s4
	s_add_i32 s3, s3, s2
	s_mul_i32 s2, s22, s4
	s_lshl_b64 s[2:3], s[2:3], 3
	s_add_u32 s18, s42, s2
	s_addc_u32 s19, s43, s3
	s_mul_i32 s2, s41, s4
	s_mul_hi_u32 s3, s40, s4
	s_add_i32 s3, s3, s2
	s_mul_i32 s2, s40, s4
	s_lshl_b64 s[2:3], s[2:3], 3
	v_or_b32_e32 v1, s5, v0
	s_add_u32 s6, s36, s2
	v_lshlrev_b32_e32 v0, 3, v0
	s_addc_u32 s7, s37, s3
	v_cmp_gt_i32_e64 s[2:3], s26, v1
	v_cmp_le_i32_e64 s[10:11], s26, v1
	v_lshl_or_b32 v21, v10, 8, v0
	s_ashr_i32 s24, s5, 31
	v_mul_lo_u32 v4, s39, v1
	v_mad_u64_u32 v[0:1], s[22:23], s38, v1, 0
	s_mul_i32 s22, s38, s24
	v_and_b32_e32 v8, 7, v11
	v_add3_u32 v1, v1, s22, v4
	v_lshl_add_u64 v[12:13], v[0:1], 3, s[6:7]
	v_lshlrev_b32_e32 v0, 3, v8
	v_add_u32_e32 v3, s27, v2
	v_lshl_or_b32 v0, v2, 6, v0
	v_add_u32_e32 v23, 0x800, v0
	v_ashrrev_i32_e32 v0, 31, v3
	v_mul_lo_u32 v2, s20, v0
	v_mul_lo_u32 v4, s21, v3
	v_mad_u64_u32 v[0:1], s[20:21], s20, v3, 0
	v_add3_u32 v1, v1, v2, v4
	v_lshl_add_u64 v[14:15], v[0:1], 3, s[18:19]
	v_mov_b32_e32 v0, 0x800
	v_cmp_gt_i32_e64 s[6:7], s26, v3
	v_lshlrev_b32_e32 v25, 3, v11
	v_lshl_add_u32 v27, v9, 6, v0
	v_mov_b32_e32 v17, 0
	s_mov_b64 s[18:19], 0
	v_mov_b32_e32 v22, 0
	v_mov_b32_e32 v20, 0
	;; [unrolled: 1-line block ×8, first 2 shown]
                                        ; implicit-def: $vgpr18_vgpr19
	s_branch .LBB240_8
.LBB240_7:                              ;   in Loop: Header=BB240_8 Depth=1
	s_or_b64 exec, exec, s[20:21]
	s_waitcnt vmcnt(0)
	ds_write_b64 v23, v[2:3]
	s_waitcnt lgkmcnt(0)
	s_barrier
	ds_read2_b64 v[36:39], v25 offset1:16
	ds_read_b128 v[40:43], v27
	ds_read_b128 v[44:47], v27 offset:16
	ds_read_b128 v[4:7], v27 offset:32
	;; [unrolled: 1-line block ×3, first 2 shown]
	s_add_u32 s18, s18, 8
	s_waitcnt lgkmcnt(3)
	v_mul_f32_e32 v16, v41, v37
	v_mul_f32_e32 v29, v40, v37
	v_fma_f32 v16, v40, v36, -v16
	v_fmac_f32_e32 v29, v41, v36
	v_add_f32_e32 v16, v32, v16
	v_add_f32_e32 v52, v34, v29
	ds_read_b128 v[32:35], v27 offset:1024
	v_mul_f32_e32 v29, v41, v39
	v_mul_f32_e32 v31, v40, v39
	v_fma_f32 v29, v40, v38, -v29
	v_fmac_f32_e32 v31, v41, v38
	v_add_f32_e32 v40, v28, v29
	v_add_f32_e32 v41, v30, v31
	ds_read_b128 v[28:31], v27 offset:1040
	s_waitcnt lgkmcnt(1)
	v_mul_f32_e32 v48, v33, v37
	v_fma_f32 v48, v32, v36, -v48
	v_add_f32_e32 v24, v24, v48
	ds_read2_b64 v[48:51], v25 offset0:32 offset1:48
	v_mul_f32_e32 v37, v32, v37
	v_fmac_f32_e32 v37, v33, v36
	v_mul_f32_e32 v36, v33, v39
	v_fma_f32 v36, v32, v38, -v36
	v_mul_f32_e32 v32, v32, v39
	v_fmac_f32_e32 v32, v33, v38
	v_add_f32_e32 v22, v22, v32
	s_waitcnt lgkmcnt(0)
	v_mul_f32_e32 v32, v43, v49
	v_mul_f32_e32 v33, v42, v49
	v_fma_f32 v32, v42, v48, -v32
	v_fmac_f32_e32 v33, v43, v48
	v_add_f32_e32 v20, v20, v36
	v_add_f32_e32 v16, v16, v32
	;; [unrolled: 1-line block ×3, first 2 shown]
	v_mul_f32_e32 v33, v43, v51
	v_mul_f32_e32 v36, v42, v51
	v_fma_f32 v33, v42, v50, -v33
	v_fmac_f32_e32 v36, v43, v50
	v_add_f32_e32 v33, v40, v33
	v_add_f32_e32 v40, v41, v36
	v_mul_f32_e32 v36, v35, v49
	v_add_f32_e32 v26, v26, v37
	v_fma_f32 v36, v34, v48, -v36
	v_mul_f32_e32 v37, v34, v49
	v_fmac_f32_e32 v37, v35, v48
	v_add_f32_e32 v24, v24, v36
	v_mul_f32_e32 v36, v35, v51
	v_add_f32_e32 v26, v26, v37
	v_fma_f32 v41, v34, v50, -v36
	ds_read2_b64 v[36:39], v25 offset0:64 offset1:80
	v_mul_f32_e32 v34, v34, v51
	v_fmac_f32_e32 v34, v35, v50
	v_add_f32_e32 v20, v20, v41
	v_add_f32_e32 v22, v22, v34
	s_waitcnt lgkmcnt(0)
	v_mul_f32_e32 v35, v44, v37
	v_fmac_f32_e32 v35, v45, v36
	v_add_f32_e32 v41, v32, v35
	v_mul_f32_e32 v32, v45, v39
	v_mul_f32_e32 v34, v45, v37
	v_fma_f32 v32, v44, v38, -v32
	v_fma_f32 v34, v44, v36, -v34
	v_add_f32_e32 v42, v33, v32
	v_mul_f32_e32 v32, v29, v37
	v_add_f32_e32 v16, v16, v34
	v_mul_f32_e32 v34, v44, v39
	v_fma_f32 v32, v28, v36, -v32
	v_mul_f32_e32 v33, v28, v37
	v_fmac_f32_e32 v34, v45, v38
	v_fmac_f32_e32 v33, v29, v36
	v_add_f32_e32 v24, v24, v32
	v_mul_f32_e32 v32, v29, v39
	v_add_f32_e32 v40, v40, v34
	v_add_f32_e32 v26, v26, v33
	v_fma_f32 v36, v28, v38, -v32
	ds_read2_b64 v[32:35], v25 offset0:96 offset1:112
	v_mul_f32_e32 v28, v28, v39
	v_fmac_f32_e32 v28, v29, v38
	v_add_f32_e32 v22, v22, v28
	v_add_f32_e32 v20, v20, v36
	s_waitcnt lgkmcnt(0)
	v_mul_f32_e32 v28, v47, v33
	v_mul_f32_e32 v29, v46, v33
	v_fma_f32 v28, v46, v32, -v28
	v_fmac_f32_e32 v29, v47, v32
	v_add_f32_e32 v16, v16, v28
	v_add_f32_e32 v28, v41, v29
	v_mul_f32_e32 v29, v47, v35
	v_mul_f32_e32 v36, v46, v35
	v_fma_f32 v29, v46, v34, -v29
	v_fmac_f32_e32 v36, v47, v34
	v_add_f32_e32 v41, v42, v29
	v_add_f32_e32 v40, v40, v36
	v_mul_f32_e32 v29, v31, v33
	ds_read2_b64 v[36:39], v25 offset0:128 offset1:144
	v_fma_f32 v29, v30, v32, -v29
	v_add_f32_e32 v24, v24, v29
	v_mul_f32_e32 v29, v31, v35
	v_mul_f32_e32 v33, v30, v33
	v_fma_f32 v29, v30, v34, -v29
	v_mul_f32_e32 v30, v30, v35
	v_fmac_f32_e32 v30, v31, v34
	v_add_f32_e32 v22, v22, v30
	s_waitcnt lgkmcnt(0)
	v_mul_f32_e32 v30, v4, v37
	v_add_f32_e32 v20, v20, v29
	v_mul_f32_e32 v29, v5, v37
	v_fmac_f32_e32 v30, v5, v36
	v_fma_f32 v29, v4, v36, -v29
	v_add_f32_e32 v44, v28, v30
	v_mul_f32_e32 v28, v5, v39
	v_fmac_f32_e32 v33, v31, v32
	v_add_f32_e32 v16, v16, v29
	v_fma_f32 v32, v4, v38, -v28
	ds_read_b128 v[28:31], v27 offset:1056
	v_mul_f32_e32 v4, v4, v39
	v_fmac_f32_e32 v4, v5, v38
	v_add_f32_e32 v5, v41, v32
	v_add_f32_e32 v4, v40, v4
	ds_read_b128 v[40:43], v27 offset:1072
	s_waitcnt lgkmcnt(1)
	v_mul_f32_e32 v32, v29, v37
	v_add_f32_e32 v26, v26, v33
	v_fma_f32 v32, v28, v36, -v32
	v_mul_f32_e32 v33, v28, v37
	v_fmac_f32_e32 v33, v29, v36
	v_add_f32_e32 v24, v24, v32
	v_mul_f32_e32 v32, v29, v39
	v_add_f32_e32 v26, v26, v33
	v_fma_f32 v36, v28, v38, -v32
	ds_read2_b64 v[32:35], v25 offset0:160 offset1:176
	v_mul_f32_e32 v28, v28, v39
	v_fmac_f32_e32 v28, v29, v38
	v_add_f32_e32 v22, v22, v28
	v_add_f32_e32 v20, v20, v36
	s_waitcnt lgkmcnt(0)
	v_mul_f32_e32 v28, v7, v33
	v_mul_f32_e32 v29, v6, v33
	v_fma_f32 v28, v6, v32, -v28
	v_fmac_f32_e32 v29, v7, v32
	v_add_f32_e32 v16, v16, v28
	v_add_f32_e32 v28, v44, v29
	v_mul_f32_e32 v29, v7, v35
	v_fma_f32 v29, v6, v34, -v29
	v_mul_f32_e32 v6, v6, v35
	v_fmac_f32_e32 v6, v7, v34
	v_add_f32_e32 v36, v4, v6
	v_mul_f32_e32 v4, v31, v33
	v_add_f32_e32 v29, v5, v29
	v_fma_f32 v4, v30, v32, -v4
	v_mul_f32_e32 v5, v30, v33
	v_fmac_f32_e32 v5, v31, v32
	v_add_f32_e32 v24, v24, v4
	v_mul_f32_e32 v4, v31, v35
	v_add_f32_e32 v26, v26, v5
	v_fma_f32 v32, v30, v34, -v4
	ds_read2_b64 v[4:7], v25 offset0:192 offset1:208
	v_mul_f32_e32 v30, v30, v35
	v_fmac_f32_e32 v30, v31, v34
	v_add_f32_e32 v22, v22, v30
	v_add_f32_e32 v20, v20, v32
	s_waitcnt lgkmcnt(0)
	v_mul_f32_e32 v30, v1, v5
	v_fma_f32 v30, v0, v4, -v30
	v_add_f32_e32 v16, v16, v30
	v_mul_f32_e32 v30, v1, v7
	v_mul_f32_e32 v31, v0, v5
	v_fma_f32 v30, v0, v6, -v30
	v_mul_f32_e32 v0, v0, v7
	v_fmac_f32_e32 v0, v1, v6
	v_add_f32_e32 v0, v36, v0
	ds_read2_b64 v[36:39], v25 offset0:224 offset1:240
	v_fmac_f32_e32 v31, v1, v4
	v_add_f32_e32 v1, v29, v30
	v_mul_f32_e32 v29, v41, v5
	v_fma_f32 v29, v40, v4, -v29
	v_mul_f32_e32 v5, v40, v5
	v_fmac_f32_e32 v5, v41, v4
	v_add_f32_e32 v4, v24, v29
	v_mul_f32_e32 v24, v41, v7
	v_fma_f32 v24, v40, v6, -v24
	v_mul_f32_e32 v7, v40, v7
	v_fmac_f32_e32 v7, v41, v6
	v_add_f32_e32 v6, v20, v24
	s_waitcnt lgkmcnt(0)
	v_mul_f32_e32 v20, v3, v37
	v_fma_f32 v20, v2, v36, -v20
	v_add_f32_e32 v32, v16, v20
	v_mul_f32_e32 v16, v3, v39
	v_add_f32_e32 v7, v22, v7
	v_mul_f32_e32 v22, v2, v37
	v_fma_f32 v16, v2, v38, -v16
	v_mul_f32_e32 v2, v2, v39
	v_add_f32_e32 v28, v28, v31
	v_fmac_f32_e32 v22, v3, v36
	v_fmac_f32_e32 v2, v3, v38
	v_add_f32_e32 v34, v28, v22
	v_add_f32_e32 v28, v1, v16
	;; [unrolled: 1-line block ×3, first 2 shown]
	v_mul_f32_e32 v0, v43, v37
	v_mul_f32_e32 v1, v42, v37
	v_add_f32_e32 v5, v26, v5
	v_fma_f32 v0, v42, v36, -v0
	v_fmac_f32_e32 v1, v43, v36
	v_add_f32_e32 v24, v4, v0
	v_add_f32_e32 v26, v5, v1
	v_mul_f32_e32 v0, v43, v39
	v_mul_f32_e32 v1, v42, v39
	v_fma_f32 v0, v42, v38, -v0
	v_fmac_f32_e32 v1, v43, v38
	s_addc_u32 s19, s19, 0
	v_add_f32_e32 v20, v6, v0
	v_add_f32_e32 v22, v7, v1
	v_mov_b64_e32 v[0:1], s[18:19]
	v_cmp_gt_i64_e32 vcc, s[8:9], v[0:1]
	s_barrier
	s_cbranch_vccz .LBB240_16
.LBB240_8:                              ; =>This Inner Loop Header: Depth=1
	s_mov_b64 s[24:25], s[10:11]
	s_mov_b64 s[20:21], 0
	s_and_saveexec_b64 s[22:23], s[2:3]
; %bb.9:                                ;   in Loop: Header=BB240_8 Depth=1
	v_add_u32_e32 v16, s18, v10
	v_cmp_le_u64_e32 vcc, s[8:9], v[16:17]
	s_andn2_b64 s[24:25], s[10:11], exec
	s_and_b64 s[28:29], vcc, exec
	s_mov_b64 s[20:21], exec
	s_or_b64 s[24:25], s[24:25], s[28:29]
	v_mov_b64_e32 v[18:19], v[16:17]
; %bb.10:                               ;   in Loop: Header=BB240_8 Depth=1
	s_or_b64 exec, exec, s[22:23]
	s_and_saveexec_b64 s[22:23], s[24:25]
	s_xor_b64 s[22:23], exec, s[22:23]
; %bb.11:                               ;   in Loop: Header=BB240_8 Depth=1
	ds_write_b32 v21, v17
	s_andn2_b64 s[20:21], s[20:21], exec
; %bb.12:                               ;   in Loop: Header=BB240_8 Depth=1
	s_or_b64 exec, exec, s[22:23]
	v_mov_b32_e32 v2, 0
	v_mov_b32_e32 v0, 0
	s_and_saveexec_b64 s[22:23], s[20:21]
	s_cbranch_execz .LBB240_14
; %bb.13:                               ;   in Loop: Header=BB240_8 Depth=1
	v_lshl_add_u64 v[0:1], v[18:19], 3, v[12:13]
	global_load_dwordx2 v[4:5], v[0:1], off
	s_waitcnt vmcnt(0)
	v_xor_b32_e32 v0, 0x80000000, v5
	ds_write_b32 v21, v4
.LBB240_14:                             ;   in Loop: Header=BB240_8 Depth=1
	s_or_b64 exec, exec, s[22:23]
	v_add_u32_e32 v16, s18, v8
	v_cmp_gt_u64_e32 vcc, s[8:9], v[16:17]
	s_and_b64 s[22:23], vcc, s[6:7]
	v_mov_b32_e32 v3, 0
	ds_write_b32 v21, v0 offset:4
	s_and_saveexec_b64 s[20:21], s[22:23]
	s_cbranch_execz .LBB240_7
; %bb.15:                               ;   in Loop: Header=BB240_8 Depth=1
	v_lshl_add_u64 v[0:1], v[16:17], 3, v[14:15]
	global_load_dwordx2 v[2:3], v[0:1], off
	s_branch .LBB240_7
.LBB240_16:
	s_load_dwordx2 s[2:3], s[0:1], 0x60
	s_load_dwordx4 s[8:11], s[0:1], 0x50
	v_add_u32_e32 v10, s27, v9
	v_ashrrev_i32_e32 v1, 31, v10
	v_add_u32_e32 v0, s5, v11
	s_waitcnt lgkmcnt(0)
	s_mul_i32 s1, s3, s4
	s_mul_hi_u32 s3, s2, s4
	s_mul_i32 s0, s2, s4
	s_add_i32 s1, s3, s1
	s_lshl_b64 s[0:1], s[0:1], 3
	s_add_u32 s4, s8, s0
	s_addc_u32 s5, s9, s1
	v_cmp_neq_f32_e64 s[0:1], s12, 0
	s_xor_b64 s[6:7], s[16:17], -1
	v_mul_lo_u32 v1, s10, v1
	v_mul_lo_u32 v4, s11, v10
	v_mad_u64_u32 v[2:3], s[8:9], s10, v10, 0
	v_add3_u32 v3, v3, v1, v4
	s_or_b64 s[0:1], s[0:1], s[6:7]
	v_cmp_gt_i32_e64 s[2:3], s26, v10
	v_lshl_add_u64 v[4:5], v[2:3], 3, s[4:5]
	v_cmp_le_i32_e32 vcc, v0, v10
	v_cndmask_b32_e64 v2, 0, 1, s[0:1]
	s_and_b64 s[8:9], s[2:3], vcc
	v_ashrrev_i32_e32 v1, 31, v0
	v_cmp_ne_u32_e64 s[0:1], 1, v2
	s_and_saveexec_b64 s[6:7], s[8:9]
	s_cbranch_execz .LBB240_20
; %bb.17:
	v_pk_mul_f32 v[6:7], v[34:35], s[14:15] op_sel:[0,1] op_sel_hi:[0,0]
	v_pk_fma_f32 v[2:3], v[32:33], s[14:15], v[6:7] op_sel_hi:[0,1,1] neg_lo:[0,0,1] neg_hi:[0,0,1]
	v_pk_fma_f32 v[8:9], v[32:33], s[14:15], v[6:7] op_sel_hi:[0,1,1]
	s_and_b64 vcc, exec, s[0:1]
	v_lshl_add_u64 v[6:7], v[0:1], 3, v[4:5]
	s_cbranch_vccnz .LBB240_19
; %bb.18:
	global_load_dwordx2 v[12:13], v[6:7], off
	s_mov_b32 s8, s13
	v_mov_b32_e32 v3, v9
	s_waitcnt vmcnt(0)
	v_pk_mul_f32 v[8:9], v[12:13], s[8:9] op_sel:[1,0] op_sel_hi:[0,0]
	v_pk_fma_f32 v[14:15], v[12:13], s[12:13], v[8:9] neg_lo:[0,0,1] neg_hi:[0,0,1]
	v_pk_fma_f32 v[8:9], v[12:13], s[12:13], v[8:9] op_sel_hi:[1,0,1]
	s_nop 0
	v_mov_b32_e32 v15, v9
	v_pk_add_f32 v[2:3], v[2:3], v[14:15]
	s_nop 0
	v_mov_b32_e32 v9, v3
.LBB240_19:
	v_mov_b32_e32 v3, v9
	global_store_dwordx2 v[6:7], v[2:3], off
.LBB240_20:
	s_or_b64 exec, exec, s[6:7]
	v_add_u32_e32 v2, 16, v0
	v_cmp_le_i32_e32 vcc, v2, v10
	s_and_b64 s[6:7], s[2:3], vcc
	v_ashrrev_i32_e32 v3, 31, v2
	s_and_saveexec_b64 s[2:3], s[6:7]
	s_cbranch_execz .LBB240_24
; %bb.21:
	v_pk_mul_f32 v[8:9], v[30:31], s[14:15] op_sel:[0,1] op_sel_hi:[0,0]
	v_pk_fma_f32 v[6:7], v[28:29], s[14:15], v[8:9] op_sel_hi:[0,1,1] neg_lo:[0,0,1] neg_hi:[0,0,1]
	v_pk_fma_f32 v[8:9], v[28:29], s[14:15], v[8:9] op_sel_hi:[0,1,1]
	s_and_b64 vcc, exec, s[0:1]
	v_lshl_add_u64 v[4:5], v[2:3], 3, v[4:5]
	s_cbranch_vccnz .LBB240_23
; %bb.22:
	global_load_dwordx2 v[12:13], v[4:5], off
	s_mov_b32 s6, s13
	v_mov_b32_e32 v7, v9
	s_waitcnt vmcnt(0)
	v_pk_mul_f32 v[8:9], v[12:13], s[6:7] op_sel:[1,0] op_sel_hi:[0,0]
	v_pk_fma_f32 v[14:15], v[12:13], s[12:13], v[8:9] neg_lo:[0,0,1] neg_hi:[0,0,1]
	v_pk_fma_f32 v[8:9], v[12:13], s[12:13], v[8:9] op_sel_hi:[1,0,1]
	s_nop 0
	v_mov_b32_e32 v15, v9
	v_pk_add_f32 v[6:7], v[6:7], v[14:15]
	s_nop 0
	v_mov_b32_e32 v9, v7
.LBB240_23:
	v_mov_b32_e32 v7, v9
	global_store_dwordx2 v[4:5], v[6:7], off
.LBB240_24:
	s_or_b64 exec, exec, s[2:3]
	v_add_u32_e32 v10, 16, v10
	v_ashrrev_i32_e32 v4, 31, v10
	v_mul_lo_u32 v6, s10, v4
	v_mul_lo_u32 v7, s11, v10
	v_mad_u64_u32 v[4:5], s[6:7], s10, v10, 0
	v_cmp_gt_i32_e64 s[2:3], s26, v10
	v_add3_u32 v5, v5, v6, v7
	v_cmp_le_i32_e32 vcc, v0, v10
	v_lshl_add_u64 v[4:5], v[4:5], 3, s[4:5]
	s_and_b64 s[6:7], s[2:3], vcc
	s_and_saveexec_b64 s[4:5], s[6:7]
	s_cbranch_execz .LBB240_28
; %bb.25:
	v_pk_mul_f32 v[8:9], v[26:27], s[14:15] op_sel:[0,1] op_sel_hi:[0,0]
	v_pk_fma_f32 v[6:7], v[24:25], s[14:15], v[8:9] op_sel_hi:[0,1,1] neg_lo:[0,0,1] neg_hi:[0,0,1]
	v_pk_fma_f32 v[8:9], v[24:25], s[14:15], v[8:9] op_sel_hi:[0,1,1]
	s_and_b64 vcc, exec, s[0:1]
	v_lshl_add_u64 v[0:1], v[0:1], 3, v[4:5]
	s_cbranch_vccnz .LBB240_27
; %bb.26:
	global_load_dwordx2 v[12:13], v[0:1], off
	s_mov_b32 s6, s13
	v_mov_b32_e32 v7, v9
	s_waitcnt vmcnt(0)
	v_pk_mul_f32 v[8:9], v[12:13], s[6:7] op_sel:[1,0] op_sel_hi:[0,0]
	v_pk_fma_f32 v[14:15], v[12:13], s[12:13], v[8:9] neg_lo:[0,0,1] neg_hi:[0,0,1]
	v_pk_fma_f32 v[8:9], v[12:13], s[12:13], v[8:9] op_sel_hi:[1,0,1]
	s_nop 0
	v_mov_b32_e32 v15, v9
	v_pk_add_f32 v[6:7], v[6:7], v[14:15]
	s_nop 0
	v_mov_b32_e32 v9, v7
.LBB240_27:
	v_mov_b32_e32 v7, v9
	global_store_dwordx2 v[0:1], v[6:7], off
.LBB240_28:
	s_or_b64 exec, exec, s[4:5]
	v_cmp_le_i32_e32 vcc, v2, v10
	s_and_b64 s[2:3], s[2:3], vcc
	s_and_saveexec_b64 s[4:5], s[2:3]
	s_cbranch_execz .LBB240_32
; %bb.29:
	v_pk_mul_f32 v[6:7], v[22:23], s[14:15] op_sel:[0,1] op_sel_hi:[0,0]
	v_pk_fma_f32 v[0:1], v[20:21], s[14:15], v[6:7] op_sel_hi:[0,1,1] neg_lo:[0,0,1] neg_hi:[0,0,1]
	v_pk_fma_f32 v[6:7], v[20:21], s[14:15], v[6:7] op_sel_hi:[0,1,1]
	s_and_b64 vcc, exec, s[0:1]
	v_lshl_add_u64 v[2:3], v[2:3], 3, v[4:5]
	s_cbranch_vccnz .LBB240_31
; %bb.30:
	global_load_dwordx2 v[4:5], v[2:3], off
	s_mov_b32 s0, s13
	v_mov_b32_e32 v1, v7
	s_waitcnt vmcnt(0)
	v_pk_mul_f32 v[6:7], v[4:5], s[0:1] op_sel:[1,0] op_sel_hi:[0,0]
	v_pk_fma_f32 v[8:9], v[4:5], s[12:13], v[6:7] neg_lo:[0,0,1] neg_hi:[0,0,1]
	v_pk_fma_f32 v[4:5], v[4:5], s[12:13], v[6:7] op_sel_hi:[1,0,1]
	s_nop 0
	v_mov_b32_e32 v9, v5
	v_pk_add_f32 v[0:1], v[0:1], v[8:9]
	s_nop 0
	v_mov_b32_e32 v7, v1
.LBB240_31:
	v_mov_b32_e32 v1, v7
	global_store_dwordx2 v[2:3], v[0:1], off
.LBB240_32:
	s_endpgm
	.section	.rodata,"a",@progbits
	.p2align	6, 0x0
	.amdhsa_kernel _ZL29rocblas_internal_gemmt_kernelIlLi16ELi32ELi8ELc67ELc78ELc85ELb1ELb0E19rocblas_complex_numIfES1_PKS1_PS1_EviT_T9_T10_S5_lS7_S5_lS6_T11_S5_li
		.amdhsa_group_segment_fixed_size 4096
		.amdhsa_private_segment_fixed_size 0
		.amdhsa_kernarg_size 108
		.amdhsa_user_sgpr_count 2
		.amdhsa_user_sgpr_dispatch_ptr 0
		.amdhsa_user_sgpr_queue_ptr 0
		.amdhsa_user_sgpr_kernarg_segment_ptr 1
		.amdhsa_user_sgpr_dispatch_id 0
		.amdhsa_user_sgpr_kernarg_preload_length 0
		.amdhsa_user_sgpr_kernarg_preload_offset 0
		.amdhsa_user_sgpr_private_segment_size 0
		.amdhsa_uses_dynamic_stack 0
		.amdhsa_enable_private_segment 0
		.amdhsa_system_sgpr_workgroup_id_x 1
		.amdhsa_system_sgpr_workgroup_id_y 1
		.amdhsa_system_sgpr_workgroup_id_z 1
		.amdhsa_system_sgpr_workgroup_info 0
		.amdhsa_system_vgpr_workitem_id 1
		.amdhsa_next_free_vgpr 53
		.amdhsa_next_free_sgpr 44
		.amdhsa_accum_offset 56
		.amdhsa_reserve_vcc 1
		.amdhsa_float_round_mode_32 0
		.amdhsa_float_round_mode_16_64 0
		.amdhsa_float_denorm_mode_32 3
		.amdhsa_float_denorm_mode_16_64 3
		.amdhsa_dx10_clamp 1
		.amdhsa_ieee_mode 1
		.amdhsa_fp16_overflow 0
		.amdhsa_tg_split 0
		.amdhsa_exception_fp_ieee_invalid_op 0
		.amdhsa_exception_fp_denorm_src 0
		.amdhsa_exception_fp_ieee_div_zero 0
		.amdhsa_exception_fp_ieee_overflow 0
		.amdhsa_exception_fp_ieee_underflow 0
		.amdhsa_exception_fp_ieee_inexact 0
		.amdhsa_exception_int_div_zero 0
	.end_amdhsa_kernel
	.section	.text._ZL29rocblas_internal_gemmt_kernelIlLi16ELi32ELi8ELc67ELc78ELc85ELb1ELb0E19rocblas_complex_numIfES1_PKS1_PS1_EviT_T9_T10_S5_lS7_S5_lS6_T11_S5_li,"axG",@progbits,_ZL29rocblas_internal_gemmt_kernelIlLi16ELi32ELi8ELc67ELc78ELc85ELb1ELb0E19rocblas_complex_numIfES1_PKS1_PS1_EviT_T9_T10_S5_lS7_S5_lS6_T11_S5_li,comdat
.Lfunc_end240:
	.size	_ZL29rocblas_internal_gemmt_kernelIlLi16ELi32ELi8ELc67ELc78ELc85ELb1ELb0E19rocblas_complex_numIfES1_PKS1_PS1_EviT_T9_T10_S5_lS7_S5_lS6_T11_S5_li, .Lfunc_end240-_ZL29rocblas_internal_gemmt_kernelIlLi16ELi32ELi8ELc67ELc78ELc85ELb1ELb0E19rocblas_complex_numIfES1_PKS1_PS1_EviT_T9_T10_S5_lS7_S5_lS6_T11_S5_li
                                        ; -- End function
	.set _ZL29rocblas_internal_gemmt_kernelIlLi16ELi32ELi8ELc67ELc78ELc85ELb1ELb0E19rocblas_complex_numIfES1_PKS1_PS1_EviT_T9_T10_S5_lS7_S5_lS6_T11_S5_li.num_vgpr, 53
	.set _ZL29rocblas_internal_gemmt_kernelIlLi16ELi32ELi8ELc67ELc78ELc85ELb1ELb0E19rocblas_complex_numIfES1_PKS1_PS1_EviT_T9_T10_S5_lS7_S5_lS6_T11_S5_li.num_agpr, 0
	.set _ZL29rocblas_internal_gemmt_kernelIlLi16ELi32ELi8ELc67ELc78ELc85ELb1ELb0E19rocblas_complex_numIfES1_PKS1_PS1_EviT_T9_T10_S5_lS7_S5_lS6_T11_S5_li.numbered_sgpr, 44
	.set _ZL29rocblas_internal_gemmt_kernelIlLi16ELi32ELi8ELc67ELc78ELc85ELb1ELb0E19rocblas_complex_numIfES1_PKS1_PS1_EviT_T9_T10_S5_lS7_S5_lS6_T11_S5_li.num_named_barrier, 0
	.set _ZL29rocblas_internal_gemmt_kernelIlLi16ELi32ELi8ELc67ELc78ELc85ELb1ELb0E19rocblas_complex_numIfES1_PKS1_PS1_EviT_T9_T10_S5_lS7_S5_lS6_T11_S5_li.private_seg_size, 0
	.set _ZL29rocblas_internal_gemmt_kernelIlLi16ELi32ELi8ELc67ELc78ELc85ELb1ELb0E19rocblas_complex_numIfES1_PKS1_PS1_EviT_T9_T10_S5_lS7_S5_lS6_T11_S5_li.uses_vcc, 1
	.set _ZL29rocblas_internal_gemmt_kernelIlLi16ELi32ELi8ELc67ELc78ELc85ELb1ELb0E19rocblas_complex_numIfES1_PKS1_PS1_EviT_T9_T10_S5_lS7_S5_lS6_T11_S5_li.uses_flat_scratch, 0
	.set _ZL29rocblas_internal_gemmt_kernelIlLi16ELi32ELi8ELc67ELc78ELc85ELb1ELb0E19rocblas_complex_numIfES1_PKS1_PS1_EviT_T9_T10_S5_lS7_S5_lS6_T11_S5_li.has_dyn_sized_stack, 0
	.set _ZL29rocblas_internal_gemmt_kernelIlLi16ELi32ELi8ELc67ELc78ELc85ELb1ELb0E19rocblas_complex_numIfES1_PKS1_PS1_EviT_T9_T10_S5_lS7_S5_lS6_T11_S5_li.has_recursion, 0
	.set _ZL29rocblas_internal_gemmt_kernelIlLi16ELi32ELi8ELc67ELc78ELc85ELb1ELb0E19rocblas_complex_numIfES1_PKS1_PS1_EviT_T9_T10_S5_lS7_S5_lS6_T11_S5_li.has_indirect_call, 0
	.section	.AMDGPU.csdata,"",@progbits
; Kernel info:
; codeLenInByte = 2608
; TotalNumSgprs: 50
; NumVgprs: 53
; NumAgprs: 0
; TotalNumVgprs: 53
; ScratchSize: 0
; MemoryBound: 0
; FloatMode: 240
; IeeeMode: 1
; LDSByteSize: 4096 bytes/workgroup (compile time only)
; SGPRBlocks: 6
; VGPRBlocks: 6
; NumSGPRsForWavesPerEU: 50
; NumVGPRsForWavesPerEU: 53
; AccumOffset: 56
; Occupancy: 8
; WaveLimiterHint : 0
; COMPUTE_PGM_RSRC2:SCRATCH_EN: 0
; COMPUTE_PGM_RSRC2:USER_SGPR: 2
; COMPUTE_PGM_RSRC2:TRAP_HANDLER: 0
; COMPUTE_PGM_RSRC2:TGID_X_EN: 1
; COMPUTE_PGM_RSRC2:TGID_Y_EN: 1
; COMPUTE_PGM_RSRC2:TGID_Z_EN: 1
; COMPUTE_PGM_RSRC2:TIDIG_COMP_CNT: 1
; COMPUTE_PGM_RSRC3_GFX90A:ACCUM_OFFSET: 13
; COMPUTE_PGM_RSRC3_GFX90A:TG_SPLIT: 0
	.section	.text._ZL29rocblas_internal_gemmt_kernelIlLi16ELi32ELi8ELc67ELc84ELc85ELb1ELb0E19rocblas_complex_numIfES1_PKS1_PS1_EviT_T9_T10_S5_lS7_S5_lS6_T11_S5_li,"axG",@progbits,_ZL29rocblas_internal_gemmt_kernelIlLi16ELi32ELi8ELc67ELc84ELc85ELb1ELb0E19rocblas_complex_numIfES1_PKS1_PS1_EviT_T9_T10_S5_lS7_S5_lS6_T11_S5_li,comdat
	.globl	_ZL29rocblas_internal_gemmt_kernelIlLi16ELi32ELi8ELc67ELc84ELc85ELb1ELb0E19rocblas_complex_numIfES1_PKS1_PS1_EviT_T9_T10_S5_lS7_S5_lS6_T11_S5_li ; -- Begin function _ZL29rocblas_internal_gemmt_kernelIlLi16ELi32ELi8ELc67ELc84ELc85ELb1ELb0E19rocblas_complex_numIfES1_PKS1_PS1_EviT_T9_T10_S5_lS7_S5_lS6_T11_S5_li
	.p2align	8
	.type	_ZL29rocblas_internal_gemmt_kernelIlLi16ELi32ELi8ELc67ELc84ELc85ELb1ELb0E19rocblas_complex_numIfES1_PKS1_PS1_EviT_T9_T10_S5_lS7_S5_lS6_T11_S5_li,@function
_ZL29rocblas_internal_gemmt_kernelIlLi16ELi32ELi8ELc67ELc84ELc85ELb1ELb0E19rocblas_complex_numIfES1_PKS1_PS1_EviT_T9_T10_S5_lS7_S5_lS6_T11_S5_li: ; @_ZL29rocblas_internal_gemmt_kernelIlLi16ELi32ELi8ELc67ELc84ELc85ELb1ELb0E19rocblas_complex_numIfES1_PKS1_PS1_EviT_T9_T10_S5_lS7_S5_lS6_T11_S5_li
; %bb.0:
	s_load_dwordx2 s[12:13], s[0:1], 0x48
	s_load_dwordx2 s[14:15], s[0:1], 0x10
	s_waitcnt lgkmcnt(0)
	s_and_b32 s5, s13, 0x7fffffff
	s_cmp_eq_u32 s5, 0
	v_cmp_eq_f32_e64 s[6:7], s12, 1.0
	s_cselect_b64 s[16:17], -1, 0
	s_and_b64 s[6:7], s[6:7], s[16:17]
	s_and_b64 vcc, exec, s[6:7]
	s_cbranch_vccnz .LBB241_2
; %bb.1:
	s_mov_b64 s[6:7], -1
	s_load_dwordx2 s[18:19], s[0:1], 0x8
	s_cbranch_execz .LBB241_3
	s_branch .LBB241_4
.LBB241_2:
	s_mov_b64 s[6:7], 0
	s_load_dwordx2 s[18:19], s[0:1], 0x8
.LBB241_3:
	s_waitcnt lgkmcnt(0)
	s_cmp_lg_u64 s[18:19], 0
	v_cmp_neq_f32_e64 s[8:9], s14, 0
	v_cmp_neq_f32_e64 s[10:11], s15, 0
	s_cselect_b64 s[6:7], -1, 0
	s_or_b64 s[8:9], s[8:9], s[10:11]
	s_and_b64 s[6:7], s[6:7], s[8:9]
.LBB241_4:
	s_andn2_b64 vcc, exec, s[6:7]
	s_cbranch_vccnz .LBB241_32
; %bb.5:
	s_load_dword s28, s[0:1], 0x0
	s_lshl_b32 s5, s2, 5
	s_lshl_b32 s29, s3, 5
	v_cmp_eq_f32_e64 s[2:3], s14, 0
	v_cmp_eq_f32_e64 s[6:7], s15, 0
	s_and_b64 s[2:3], s[2:3], s[6:7]
	s_waitcnt lgkmcnt(0)
	v_cmp_lt_i64_e64 s[6:7], s[18:19], 1
	s_or_b64 s[2:3], s[2:3], s[6:7]
	v_and_b32_e32 v11, 0x3ff, v0
	v_bfe_u32 v9, v0, 10, 10
	v_mov_b32_e32 v32, 0
	s_and_b64 vcc, exec, s[2:3]
	v_mov_b32_e32 v34, 0
	v_mov_b32_e32 v28, 0
	;; [unrolled: 1-line block ×7, first 2 shown]
	s_cbranch_vccnz .LBB241_16
; %bb.6:
	s_load_dwordx8 s[20:27], s[0:1], 0x18
	s_load_dwordx4 s[8:11], s[0:1], 0x38
	v_lshl_add_u32 v1, v9, 4, v11
	v_lshrrev_b32_e32 v10, 5, v1
	v_lshrrev_b32_e32 v4, 3, v1
	v_and_b32_e32 v1, 31, v1
	s_waitcnt lgkmcnt(0)
	s_mul_i32 s2, s11, s4
	s_mul_hi_u32 s3, s10, s4
	s_add_i32 s3, s3, s2
	s_mul_i32 s2, s10, s4
	s_lshl_b64 s[2:3], s[2:3], 3
	s_add_u32 s26, s26, s2
	s_addc_u32 s27, s27, s3
	s_mul_i32 s2, s25, s4
	s_mul_hi_u32 s3, s24, s4
	s_add_i32 s3, s3, s2
	s_mul_i32 s2, s24, s4
	s_lshl_b64 s[2:3], s[2:3], 3
	v_or_b32_e32 v2, s5, v1
	s_add_u32 s6, s20, s2
	v_lshlrev_b32_e32 v1, 3, v1
	s_addc_u32 s7, s21, s3
	v_cmp_gt_i32_e64 s[2:3], s28, v2
	v_cmp_le_i32_e64 s[10:11], s28, v2
	v_lshl_or_b32 v21, v10, 8, v1
	s_ashr_i32 s24, s5, 31
	v_mul_lo_u32 v1, s23, v2
	v_mad_u64_u32 v[2:3], s[20:21], s22, v2, 0
	v_and_b32_e32 v8, 7, v11
	s_mul_i32 s20, s22, s24
	v_add3_u32 v3, v3, s20, v1
	v_lshlrev_b32_e32 v1, 3, v8
	v_add_u32_e32 v0, s29, v4
	v_lshl_or_b32 v1, v4, 6, v1
	v_add_u32_e32 v23, 0x800, v1
	v_ashrrev_i32_e32 v1, 31, v0
	v_lshl_add_u64 v[12:13], v[2:3], 3, s[6:7]
	v_cmp_gt_i32_e64 s[6:7], s28, v0
	v_lshl_add_u64 v[14:15], v[0:1], 3, s[26:27]
	v_mov_b32_e32 v0, 0x800
	v_lshlrev_b32_e32 v25, 3, v11
	v_lshl_add_u32 v27, v9, 6, v0
	v_mov_b32_e32 v17, 0
	s_mov_b64 s[20:21], 0
	v_mov_b32_e32 v22, 0
	v_mov_b32_e32 v20, 0
	;; [unrolled: 1-line block ×8, first 2 shown]
                                        ; implicit-def: $vgpr18_vgpr19
	s_branch .LBB241_8
.LBB241_7:                              ;   in Loop: Header=BB241_8 Depth=1
	s_or_b64 exec, exec, s[22:23]
	s_waitcnt vmcnt(0)
	ds_write_b64 v23, v[2:3]
	s_waitcnt lgkmcnt(0)
	s_barrier
	ds_read2_b64 v[36:39], v25 offset1:16
	ds_read_b128 v[40:43], v27
	ds_read_b128 v[44:47], v27 offset:16
	ds_read_b128 v[4:7], v27 offset:32
	ds_read_b128 v[0:3], v27 offset:48
	s_add_u32 s20, s20, 8
	s_waitcnt lgkmcnt(3)
	v_mul_f32_e32 v16, v41, v37
	v_mul_f32_e32 v29, v40, v37
	v_fma_f32 v16, v40, v36, -v16
	v_fmac_f32_e32 v29, v41, v36
	v_add_f32_e32 v16, v32, v16
	v_add_f32_e32 v52, v34, v29
	ds_read_b128 v[32:35], v27 offset:1024
	v_mul_f32_e32 v29, v41, v39
	v_mul_f32_e32 v31, v40, v39
	v_fma_f32 v29, v40, v38, -v29
	v_fmac_f32_e32 v31, v41, v38
	v_add_f32_e32 v40, v28, v29
	v_add_f32_e32 v41, v30, v31
	ds_read_b128 v[28:31], v27 offset:1040
	s_waitcnt lgkmcnt(1)
	v_mul_f32_e32 v48, v33, v37
	v_fma_f32 v48, v32, v36, -v48
	v_add_f32_e32 v24, v24, v48
	ds_read2_b64 v[48:51], v25 offset0:32 offset1:48
	v_mul_f32_e32 v37, v32, v37
	v_fmac_f32_e32 v37, v33, v36
	v_mul_f32_e32 v36, v33, v39
	v_fma_f32 v36, v32, v38, -v36
	v_mul_f32_e32 v32, v32, v39
	v_fmac_f32_e32 v32, v33, v38
	v_add_f32_e32 v22, v22, v32
	s_waitcnt lgkmcnt(0)
	v_mul_f32_e32 v32, v43, v49
	v_mul_f32_e32 v33, v42, v49
	v_fma_f32 v32, v42, v48, -v32
	v_fmac_f32_e32 v33, v43, v48
	v_add_f32_e32 v20, v20, v36
	v_add_f32_e32 v16, v16, v32
	;; [unrolled: 1-line block ×3, first 2 shown]
	v_mul_f32_e32 v33, v43, v51
	v_mul_f32_e32 v36, v42, v51
	v_fma_f32 v33, v42, v50, -v33
	v_fmac_f32_e32 v36, v43, v50
	v_add_f32_e32 v33, v40, v33
	v_add_f32_e32 v40, v41, v36
	v_mul_f32_e32 v36, v35, v49
	v_add_f32_e32 v26, v26, v37
	v_fma_f32 v36, v34, v48, -v36
	v_mul_f32_e32 v37, v34, v49
	v_fmac_f32_e32 v37, v35, v48
	v_add_f32_e32 v24, v24, v36
	v_mul_f32_e32 v36, v35, v51
	v_add_f32_e32 v26, v26, v37
	v_fma_f32 v41, v34, v50, -v36
	ds_read2_b64 v[36:39], v25 offset0:64 offset1:80
	v_mul_f32_e32 v34, v34, v51
	v_fmac_f32_e32 v34, v35, v50
	v_add_f32_e32 v20, v20, v41
	v_add_f32_e32 v22, v22, v34
	s_waitcnt lgkmcnt(0)
	v_mul_f32_e32 v35, v44, v37
	v_fmac_f32_e32 v35, v45, v36
	v_add_f32_e32 v41, v32, v35
	v_mul_f32_e32 v32, v45, v39
	v_mul_f32_e32 v34, v45, v37
	v_fma_f32 v32, v44, v38, -v32
	v_fma_f32 v34, v44, v36, -v34
	v_add_f32_e32 v42, v33, v32
	v_mul_f32_e32 v32, v29, v37
	v_add_f32_e32 v16, v16, v34
	v_mul_f32_e32 v34, v44, v39
	v_fma_f32 v32, v28, v36, -v32
	v_mul_f32_e32 v33, v28, v37
	v_fmac_f32_e32 v34, v45, v38
	v_fmac_f32_e32 v33, v29, v36
	v_add_f32_e32 v24, v24, v32
	v_mul_f32_e32 v32, v29, v39
	v_add_f32_e32 v40, v40, v34
	v_add_f32_e32 v26, v26, v33
	v_fma_f32 v36, v28, v38, -v32
	ds_read2_b64 v[32:35], v25 offset0:96 offset1:112
	v_mul_f32_e32 v28, v28, v39
	v_fmac_f32_e32 v28, v29, v38
	v_add_f32_e32 v22, v22, v28
	v_add_f32_e32 v20, v20, v36
	s_waitcnt lgkmcnt(0)
	v_mul_f32_e32 v28, v47, v33
	v_mul_f32_e32 v29, v46, v33
	v_fma_f32 v28, v46, v32, -v28
	v_fmac_f32_e32 v29, v47, v32
	v_add_f32_e32 v16, v16, v28
	v_add_f32_e32 v28, v41, v29
	v_mul_f32_e32 v29, v47, v35
	v_mul_f32_e32 v36, v46, v35
	v_fma_f32 v29, v46, v34, -v29
	v_fmac_f32_e32 v36, v47, v34
	v_add_f32_e32 v41, v42, v29
	v_add_f32_e32 v40, v40, v36
	v_mul_f32_e32 v29, v31, v33
	ds_read2_b64 v[36:39], v25 offset0:128 offset1:144
	v_fma_f32 v29, v30, v32, -v29
	v_add_f32_e32 v24, v24, v29
	v_mul_f32_e32 v29, v31, v35
	v_mul_f32_e32 v33, v30, v33
	v_fma_f32 v29, v30, v34, -v29
	v_mul_f32_e32 v30, v30, v35
	v_fmac_f32_e32 v30, v31, v34
	v_add_f32_e32 v22, v22, v30
	s_waitcnt lgkmcnt(0)
	v_mul_f32_e32 v30, v4, v37
	v_add_f32_e32 v20, v20, v29
	v_mul_f32_e32 v29, v5, v37
	v_fmac_f32_e32 v30, v5, v36
	v_fma_f32 v29, v4, v36, -v29
	v_add_f32_e32 v44, v28, v30
	v_mul_f32_e32 v28, v5, v39
	v_fmac_f32_e32 v33, v31, v32
	v_add_f32_e32 v16, v16, v29
	v_fma_f32 v32, v4, v38, -v28
	ds_read_b128 v[28:31], v27 offset:1056
	v_mul_f32_e32 v4, v4, v39
	v_fmac_f32_e32 v4, v5, v38
	v_add_f32_e32 v5, v41, v32
	v_add_f32_e32 v4, v40, v4
	ds_read_b128 v[40:43], v27 offset:1072
	s_waitcnt lgkmcnt(1)
	v_mul_f32_e32 v32, v29, v37
	v_add_f32_e32 v26, v26, v33
	v_fma_f32 v32, v28, v36, -v32
	v_mul_f32_e32 v33, v28, v37
	v_fmac_f32_e32 v33, v29, v36
	v_add_f32_e32 v24, v24, v32
	v_mul_f32_e32 v32, v29, v39
	v_add_f32_e32 v26, v26, v33
	v_fma_f32 v36, v28, v38, -v32
	ds_read2_b64 v[32:35], v25 offset0:160 offset1:176
	v_mul_f32_e32 v28, v28, v39
	v_fmac_f32_e32 v28, v29, v38
	v_add_f32_e32 v22, v22, v28
	v_add_f32_e32 v20, v20, v36
	s_waitcnt lgkmcnt(0)
	v_mul_f32_e32 v28, v7, v33
	v_mul_f32_e32 v29, v6, v33
	v_fma_f32 v28, v6, v32, -v28
	v_fmac_f32_e32 v29, v7, v32
	v_add_f32_e32 v16, v16, v28
	v_add_f32_e32 v28, v44, v29
	v_mul_f32_e32 v29, v7, v35
	v_fma_f32 v29, v6, v34, -v29
	v_mul_f32_e32 v6, v6, v35
	v_fmac_f32_e32 v6, v7, v34
	v_add_f32_e32 v36, v4, v6
	v_mul_f32_e32 v4, v31, v33
	v_add_f32_e32 v29, v5, v29
	v_fma_f32 v4, v30, v32, -v4
	v_mul_f32_e32 v5, v30, v33
	v_fmac_f32_e32 v5, v31, v32
	v_add_f32_e32 v24, v24, v4
	v_mul_f32_e32 v4, v31, v35
	v_add_f32_e32 v26, v26, v5
	v_fma_f32 v32, v30, v34, -v4
	ds_read2_b64 v[4:7], v25 offset0:192 offset1:208
	v_mul_f32_e32 v30, v30, v35
	v_fmac_f32_e32 v30, v31, v34
	v_add_f32_e32 v22, v22, v30
	v_add_f32_e32 v20, v20, v32
	s_waitcnt lgkmcnt(0)
	v_mul_f32_e32 v30, v1, v5
	v_fma_f32 v30, v0, v4, -v30
	v_add_f32_e32 v16, v16, v30
	v_mul_f32_e32 v30, v1, v7
	v_mul_f32_e32 v31, v0, v5
	v_fma_f32 v30, v0, v6, -v30
	v_mul_f32_e32 v0, v0, v7
	v_fmac_f32_e32 v0, v1, v6
	v_add_f32_e32 v0, v36, v0
	ds_read2_b64 v[36:39], v25 offset0:224 offset1:240
	v_fmac_f32_e32 v31, v1, v4
	v_add_f32_e32 v1, v29, v30
	v_mul_f32_e32 v29, v41, v5
	v_fma_f32 v29, v40, v4, -v29
	v_mul_f32_e32 v5, v40, v5
	v_fmac_f32_e32 v5, v41, v4
	v_add_f32_e32 v4, v24, v29
	v_mul_f32_e32 v24, v41, v7
	v_fma_f32 v24, v40, v6, -v24
	v_mul_f32_e32 v7, v40, v7
	v_fmac_f32_e32 v7, v41, v6
	v_add_f32_e32 v6, v20, v24
	s_waitcnt lgkmcnt(0)
	v_mul_f32_e32 v20, v3, v37
	v_fma_f32 v20, v2, v36, -v20
	v_add_f32_e32 v32, v16, v20
	v_mul_f32_e32 v16, v3, v39
	v_add_f32_e32 v7, v22, v7
	v_mul_f32_e32 v22, v2, v37
	v_fma_f32 v16, v2, v38, -v16
	v_mul_f32_e32 v2, v2, v39
	v_add_f32_e32 v28, v28, v31
	v_fmac_f32_e32 v22, v3, v36
	v_fmac_f32_e32 v2, v3, v38
	v_add_f32_e32 v34, v28, v22
	v_add_f32_e32 v28, v1, v16
	;; [unrolled: 1-line block ×3, first 2 shown]
	v_mul_f32_e32 v0, v43, v37
	v_mul_f32_e32 v1, v42, v37
	v_add_f32_e32 v5, v26, v5
	v_fma_f32 v0, v42, v36, -v0
	v_fmac_f32_e32 v1, v43, v36
	v_add_f32_e32 v24, v4, v0
	v_add_f32_e32 v26, v5, v1
	v_mul_f32_e32 v0, v43, v39
	v_mul_f32_e32 v1, v42, v39
	v_fma_f32 v0, v42, v38, -v0
	v_fmac_f32_e32 v1, v43, v38
	s_addc_u32 s21, s21, 0
	v_add_f32_e32 v20, v6, v0
	v_add_f32_e32 v22, v7, v1
	v_mov_b64_e32 v[0:1], s[20:21]
	v_cmp_gt_i64_e32 vcc, s[18:19], v[0:1]
	s_barrier
	s_cbranch_vccz .LBB241_16
.LBB241_8:                              ; =>This Inner Loop Header: Depth=1
	s_mov_b64 s[26:27], s[10:11]
	s_mov_b64 s[22:23], 0
	s_and_saveexec_b64 s[24:25], s[2:3]
; %bb.9:                                ;   in Loop: Header=BB241_8 Depth=1
	v_add_u32_e32 v16, s20, v10
	v_cmp_le_u64_e32 vcc, s[18:19], v[16:17]
	s_andn2_b64 s[26:27], s[10:11], exec
	s_and_b64 s[30:31], vcc, exec
	s_mov_b64 s[22:23], exec
	s_or_b64 s[26:27], s[26:27], s[30:31]
	v_mov_b64_e32 v[18:19], v[16:17]
; %bb.10:                               ;   in Loop: Header=BB241_8 Depth=1
	s_or_b64 exec, exec, s[24:25]
	s_and_saveexec_b64 s[24:25], s[26:27]
	s_xor_b64 s[24:25], exec, s[24:25]
; %bb.11:                               ;   in Loop: Header=BB241_8 Depth=1
	ds_write_b32 v21, v17
	s_andn2_b64 s[22:23], s[22:23], exec
; %bb.12:                               ;   in Loop: Header=BB241_8 Depth=1
	s_or_b64 exec, exec, s[24:25]
	v_mov_b32_e32 v2, 0
	v_mov_b32_e32 v0, 0
	s_and_saveexec_b64 s[24:25], s[22:23]
	s_cbranch_execz .LBB241_14
; %bb.13:                               ;   in Loop: Header=BB241_8 Depth=1
	v_lshl_add_u64 v[0:1], v[18:19], 3, v[12:13]
	global_load_dwordx2 v[4:5], v[0:1], off
	s_waitcnt vmcnt(0)
	v_xor_b32_e32 v0, 0x80000000, v5
	ds_write_b32 v21, v4
.LBB241_14:                             ;   in Loop: Header=BB241_8 Depth=1
	s_or_b64 exec, exec, s[24:25]
	v_add_u32_e32 v16, s20, v8
	v_cmp_gt_u64_e32 vcc, s[18:19], v[16:17]
	s_and_b64 s[24:25], vcc, s[6:7]
	v_mov_b32_e32 v3, 0
	ds_write_b32 v21, v0 offset:4
	s_and_saveexec_b64 s[22:23], s[24:25]
	s_cbranch_execz .LBB241_7
; %bb.15:                               ;   in Loop: Header=BB241_8 Depth=1
	v_mad_u64_u32 v[0:1], s[24:25], s8, v16, 0
	v_mov_b32_e32 v2, v1
	v_mad_u64_u32 v[2:3], s[24:25], s9, v16, v[2:3]
	v_mov_b32_e32 v1, v2
	v_lshl_add_u64 v[0:1], v[0:1], 3, v[14:15]
	global_load_dwordx2 v[2:3], v[0:1], off
	s_branch .LBB241_7
.LBB241_16:
	s_load_dwordx2 s[2:3], s[0:1], 0x60
	s_load_dwordx4 s[8:11], s[0:1], 0x50
	v_add_u32_e32 v10, s29, v9
	v_ashrrev_i32_e32 v1, 31, v10
	v_add_u32_e32 v0, s5, v11
	s_waitcnt lgkmcnt(0)
	s_mul_i32 s1, s3, s4
	s_mul_hi_u32 s3, s2, s4
	s_mul_i32 s0, s2, s4
	s_add_i32 s1, s3, s1
	s_lshl_b64 s[0:1], s[0:1], 3
	s_add_u32 s4, s8, s0
	s_addc_u32 s5, s9, s1
	v_cmp_neq_f32_e64 s[0:1], s12, 0
	s_xor_b64 s[6:7], s[16:17], -1
	v_mul_lo_u32 v1, s10, v1
	v_mul_lo_u32 v4, s11, v10
	v_mad_u64_u32 v[2:3], s[8:9], s10, v10, 0
	v_add3_u32 v3, v3, v1, v4
	s_or_b64 s[0:1], s[0:1], s[6:7]
	v_cmp_gt_i32_e64 s[2:3], s28, v10
	v_lshl_add_u64 v[4:5], v[2:3], 3, s[4:5]
	v_cmp_le_i32_e32 vcc, v0, v10
	v_cndmask_b32_e64 v2, 0, 1, s[0:1]
	s_and_b64 s[8:9], s[2:3], vcc
	v_ashrrev_i32_e32 v1, 31, v0
	v_cmp_ne_u32_e64 s[0:1], 1, v2
	s_and_saveexec_b64 s[6:7], s[8:9]
	s_cbranch_execz .LBB241_20
; %bb.17:
	v_pk_mul_f32 v[6:7], v[34:35], s[14:15] op_sel:[0,1] op_sel_hi:[0,0]
	v_pk_fma_f32 v[2:3], v[32:33], s[14:15], v[6:7] op_sel_hi:[0,1,1] neg_lo:[0,0,1] neg_hi:[0,0,1]
	v_pk_fma_f32 v[8:9], v[32:33], s[14:15], v[6:7] op_sel_hi:[0,1,1]
	s_and_b64 vcc, exec, s[0:1]
	v_lshl_add_u64 v[6:7], v[0:1], 3, v[4:5]
	s_cbranch_vccnz .LBB241_19
; %bb.18:
	global_load_dwordx2 v[12:13], v[6:7], off
	s_mov_b32 s8, s13
	v_mov_b32_e32 v3, v9
	s_waitcnt vmcnt(0)
	v_pk_mul_f32 v[8:9], v[12:13], s[8:9] op_sel:[1,0] op_sel_hi:[0,0]
	v_pk_fma_f32 v[14:15], v[12:13], s[12:13], v[8:9] neg_lo:[0,0,1] neg_hi:[0,0,1]
	v_pk_fma_f32 v[8:9], v[12:13], s[12:13], v[8:9] op_sel_hi:[1,0,1]
	s_nop 0
	v_mov_b32_e32 v15, v9
	v_pk_add_f32 v[2:3], v[2:3], v[14:15]
	s_nop 0
	v_mov_b32_e32 v9, v3
.LBB241_19:
	v_mov_b32_e32 v3, v9
	global_store_dwordx2 v[6:7], v[2:3], off
.LBB241_20:
	s_or_b64 exec, exec, s[6:7]
	v_add_u32_e32 v2, 16, v0
	v_cmp_le_i32_e32 vcc, v2, v10
	s_and_b64 s[6:7], s[2:3], vcc
	v_ashrrev_i32_e32 v3, 31, v2
	s_and_saveexec_b64 s[2:3], s[6:7]
	s_cbranch_execz .LBB241_24
; %bb.21:
	v_pk_mul_f32 v[8:9], v[30:31], s[14:15] op_sel:[0,1] op_sel_hi:[0,0]
	v_pk_fma_f32 v[6:7], v[28:29], s[14:15], v[8:9] op_sel_hi:[0,1,1] neg_lo:[0,0,1] neg_hi:[0,0,1]
	v_pk_fma_f32 v[8:9], v[28:29], s[14:15], v[8:9] op_sel_hi:[0,1,1]
	s_and_b64 vcc, exec, s[0:1]
	v_lshl_add_u64 v[4:5], v[2:3], 3, v[4:5]
	s_cbranch_vccnz .LBB241_23
; %bb.22:
	global_load_dwordx2 v[12:13], v[4:5], off
	s_mov_b32 s6, s13
	v_mov_b32_e32 v7, v9
	s_waitcnt vmcnt(0)
	v_pk_mul_f32 v[8:9], v[12:13], s[6:7] op_sel:[1,0] op_sel_hi:[0,0]
	v_pk_fma_f32 v[14:15], v[12:13], s[12:13], v[8:9] neg_lo:[0,0,1] neg_hi:[0,0,1]
	v_pk_fma_f32 v[8:9], v[12:13], s[12:13], v[8:9] op_sel_hi:[1,0,1]
	s_nop 0
	v_mov_b32_e32 v15, v9
	v_pk_add_f32 v[6:7], v[6:7], v[14:15]
	s_nop 0
	v_mov_b32_e32 v9, v7
.LBB241_23:
	v_mov_b32_e32 v7, v9
	global_store_dwordx2 v[4:5], v[6:7], off
.LBB241_24:
	s_or_b64 exec, exec, s[2:3]
	v_add_u32_e32 v10, 16, v10
	v_ashrrev_i32_e32 v4, 31, v10
	v_mul_lo_u32 v6, s10, v4
	v_mul_lo_u32 v7, s11, v10
	v_mad_u64_u32 v[4:5], s[6:7], s10, v10, 0
	v_cmp_gt_i32_e64 s[2:3], s28, v10
	v_add3_u32 v5, v5, v6, v7
	v_cmp_le_i32_e32 vcc, v0, v10
	v_lshl_add_u64 v[4:5], v[4:5], 3, s[4:5]
	s_and_b64 s[6:7], s[2:3], vcc
	s_and_saveexec_b64 s[4:5], s[6:7]
	s_cbranch_execz .LBB241_28
; %bb.25:
	v_pk_mul_f32 v[8:9], v[26:27], s[14:15] op_sel:[0,1] op_sel_hi:[0,0]
	v_pk_fma_f32 v[6:7], v[24:25], s[14:15], v[8:9] op_sel_hi:[0,1,1] neg_lo:[0,0,1] neg_hi:[0,0,1]
	v_pk_fma_f32 v[8:9], v[24:25], s[14:15], v[8:9] op_sel_hi:[0,1,1]
	s_and_b64 vcc, exec, s[0:1]
	v_lshl_add_u64 v[0:1], v[0:1], 3, v[4:5]
	s_cbranch_vccnz .LBB241_27
; %bb.26:
	global_load_dwordx2 v[12:13], v[0:1], off
	s_mov_b32 s6, s13
	v_mov_b32_e32 v7, v9
	s_waitcnt vmcnt(0)
	v_pk_mul_f32 v[8:9], v[12:13], s[6:7] op_sel:[1,0] op_sel_hi:[0,0]
	v_pk_fma_f32 v[14:15], v[12:13], s[12:13], v[8:9] neg_lo:[0,0,1] neg_hi:[0,0,1]
	v_pk_fma_f32 v[8:9], v[12:13], s[12:13], v[8:9] op_sel_hi:[1,0,1]
	s_nop 0
	v_mov_b32_e32 v15, v9
	v_pk_add_f32 v[6:7], v[6:7], v[14:15]
	s_nop 0
	v_mov_b32_e32 v9, v7
.LBB241_27:
	v_mov_b32_e32 v7, v9
	global_store_dwordx2 v[0:1], v[6:7], off
.LBB241_28:
	s_or_b64 exec, exec, s[4:5]
	v_cmp_le_i32_e32 vcc, v2, v10
	s_and_b64 s[2:3], s[2:3], vcc
	s_and_saveexec_b64 s[4:5], s[2:3]
	s_cbranch_execz .LBB241_32
; %bb.29:
	v_pk_mul_f32 v[6:7], v[22:23], s[14:15] op_sel:[0,1] op_sel_hi:[0,0]
	v_pk_fma_f32 v[0:1], v[20:21], s[14:15], v[6:7] op_sel_hi:[0,1,1] neg_lo:[0,0,1] neg_hi:[0,0,1]
	v_pk_fma_f32 v[6:7], v[20:21], s[14:15], v[6:7] op_sel_hi:[0,1,1]
	s_and_b64 vcc, exec, s[0:1]
	v_lshl_add_u64 v[2:3], v[2:3], 3, v[4:5]
	s_cbranch_vccnz .LBB241_31
; %bb.30:
	global_load_dwordx2 v[4:5], v[2:3], off
	s_mov_b32 s0, s13
	v_mov_b32_e32 v1, v7
	s_waitcnt vmcnt(0)
	v_pk_mul_f32 v[6:7], v[4:5], s[0:1] op_sel:[1,0] op_sel_hi:[0,0]
	v_pk_fma_f32 v[8:9], v[4:5], s[12:13], v[6:7] neg_lo:[0,0,1] neg_hi:[0,0,1]
	v_pk_fma_f32 v[4:5], v[4:5], s[12:13], v[6:7] op_sel_hi:[1,0,1]
	s_nop 0
	v_mov_b32_e32 v9, v5
	v_pk_add_f32 v[0:1], v[0:1], v[8:9]
	s_nop 0
	v_mov_b32_e32 v7, v1
.LBB241_31:
	v_mov_b32_e32 v1, v7
	global_store_dwordx2 v[2:3], v[0:1], off
.LBB241_32:
	s_endpgm
	.section	.rodata,"a",@progbits
	.p2align	6, 0x0
	.amdhsa_kernel _ZL29rocblas_internal_gemmt_kernelIlLi16ELi32ELi8ELc67ELc84ELc85ELb1ELb0E19rocblas_complex_numIfES1_PKS1_PS1_EviT_T9_T10_S5_lS7_S5_lS6_T11_S5_li
		.amdhsa_group_segment_fixed_size 4096
		.amdhsa_private_segment_fixed_size 0
		.amdhsa_kernarg_size 108
		.amdhsa_user_sgpr_count 2
		.amdhsa_user_sgpr_dispatch_ptr 0
		.amdhsa_user_sgpr_queue_ptr 0
		.amdhsa_user_sgpr_kernarg_segment_ptr 1
		.amdhsa_user_sgpr_dispatch_id 0
		.amdhsa_user_sgpr_kernarg_preload_length 0
		.amdhsa_user_sgpr_kernarg_preload_offset 0
		.amdhsa_user_sgpr_private_segment_size 0
		.amdhsa_uses_dynamic_stack 0
		.amdhsa_enable_private_segment 0
		.amdhsa_system_sgpr_workgroup_id_x 1
		.amdhsa_system_sgpr_workgroup_id_y 1
		.amdhsa_system_sgpr_workgroup_id_z 1
		.amdhsa_system_sgpr_workgroup_info 0
		.amdhsa_system_vgpr_workitem_id 1
		.amdhsa_next_free_vgpr 53
		.amdhsa_next_free_sgpr 32
		.amdhsa_accum_offset 56
		.amdhsa_reserve_vcc 1
		.amdhsa_float_round_mode_32 0
		.amdhsa_float_round_mode_16_64 0
		.amdhsa_float_denorm_mode_32 3
		.amdhsa_float_denorm_mode_16_64 3
		.amdhsa_dx10_clamp 1
		.amdhsa_ieee_mode 1
		.amdhsa_fp16_overflow 0
		.amdhsa_tg_split 0
		.amdhsa_exception_fp_ieee_invalid_op 0
		.amdhsa_exception_fp_denorm_src 0
		.amdhsa_exception_fp_ieee_div_zero 0
		.amdhsa_exception_fp_ieee_overflow 0
		.amdhsa_exception_fp_ieee_underflow 0
		.amdhsa_exception_fp_ieee_inexact 0
		.amdhsa_exception_int_div_zero 0
	.end_amdhsa_kernel
	.section	.text._ZL29rocblas_internal_gemmt_kernelIlLi16ELi32ELi8ELc67ELc84ELc85ELb1ELb0E19rocblas_complex_numIfES1_PKS1_PS1_EviT_T9_T10_S5_lS7_S5_lS6_T11_S5_li,"axG",@progbits,_ZL29rocblas_internal_gemmt_kernelIlLi16ELi32ELi8ELc67ELc84ELc85ELb1ELb0E19rocblas_complex_numIfES1_PKS1_PS1_EviT_T9_T10_S5_lS7_S5_lS6_T11_S5_li,comdat
.Lfunc_end241:
	.size	_ZL29rocblas_internal_gemmt_kernelIlLi16ELi32ELi8ELc67ELc84ELc85ELb1ELb0E19rocblas_complex_numIfES1_PKS1_PS1_EviT_T9_T10_S5_lS7_S5_lS6_T11_S5_li, .Lfunc_end241-_ZL29rocblas_internal_gemmt_kernelIlLi16ELi32ELi8ELc67ELc84ELc85ELb1ELb0E19rocblas_complex_numIfES1_PKS1_PS1_EviT_T9_T10_S5_lS7_S5_lS6_T11_S5_li
                                        ; -- End function
	.set _ZL29rocblas_internal_gemmt_kernelIlLi16ELi32ELi8ELc67ELc84ELc85ELb1ELb0E19rocblas_complex_numIfES1_PKS1_PS1_EviT_T9_T10_S5_lS7_S5_lS6_T11_S5_li.num_vgpr, 53
	.set _ZL29rocblas_internal_gemmt_kernelIlLi16ELi32ELi8ELc67ELc84ELc85ELb1ELb0E19rocblas_complex_numIfES1_PKS1_PS1_EviT_T9_T10_S5_lS7_S5_lS6_T11_S5_li.num_agpr, 0
	.set _ZL29rocblas_internal_gemmt_kernelIlLi16ELi32ELi8ELc67ELc84ELc85ELb1ELb0E19rocblas_complex_numIfES1_PKS1_PS1_EviT_T9_T10_S5_lS7_S5_lS6_T11_S5_li.numbered_sgpr, 32
	.set _ZL29rocblas_internal_gemmt_kernelIlLi16ELi32ELi8ELc67ELc84ELc85ELb1ELb0E19rocblas_complex_numIfES1_PKS1_PS1_EviT_T9_T10_S5_lS7_S5_lS6_T11_S5_li.num_named_barrier, 0
	.set _ZL29rocblas_internal_gemmt_kernelIlLi16ELi32ELi8ELc67ELc84ELc85ELb1ELb0E19rocblas_complex_numIfES1_PKS1_PS1_EviT_T9_T10_S5_lS7_S5_lS6_T11_S5_li.private_seg_size, 0
	.set _ZL29rocblas_internal_gemmt_kernelIlLi16ELi32ELi8ELc67ELc84ELc85ELb1ELb0E19rocblas_complex_numIfES1_PKS1_PS1_EviT_T9_T10_S5_lS7_S5_lS6_T11_S5_li.uses_vcc, 1
	.set _ZL29rocblas_internal_gemmt_kernelIlLi16ELi32ELi8ELc67ELc84ELc85ELb1ELb0E19rocblas_complex_numIfES1_PKS1_PS1_EviT_T9_T10_S5_lS7_S5_lS6_T11_S5_li.uses_flat_scratch, 0
	.set _ZL29rocblas_internal_gemmt_kernelIlLi16ELi32ELi8ELc67ELc84ELc85ELb1ELb0E19rocblas_complex_numIfES1_PKS1_PS1_EviT_T9_T10_S5_lS7_S5_lS6_T11_S5_li.has_dyn_sized_stack, 0
	.set _ZL29rocblas_internal_gemmt_kernelIlLi16ELi32ELi8ELc67ELc84ELc85ELb1ELb0E19rocblas_complex_numIfES1_PKS1_PS1_EviT_T9_T10_S5_lS7_S5_lS6_T11_S5_li.has_recursion, 0
	.set _ZL29rocblas_internal_gemmt_kernelIlLi16ELi32ELi8ELc67ELc84ELc85ELb1ELb0E19rocblas_complex_numIfES1_PKS1_PS1_EviT_T9_T10_S5_lS7_S5_lS6_T11_S5_li.has_indirect_call, 0
	.section	.AMDGPU.csdata,"",@progbits
; Kernel info:
; codeLenInByte = 2600
; TotalNumSgprs: 38
; NumVgprs: 53
; NumAgprs: 0
; TotalNumVgprs: 53
; ScratchSize: 0
; MemoryBound: 0
; FloatMode: 240
; IeeeMode: 1
; LDSByteSize: 4096 bytes/workgroup (compile time only)
; SGPRBlocks: 4
; VGPRBlocks: 6
; NumSGPRsForWavesPerEU: 38
; NumVGPRsForWavesPerEU: 53
; AccumOffset: 56
; Occupancy: 8
; WaveLimiterHint : 0
; COMPUTE_PGM_RSRC2:SCRATCH_EN: 0
; COMPUTE_PGM_RSRC2:USER_SGPR: 2
; COMPUTE_PGM_RSRC2:TRAP_HANDLER: 0
; COMPUTE_PGM_RSRC2:TGID_X_EN: 1
; COMPUTE_PGM_RSRC2:TGID_Y_EN: 1
; COMPUTE_PGM_RSRC2:TGID_Z_EN: 1
; COMPUTE_PGM_RSRC2:TIDIG_COMP_CNT: 1
; COMPUTE_PGM_RSRC3_GFX90A:ACCUM_OFFSET: 13
; COMPUTE_PGM_RSRC3_GFX90A:TG_SPLIT: 0
	.section	.text._ZL29rocblas_internal_gemmt_kernelIlLi16ELi32ELi8ELc67ELc67ELc85ELb1ELb1E19rocblas_complex_numIfES1_PKS1_PS1_EviT_T9_T10_S5_lS7_S5_lS6_T11_S5_li,"axG",@progbits,_ZL29rocblas_internal_gemmt_kernelIlLi16ELi32ELi8ELc67ELc67ELc85ELb1ELb1E19rocblas_complex_numIfES1_PKS1_PS1_EviT_T9_T10_S5_lS7_S5_lS6_T11_S5_li,comdat
	.globl	_ZL29rocblas_internal_gemmt_kernelIlLi16ELi32ELi8ELc67ELc67ELc85ELb1ELb1E19rocblas_complex_numIfES1_PKS1_PS1_EviT_T9_T10_S5_lS7_S5_lS6_T11_S5_li ; -- Begin function _ZL29rocblas_internal_gemmt_kernelIlLi16ELi32ELi8ELc67ELc67ELc85ELb1ELb1E19rocblas_complex_numIfES1_PKS1_PS1_EviT_T9_T10_S5_lS7_S5_lS6_T11_S5_li
	.p2align	8
	.type	_ZL29rocblas_internal_gemmt_kernelIlLi16ELi32ELi8ELc67ELc67ELc85ELb1ELb1E19rocblas_complex_numIfES1_PKS1_PS1_EviT_T9_T10_S5_lS7_S5_lS6_T11_S5_li,@function
_ZL29rocblas_internal_gemmt_kernelIlLi16ELi32ELi8ELc67ELc67ELc85ELb1ELb1E19rocblas_complex_numIfES1_PKS1_PS1_EviT_T9_T10_S5_lS7_S5_lS6_T11_S5_li: ; @_ZL29rocblas_internal_gemmt_kernelIlLi16ELi32ELi8ELc67ELc67ELc85ELb1ELb1E19rocblas_complex_numIfES1_PKS1_PS1_EviT_T9_T10_S5_lS7_S5_lS6_T11_S5_li
; %bb.0:
	s_load_dwordx2 s[6:7], s[0:1], 0x48
	s_load_dwordx2 s[12:13], s[0:1], 0x10
	s_waitcnt lgkmcnt(0)
	s_and_b32 s5, s7, 0x7fffffff
	s_cmp_eq_u32 s5, 0
	v_cmp_eq_f32_e64 s[8:9], s6, 1.0
	s_cselect_b64 s[14:15], -1, 0
	s_and_b64 s[8:9], s[8:9], s[14:15]
	s_and_b64 vcc, exec, s[8:9]
	s_cbranch_vccnz .LBB242_2
; %bb.1:
	s_mov_b64 s[8:9], -1
	s_load_dwordx2 s[16:17], s[0:1], 0x8
	s_cbranch_execz .LBB242_3
	s_branch .LBB242_4
.LBB242_2:
	s_mov_b64 s[8:9], 0
	s_load_dwordx2 s[16:17], s[0:1], 0x8
.LBB242_3:
	s_waitcnt lgkmcnt(0)
	s_cmp_lg_u64 s[16:17], 0
	v_cmp_neq_f32_e64 s[10:11], s12, 0
	v_cmp_neq_f32_e64 s[18:19], s13, 0
	s_cselect_b64 s[8:9], -1, 0
	s_or_b64 s[10:11], s[10:11], s[18:19]
	s_and_b64 s[8:9], s[8:9], s[10:11]
.LBB242_4:
	s_andn2_b64 vcc, exec, s[8:9]
	s_cbranch_vccnz .LBB242_34
; %bb.5:
	s_load_dword s28, s[0:1], 0x0
	s_lshl_b32 s5, s2, 5
	s_lshl_b32 s29, s3, 5
	v_cmp_eq_f32_e64 s[2:3], s12, 0
	v_cmp_eq_f32_e64 s[8:9], s13, 0
	s_and_b64 s[2:3], s[2:3], s[8:9]
	s_waitcnt lgkmcnt(0)
	v_cmp_lt_i64_e64 s[8:9], s[16:17], 1
	s_or_b64 s[2:3], s[2:3], s[8:9]
	v_and_b32_e32 v11, 0x3ff, v0
	v_bfe_u32 v9, v0, 10, 10
	v_mov_b32_e32 v32, 0
	s_and_b64 vcc, exec, s[2:3]
	v_mov_b32_e32 v34, 0
	v_mov_b32_e32 v28, 0
	;; [unrolled: 1-line block ×7, first 2 shown]
	s_cbranch_vccnz .LBB242_18
; %bb.6:
	s_load_dwordx8 s[20:27], s[0:1], 0x18
	s_load_dwordx4 s[8:11], s[0:1], 0x38
	v_lshl_add_u32 v1, v9, 4, v11
	v_lshrrev_b32_e32 v10, 5, v1
	v_lshrrev_b32_e32 v4, 3, v1
	v_and_b32_e32 v1, 31, v1
	s_waitcnt lgkmcnt(0)
	s_mul_i32 s2, s11, s4
	s_mul_hi_u32 s3, s10, s4
	s_add_i32 s3, s3, s2
	s_mul_i32 s2, s10, s4
	s_lshl_b64 s[2:3], s[2:3], 3
	s_add_u32 s18, s26, s2
	s_addc_u32 s19, s27, s3
	s_mul_i32 s2, s25, s4
	s_mul_hi_u32 s3, s24, s4
	s_add_i32 s3, s3, s2
	s_mul_i32 s2, s24, s4
	s_lshl_b64 s[2:3], s[2:3], 3
	s_add_u32 s20, s20, s2
	v_or_b32_e32 v2, s5, v1
	s_addc_u32 s21, s21, s3
	v_lshlrev_b32_e32 v1, 3, v1
	s_ashr_i32 s26, s5, 31
	v_and_b32_e32 v8, 7, v11
	v_cmp_gt_i32_e64 s[2:3], s28, v2
	v_cmp_le_i32_e64 s[10:11], s28, v2
	v_lshl_or_b32 v21, v10, 8, v1
	v_mul_lo_u32 v1, s23, v2
	v_mad_u64_u32 v[2:3], s[24:25], s22, v2, 0
	s_mul_i32 s22, s22, s26
	v_add3_u32 v3, v3, s22, v1
	v_lshlrev_b32_e32 v1, 3, v8
	v_add_u32_e32 v0, s29, v4
	v_lshl_or_b32 v1, v4, 6, v1
	v_add_u32_e32 v23, 0x800, v1
	v_ashrrev_i32_e32 v1, 31, v0
	v_cmp_gt_i32_e32 vcc, s28, v0
	v_lshl_add_u64 v[14:15], v[0:1], 3, s[18:19]
	v_mov_b32_e32 v0, 0x800
	v_lshl_add_u64 v[12:13], v[2:3], 3, s[20:21]
	v_lshlrev_b32_e32 v25, 3, v11
	v_lshl_add_u32 v27, v9, 6, v0
	v_mov_b32_e32 v17, 0
	s_mov_b64 s[18:19], 0
	s_xor_b64 s[20:21], vcc, -1
	v_mov_b32_e32 v22, 0
	v_mov_b32_e32 v20, 0
	;; [unrolled: 1-line block ×8, first 2 shown]
                                        ; implicit-def: $vgpr18_vgpr19
	s_branch .LBB242_8
.LBB242_7:                              ;   in Loop: Header=BB242_8 Depth=1
	s_or_b64 exec, exec, s[22:23]
	ds_write_b32 v23, v0 offset:4
	s_waitcnt lgkmcnt(0)
	s_barrier
	ds_read2_b64 v[36:39], v25 offset1:16
	ds_read_b128 v[40:43], v27
	ds_read_b128 v[44:47], v27 offset:16
	ds_read_b128 v[4:7], v27 offset:32
	;; [unrolled: 1-line block ×3, first 2 shown]
	s_add_u32 s18, s18, 8
	s_waitcnt lgkmcnt(3)
	v_mul_f32_e32 v16, v41, v37
	v_mul_f32_e32 v29, v40, v37
	v_fma_f32 v16, v40, v36, -v16
	v_fmac_f32_e32 v29, v41, v36
	v_add_f32_e32 v16, v32, v16
	v_add_f32_e32 v52, v34, v29
	ds_read_b128 v[32:35], v27 offset:1024
	v_mul_f32_e32 v29, v41, v39
	v_mul_f32_e32 v31, v40, v39
	v_fma_f32 v29, v40, v38, -v29
	v_fmac_f32_e32 v31, v41, v38
	v_add_f32_e32 v40, v28, v29
	v_add_f32_e32 v41, v30, v31
	ds_read_b128 v[28:31], v27 offset:1040
	s_waitcnt lgkmcnt(1)
	v_mul_f32_e32 v48, v33, v37
	v_fma_f32 v48, v32, v36, -v48
	v_add_f32_e32 v24, v24, v48
	ds_read2_b64 v[48:51], v25 offset0:32 offset1:48
	v_mul_f32_e32 v37, v32, v37
	v_fmac_f32_e32 v37, v33, v36
	v_mul_f32_e32 v36, v33, v39
	v_fma_f32 v36, v32, v38, -v36
	v_mul_f32_e32 v32, v32, v39
	v_fmac_f32_e32 v32, v33, v38
	v_add_f32_e32 v22, v22, v32
	s_waitcnt lgkmcnt(0)
	v_mul_f32_e32 v32, v43, v49
	v_mul_f32_e32 v33, v42, v49
	v_fma_f32 v32, v42, v48, -v32
	v_fmac_f32_e32 v33, v43, v48
	v_add_f32_e32 v20, v20, v36
	v_add_f32_e32 v16, v16, v32
	;; [unrolled: 1-line block ×3, first 2 shown]
	v_mul_f32_e32 v33, v43, v51
	v_mul_f32_e32 v36, v42, v51
	v_fma_f32 v33, v42, v50, -v33
	v_fmac_f32_e32 v36, v43, v50
	v_add_f32_e32 v33, v40, v33
	v_add_f32_e32 v40, v41, v36
	v_mul_f32_e32 v36, v35, v49
	v_add_f32_e32 v26, v26, v37
	v_fma_f32 v36, v34, v48, -v36
	v_mul_f32_e32 v37, v34, v49
	v_fmac_f32_e32 v37, v35, v48
	v_add_f32_e32 v24, v24, v36
	v_mul_f32_e32 v36, v35, v51
	v_add_f32_e32 v26, v26, v37
	v_fma_f32 v41, v34, v50, -v36
	ds_read2_b64 v[36:39], v25 offset0:64 offset1:80
	v_mul_f32_e32 v34, v34, v51
	v_fmac_f32_e32 v34, v35, v50
	v_add_f32_e32 v20, v20, v41
	v_add_f32_e32 v22, v22, v34
	s_waitcnt lgkmcnt(0)
	v_mul_f32_e32 v35, v44, v37
	v_fmac_f32_e32 v35, v45, v36
	v_add_f32_e32 v41, v32, v35
	v_mul_f32_e32 v32, v45, v39
	v_mul_f32_e32 v34, v45, v37
	v_fma_f32 v32, v44, v38, -v32
	v_fma_f32 v34, v44, v36, -v34
	v_add_f32_e32 v42, v33, v32
	v_mul_f32_e32 v32, v29, v37
	v_add_f32_e32 v16, v16, v34
	v_mul_f32_e32 v34, v44, v39
	v_fma_f32 v32, v28, v36, -v32
	v_mul_f32_e32 v33, v28, v37
	v_fmac_f32_e32 v34, v45, v38
	v_fmac_f32_e32 v33, v29, v36
	v_add_f32_e32 v24, v24, v32
	v_mul_f32_e32 v32, v29, v39
	v_add_f32_e32 v40, v40, v34
	v_add_f32_e32 v26, v26, v33
	v_fma_f32 v36, v28, v38, -v32
	ds_read2_b64 v[32:35], v25 offset0:96 offset1:112
	v_mul_f32_e32 v28, v28, v39
	v_fmac_f32_e32 v28, v29, v38
	v_add_f32_e32 v22, v22, v28
	v_add_f32_e32 v20, v20, v36
	s_waitcnt lgkmcnt(0)
	v_mul_f32_e32 v28, v47, v33
	v_mul_f32_e32 v29, v46, v33
	v_fma_f32 v28, v46, v32, -v28
	v_fmac_f32_e32 v29, v47, v32
	v_add_f32_e32 v16, v16, v28
	v_add_f32_e32 v28, v41, v29
	v_mul_f32_e32 v29, v47, v35
	v_mul_f32_e32 v36, v46, v35
	v_fma_f32 v29, v46, v34, -v29
	v_fmac_f32_e32 v36, v47, v34
	v_add_f32_e32 v41, v42, v29
	v_add_f32_e32 v40, v40, v36
	v_mul_f32_e32 v29, v31, v33
	ds_read2_b64 v[36:39], v25 offset0:128 offset1:144
	v_fma_f32 v29, v30, v32, -v29
	v_add_f32_e32 v24, v24, v29
	v_mul_f32_e32 v29, v31, v35
	v_mul_f32_e32 v33, v30, v33
	v_fma_f32 v29, v30, v34, -v29
	v_mul_f32_e32 v30, v30, v35
	v_fmac_f32_e32 v30, v31, v34
	v_add_f32_e32 v22, v22, v30
	s_waitcnt lgkmcnt(0)
	v_mul_f32_e32 v30, v4, v37
	v_add_f32_e32 v20, v20, v29
	v_mul_f32_e32 v29, v5, v37
	v_fmac_f32_e32 v30, v5, v36
	v_fma_f32 v29, v4, v36, -v29
	v_add_f32_e32 v44, v28, v30
	v_mul_f32_e32 v28, v5, v39
	v_fmac_f32_e32 v33, v31, v32
	v_add_f32_e32 v16, v16, v29
	v_fma_f32 v32, v4, v38, -v28
	ds_read_b128 v[28:31], v27 offset:1056
	v_mul_f32_e32 v4, v4, v39
	v_fmac_f32_e32 v4, v5, v38
	v_add_f32_e32 v5, v41, v32
	v_add_f32_e32 v4, v40, v4
	ds_read_b128 v[40:43], v27 offset:1072
	s_waitcnt lgkmcnt(1)
	v_mul_f32_e32 v32, v29, v37
	v_add_f32_e32 v26, v26, v33
	v_fma_f32 v32, v28, v36, -v32
	v_mul_f32_e32 v33, v28, v37
	v_fmac_f32_e32 v33, v29, v36
	v_add_f32_e32 v24, v24, v32
	v_mul_f32_e32 v32, v29, v39
	v_add_f32_e32 v26, v26, v33
	v_fma_f32 v36, v28, v38, -v32
	ds_read2_b64 v[32:35], v25 offset0:160 offset1:176
	v_mul_f32_e32 v28, v28, v39
	v_fmac_f32_e32 v28, v29, v38
	v_add_f32_e32 v22, v22, v28
	v_add_f32_e32 v20, v20, v36
	s_waitcnt lgkmcnt(0)
	v_mul_f32_e32 v28, v7, v33
	v_mul_f32_e32 v29, v6, v33
	v_fma_f32 v28, v6, v32, -v28
	v_fmac_f32_e32 v29, v7, v32
	v_add_f32_e32 v16, v16, v28
	v_add_f32_e32 v28, v44, v29
	v_mul_f32_e32 v29, v7, v35
	v_fma_f32 v29, v6, v34, -v29
	v_mul_f32_e32 v6, v6, v35
	v_fmac_f32_e32 v6, v7, v34
	v_add_f32_e32 v36, v4, v6
	v_mul_f32_e32 v4, v31, v33
	v_add_f32_e32 v29, v5, v29
	v_fma_f32 v4, v30, v32, -v4
	v_mul_f32_e32 v5, v30, v33
	v_fmac_f32_e32 v5, v31, v32
	v_add_f32_e32 v24, v24, v4
	v_mul_f32_e32 v4, v31, v35
	v_add_f32_e32 v26, v26, v5
	v_fma_f32 v32, v30, v34, -v4
	ds_read2_b64 v[4:7], v25 offset0:192 offset1:208
	v_mul_f32_e32 v30, v30, v35
	v_fmac_f32_e32 v30, v31, v34
	v_add_f32_e32 v22, v22, v30
	v_add_f32_e32 v20, v20, v32
	s_waitcnt lgkmcnt(0)
	v_mul_f32_e32 v30, v1, v5
	v_fma_f32 v30, v0, v4, -v30
	v_add_f32_e32 v16, v16, v30
	v_mul_f32_e32 v30, v1, v7
	v_mul_f32_e32 v31, v0, v5
	v_fma_f32 v30, v0, v6, -v30
	v_mul_f32_e32 v0, v0, v7
	v_fmac_f32_e32 v0, v1, v6
	v_add_f32_e32 v0, v36, v0
	ds_read2_b64 v[36:39], v25 offset0:224 offset1:240
	v_fmac_f32_e32 v31, v1, v4
	v_add_f32_e32 v1, v29, v30
	v_mul_f32_e32 v29, v41, v5
	v_fma_f32 v29, v40, v4, -v29
	v_mul_f32_e32 v5, v40, v5
	v_fmac_f32_e32 v5, v41, v4
	v_add_f32_e32 v4, v24, v29
	v_mul_f32_e32 v24, v41, v7
	v_fma_f32 v24, v40, v6, -v24
	v_mul_f32_e32 v7, v40, v7
	v_fmac_f32_e32 v7, v41, v6
	v_add_f32_e32 v6, v20, v24
	s_waitcnt lgkmcnt(0)
	v_mul_f32_e32 v20, v3, v37
	v_fma_f32 v20, v2, v36, -v20
	v_add_f32_e32 v32, v16, v20
	v_mul_f32_e32 v16, v3, v39
	v_add_f32_e32 v7, v22, v7
	v_mul_f32_e32 v22, v2, v37
	v_fma_f32 v16, v2, v38, -v16
	v_mul_f32_e32 v2, v2, v39
	v_add_f32_e32 v28, v28, v31
	v_fmac_f32_e32 v22, v3, v36
	v_fmac_f32_e32 v2, v3, v38
	v_add_f32_e32 v34, v28, v22
	v_add_f32_e32 v28, v1, v16
	;; [unrolled: 1-line block ×3, first 2 shown]
	v_mul_f32_e32 v0, v43, v37
	v_mul_f32_e32 v1, v42, v37
	v_add_f32_e32 v5, v26, v5
	v_fma_f32 v0, v42, v36, -v0
	v_fmac_f32_e32 v1, v43, v36
	v_add_f32_e32 v24, v4, v0
	v_add_f32_e32 v26, v5, v1
	v_mul_f32_e32 v0, v43, v39
	v_mul_f32_e32 v1, v42, v39
	v_fma_f32 v0, v42, v38, -v0
	v_fmac_f32_e32 v1, v43, v38
	s_addc_u32 s19, s19, 0
	v_add_f32_e32 v20, v6, v0
	v_add_f32_e32 v22, v7, v1
	v_mov_b64_e32 v[0:1], s[18:19]
	v_cmp_gt_i64_e32 vcc, s[16:17], v[0:1]
	s_barrier
	s_cbranch_vccz .LBB242_18
.LBB242_8:                              ; =>This Inner Loop Header: Depth=1
	s_mov_b64 s[26:27], s[10:11]
	s_mov_b64 s[22:23], 0
	s_and_saveexec_b64 s[24:25], s[2:3]
	s_cbranch_execnz .LBB242_16
; %bb.9:                                ;   in Loop: Header=BB242_8 Depth=1
	s_or_b64 exec, exec, s[24:25]
	s_and_saveexec_b64 s[24:25], s[26:27]
	s_xor_b64 s[24:25], exec, s[24:25]
	s_cbranch_execnz .LBB242_17
.LBB242_10:                             ;   in Loop: Header=BB242_8 Depth=1
	s_or_b64 exec, exec, s[24:25]
	v_mov_b32_e32 v0, 0
	s_and_saveexec_b64 s[24:25], s[22:23]
	s_cbranch_execz .LBB242_12
.LBB242_11:                             ;   in Loop: Header=BB242_8 Depth=1
	v_lshl_add_u64 v[0:1], v[18:19], 3, v[12:13]
	global_load_dwordx2 v[2:3], v[0:1], off
	s_waitcnt vmcnt(0)
	v_xor_b32_e32 v0, 0x80000000, v3
	ds_write_b32 v21, v2
.LBB242_12:                             ;   in Loop: Header=BB242_8 Depth=1
	s_or_b64 exec, exec, s[24:25]
	v_add_u32_e32 v16, s18, v8
	v_cmp_le_u64_e32 vcc, s[16:17], v[16:17]
	s_or_b64 s[22:23], vcc, s[20:21]
	ds_write_b32 v21, v0 offset:4
	s_and_saveexec_b64 s[24:25], s[22:23]
	s_xor_b64 s[22:23], exec, s[24:25]
; %bb.13:                               ;   in Loop: Header=BB242_8 Depth=1
	ds_write_b32 v23, v17
; %bb.14:                               ;   in Loop: Header=BB242_8 Depth=1
	s_or_saveexec_b64 s[22:23], s[22:23]
	v_mov_b32_e32 v0, 0
	s_xor_b64 exec, exec, s[22:23]
	s_cbranch_execz .LBB242_7
; %bb.15:                               ;   in Loop: Header=BB242_8 Depth=1
	v_mad_u64_u32 v[0:1], s[24:25], s8, v16, 0
	v_mov_b32_e32 v2, v1
	v_mad_u64_u32 v[2:3], s[24:25], s9, v16, v[2:3]
	v_mov_b32_e32 v1, v2
	v_lshl_add_u64 v[0:1], v[0:1], 3, v[14:15]
	global_load_dwordx2 v[2:3], v[0:1], off
	s_waitcnt vmcnt(0)
	v_xor_b32_e32 v0, 0x80000000, v3
	ds_write_b32 v23, v2
	s_branch .LBB242_7
.LBB242_16:                             ;   in Loop: Header=BB242_8 Depth=1
	v_add_u32_e32 v16, s18, v10
	v_cmp_le_u64_e32 vcc, s[16:17], v[16:17]
	s_andn2_b64 s[26:27], s[10:11], exec
	s_and_b64 s[30:31], vcc, exec
	s_mov_b64 s[22:23], exec
	s_or_b64 s[26:27], s[26:27], s[30:31]
	v_mov_b64_e32 v[18:19], v[16:17]
	s_or_b64 exec, exec, s[24:25]
	s_and_saveexec_b64 s[24:25], s[26:27]
	s_xor_b64 s[24:25], exec, s[24:25]
	s_cbranch_execz .LBB242_10
.LBB242_17:                             ;   in Loop: Header=BB242_8 Depth=1
	ds_write_b32 v21, v17
	s_andn2_b64 s[22:23], s[22:23], exec
	s_or_b64 exec, exec, s[24:25]
	v_mov_b32_e32 v0, 0
	s_and_saveexec_b64 s[24:25], s[22:23]
	s_cbranch_execnz .LBB242_11
	s_branch .LBB242_12
.LBB242_18:
	s_load_dwordx2 s[2:3], s[0:1], 0x60
	s_load_dwordx4 s[8:11], s[0:1], 0x50
	v_add_u32_e32 v10, s29, v9
	v_ashrrev_i32_e32 v1, 31, v10
	v_add_u32_e32 v0, s5, v11
	s_waitcnt lgkmcnt(0)
	s_mul_i32 s1, s3, s4
	s_mul_hi_u32 s3, s2, s4
	s_mul_i32 s0, s2, s4
	s_add_i32 s1, s3, s1
	s_lshl_b64 s[0:1], s[0:1], 3
	s_add_u32 s4, s8, s0
	s_addc_u32 s5, s9, s1
	v_cmp_neq_f32_e64 s[0:1], s6, 0
	s_xor_b64 s[8:9], s[14:15], -1
	v_mul_lo_u32 v1, s10, v1
	v_mul_lo_u32 v4, s11, v10
	v_mad_u64_u32 v[2:3], s[14:15], s10, v10, 0
	v_add3_u32 v3, v3, v1, v4
	s_or_b64 s[0:1], s[0:1], s[8:9]
	v_cmp_gt_i32_e64 s[2:3], s28, v10
	v_lshl_add_u64 v[4:5], v[2:3], 3, s[4:5]
	v_cmp_le_i32_e32 vcc, v0, v10
	v_cndmask_b32_e64 v2, 0, 1, s[0:1]
	s_and_b64 s[14:15], s[2:3], vcc
	v_ashrrev_i32_e32 v1, 31, v0
	v_cmp_ne_u32_e64 s[0:1], 1, v2
	s_and_saveexec_b64 s[8:9], s[14:15]
	s_cbranch_execz .LBB242_22
; %bb.19:
	v_pk_mul_f32 v[6:7], v[34:35], s[12:13] op_sel:[0,1] op_sel_hi:[0,0]
	v_pk_fma_f32 v[2:3], v[32:33], s[12:13], v[6:7] op_sel_hi:[0,1,1] neg_lo:[0,0,1] neg_hi:[0,0,1]
	v_pk_fma_f32 v[8:9], v[32:33], s[12:13], v[6:7] op_sel_hi:[0,1,1]
	s_and_b64 vcc, exec, s[0:1]
	v_lshl_add_u64 v[6:7], v[0:1], 3, v[4:5]
	s_cbranch_vccnz .LBB242_21
; %bb.20:
	global_load_dwordx2 v[12:13], v[6:7], off
	s_mov_b32 s14, s7
	v_mov_b32_e32 v3, v9
	s_waitcnt vmcnt(0)
	v_pk_mul_f32 v[8:9], v[12:13], s[14:15] op_sel:[1,0] op_sel_hi:[0,0]
	v_pk_fma_f32 v[14:15], v[12:13], s[6:7], v[8:9] neg_lo:[0,0,1] neg_hi:[0,0,1]
	v_pk_fma_f32 v[8:9], v[12:13], s[6:7], v[8:9] op_sel_hi:[1,0,1]
	s_nop 0
	v_mov_b32_e32 v15, v9
	v_pk_add_f32 v[2:3], v[2:3], v[14:15]
	s_nop 0
	v_mov_b32_e32 v9, v3
.LBB242_21:
	v_mov_b32_e32 v3, v9
	global_store_dwordx2 v[6:7], v[2:3], off
.LBB242_22:
	s_or_b64 exec, exec, s[8:9]
	v_add_u32_e32 v2, 16, v0
	v_cmp_le_i32_e32 vcc, v2, v10
	s_and_b64 s[8:9], s[2:3], vcc
	v_ashrrev_i32_e32 v3, 31, v2
	s_and_saveexec_b64 s[2:3], s[8:9]
	s_cbranch_execz .LBB242_26
; %bb.23:
	v_pk_mul_f32 v[8:9], v[30:31], s[12:13] op_sel:[0,1] op_sel_hi:[0,0]
	v_pk_fma_f32 v[6:7], v[28:29], s[12:13], v[8:9] op_sel_hi:[0,1,1] neg_lo:[0,0,1] neg_hi:[0,0,1]
	v_pk_fma_f32 v[8:9], v[28:29], s[12:13], v[8:9] op_sel_hi:[0,1,1]
	s_and_b64 vcc, exec, s[0:1]
	v_lshl_add_u64 v[4:5], v[2:3], 3, v[4:5]
	s_cbranch_vccnz .LBB242_25
; %bb.24:
	global_load_dwordx2 v[12:13], v[4:5], off
	s_mov_b32 s8, s7
	v_mov_b32_e32 v7, v9
	s_waitcnt vmcnt(0)
	v_pk_mul_f32 v[8:9], v[12:13], s[8:9] op_sel:[1,0] op_sel_hi:[0,0]
	v_pk_fma_f32 v[14:15], v[12:13], s[6:7], v[8:9] neg_lo:[0,0,1] neg_hi:[0,0,1]
	v_pk_fma_f32 v[8:9], v[12:13], s[6:7], v[8:9] op_sel_hi:[1,0,1]
	s_nop 0
	v_mov_b32_e32 v15, v9
	v_pk_add_f32 v[6:7], v[6:7], v[14:15]
	s_nop 0
	v_mov_b32_e32 v9, v7
.LBB242_25:
	v_mov_b32_e32 v7, v9
	global_store_dwordx2 v[4:5], v[6:7], off
.LBB242_26:
	s_or_b64 exec, exec, s[2:3]
	v_add_u32_e32 v10, 16, v10
	v_ashrrev_i32_e32 v4, 31, v10
	v_mul_lo_u32 v6, s10, v4
	v_mul_lo_u32 v7, s11, v10
	v_mad_u64_u32 v[4:5], s[8:9], s10, v10, 0
	v_cmp_gt_i32_e64 s[2:3], s28, v10
	v_add3_u32 v5, v5, v6, v7
	v_cmp_le_i32_e32 vcc, v0, v10
	v_lshl_add_u64 v[4:5], v[4:5], 3, s[4:5]
	s_and_b64 s[8:9], s[2:3], vcc
	s_and_saveexec_b64 s[4:5], s[8:9]
	s_cbranch_execz .LBB242_30
; %bb.27:
	v_pk_mul_f32 v[8:9], v[26:27], s[12:13] op_sel:[0,1] op_sel_hi:[0,0]
	v_pk_fma_f32 v[6:7], v[24:25], s[12:13], v[8:9] op_sel_hi:[0,1,1] neg_lo:[0,0,1] neg_hi:[0,0,1]
	v_pk_fma_f32 v[8:9], v[24:25], s[12:13], v[8:9] op_sel_hi:[0,1,1]
	s_and_b64 vcc, exec, s[0:1]
	v_lshl_add_u64 v[0:1], v[0:1], 3, v[4:5]
	s_cbranch_vccnz .LBB242_29
; %bb.28:
	global_load_dwordx2 v[12:13], v[0:1], off
	s_mov_b32 s8, s7
	v_mov_b32_e32 v7, v9
	s_waitcnt vmcnt(0)
	v_pk_mul_f32 v[8:9], v[12:13], s[8:9] op_sel:[1,0] op_sel_hi:[0,0]
	v_pk_fma_f32 v[14:15], v[12:13], s[6:7], v[8:9] neg_lo:[0,0,1] neg_hi:[0,0,1]
	v_pk_fma_f32 v[8:9], v[12:13], s[6:7], v[8:9] op_sel_hi:[1,0,1]
	s_nop 0
	v_mov_b32_e32 v15, v9
	v_pk_add_f32 v[6:7], v[6:7], v[14:15]
	s_nop 0
	v_mov_b32_e32 v9, v7
.LBB242_29:
	v_mov_b32_e32 v7, v9
	global_store_dwordx2 v[0:1], v[6:7], off
.LBB242_30:
	s_or_b64 exec, exec, s[4:5]
	v_cmp_le_i32_e32 vcc, v2, v10
	s_and_b64 s[2:3], s[2:3], vcc
	s_and_saveexec_b64 s[4:5], s[2:3]
	s_cbranch_execz .LBB242_34
; %bb.31:
	v_pk_mul_f32 v[6:7], v[22:23], s[12:13] op_sel:[0,1] op_sel_hi:[0,0]
	v_pk_fma_f32 v[0:1], v[20:21], s[12:13], v[6:7] op_sel_hi:[0,1,1] neg_lo:[0,0,1] neg_hi:[0,0,1]
	v_pk_fma_f32 v[6:7], v[20:21], s[12:13], v[6:7] op_sel_hi:[0,1,1]
	s_and_b64 vcc, exec, s[0:1]
	v_lshl_add_u64 v[2:3], v[2:3], 3, v[4:5]
	s_cbranch_vccnz .LBB242_33
; %bb.32:
	global_load_dwordx2 v[4:5], v[2:3], off
	s_mov_b32 s0, s7
	v_mov_b32_e32 v1, v7
	s_waitcnt vmcnt(0)
	v_pk_mul_f32 v[6:7], v[4:5], s[0:1] op_sel:[1,0] op_sel_hi:[0,0]
	v_pk_fma_f32 v[8:9], v[4:5], s[6:7], v[6:7] neg_lo:[0,0,1] neg_hi:[0,0,1]
	v_pk_fma_f32 v[4:5], v[4:5], s[6:7], v[6:7] op_sel_hi:[1,0,1]
	s_nop 0
	v_mov_b32_e32 v9, v5
	v_pk_add_f32 v[0:1], v[0:1], v[8:9]
	s_nop 0
	v_mov_b32_e32 v7, v1
.LBB242_33:
	v_mov_b32_e32 v1, v7
	global_store_dwordx2 v[2:3], v[0:1], off
.LBB242_34:
	s_endpgm
	.section	.rodata,"a",@progbits
	.p2align	6, 0x0
	.amdhsa_kernel _ZL29rocblas_internal_gemmt_kernelIlLi16ELi32ELi8ELc67ELc67ELc85ELb1ELb1E19rocblas_complex_numIfES1_PKS1_PS1_EviT_T9_T10_S5_lS7_S5_lS6_T11_S5_li
		.amdhsa_group_segment_fixed_size 4096
		.amdhsa_private_segment_fixed_size 0
		.amdhsa_kernarg_size 108
		.amdhsa_user_sgpr_count 2
		.amdhsa_user_sgpr_dispatch_ptr 0
		.amdhsa_user_sgpr_queue_ptr 0
		.amdhsa_user_sgpr_kernarg_segment_ptr 1
		.amdhsa_user_sgpr_dispatch_id 0
		.amdhsa_user_sgpr_kernarg_preload_length 0
		.amdhsa_user_sgpr_kernarg_preload_offset 0
		.amdhsa_user_sgpr_private_segment_size 0
		.amdhsa_uses_dynamic_stack 0
		.amdhsa_enable_private_segment 0
		.amdhsa_system_sgpr_workgroup_id_x 1
		.amdhsa_system_sgpr_workgroup_id_y 1
		.amdhsa_system_sgpr_workgroup_id_z 1
		.amdhsa_system_sgpr_workgroup_info 0
		.amdhsa_system_vgpr_workitem_id 1
		.amdhsa_next_free_vgpr 53
		.amdhsa_next_free_sgpr 32
		.amdhsa_accum_offset 56
		.amdhsa_reserve_vcc 1
		.amdhsa_float_round_mode_32 0
		.amdhsa_float_round_mode_16_64 0
		.amdhsa_float_denorm_mode_32 3
		.amdhsa_float_denorm_mode_16_64 3
		.amdhsa_dx10_clamp 1
		.amdhsa_ieee_mode 1
		.amdhsa_fp16_overflow 0
		.amdhsa_tg_split 0
		.amdhsa_exception_fp_ieee_invalid_op 0
		.amdhsa_exception_fp_denorm_src 0
		.amdhsa_exception_fp_ieee_div_zero 0
		.amdhsa_exception_fp_ieee_overflow 0
		.amdhsa_exception_fp_ieee_underflow 0
		.amdhsa_exception_fp_ieee_inexact 0
		.amdhsa_exception_int_div_zero 0
	.end_amdhsa_kernel
	.section	.text._ZL29rocblas_internal_gemmt_kernelIlLi16ELi32ELi8ELc67ELc67ELc85ELb1ELb1E19rocblas_complex_numIfES1_PKS1_PS1_EviT_T9_T10_S5_lS7_S5_lS6_T11_S5_li,"axG",@progbits,_ZL29rocblas_internal_gemmt_kernelIlLi16ELi32ELi8ELc67ELc67ELc85ELb1ELb1E19rocblas_complex_numIfES1_PKS1_PS1_EviT_T9_T10_S5_lS7_S5_lS6_T11_S5_li,comdat
.Lfunc_end242:
	.size	_ZL29rocblas_internal_gemmt_kernelIlLi16ELi32ELi8ELc67ELc67ELc85ELb1ELb1E19rocblas_complex_numIfES1_PKS1_PS1_EviT_T9_T10_S5_lS7_S5_lS6_T11_S5_li, .Lfunc_end242-_ZL29rocblas_internal_gemmt_kernelIlLi16ELi32ELi8ELc67ELc67ELc85ELb1ELb1E19rocblas_complex_numIfES1_PKS1_PS1_EviT_T9_T10_S5_lS7_S5_lS6_T11_S5_li
                                        ; -- End function
	.set _ZL29rocblas_internal_gemmt_kernelIlLi16ELi32ELi8ELc67ELc67ELc85ELb1ELb1E19rocblas_complex_numIfES1_PKS1_PS1_EviT_T9_T10_S5_lS7_S5_lS6_T11_S5_li.num_vgpr, 53
	.set _ZL29rocblas_internal_gemmt_kernelIlLi16ELi32ELi8ELc67ELc67ELc85ELb1ELb1E19rocblas_complex_numIfES1_PKS1_PS1_EviT_T9_T10_S5_lS7_S5_lS6_T11_S5_li.num_agpr, 0
	.set _ZL29rocblas_internal_gemmt_kernelIlLi16ELi32ELi8ELc67ELc67ELc85ELb1ELb1E19rocblas_complex_numIfES1_PKS1_PS1_EviT_T9_T10_S5_lS7_S5_lS6_T11_S5_li.numbered_sgpr, 32
	.set _ZL29rocblas_internal_gemmt_kernelIlLi16ELi32ELi8ELc67ELc67ELc85ELb1ELb1E19rocblas_complex_numIfES1_PKS1_PS1_EviT_T9_T10_S5_lS7_S5_lS6_T11_S5_li.num_named_barrier, 0
	.set _ZL29rocblas_internal_gemmt_kernelIlLi16ELi32ELi8ELc67ELc67ELc85ELb1ELb1E19rocblas_complex_numIfES1_PKS1_PS1_EviT_T9_T10_S5_lS7_S5_lS6_T11_S5_li.private_seg_size, 0
	.set _ZL29rocblas_internal_gemmt_kernelIlLi16ELi32ELi8ELc67ELc67ELc85ELb1ELb1E19rocblas_complex_numIfES1_PKS1_PS1_EviT_T9_T10_S5_lS7_S5_lS6_T11_S5_li.uses_vcc, 1
	.set _ZL29rocblas_internal_gemmt_kernelIlLi16ELi32ELi8ELc67ELc67ELc85ELb1ELb1E19rocblas_complex_numIfES1_PKS1_PS1_EviT_T9_T10_S5_lS7_S5_lS6_T11_S5_li.uses_flat_scratch, 0
	.set _ZL29rocblas_internal_gemmt_kernelIlLi16ELi32ELi8ELc67ELc67ELc85ELb1ELb1E19rocblas_complex_numIfES1_PKS1_PS1_EviT_T9_T10_S5_lS7_S5_lS6_T11_S5_li.has_dyn_sized_stack, 0
	.set _ZL29rocblas_internal_gemmt_kernelIlLi16ELi32ELi8ELc67ELc67ELc85ELb1ELb1E19rocblas_complex_numIfES1_PKS1_PS1_EviT_T9_T10_S5_lS7_S5_lS6_T11_S5_li.has_recursion, 0
	.set _ZL29rocblas_internal_gemmt_kernelIlLi16ELi32ELi8ELc67ELc67ELc85ELb1ELb1E19rocblas_complex_numIfES1_PKS1_PS1_EviT_T9_T10_S5_lS7_S5_lS6_T11_S5_li.has_indirect_call, 0
	.section	.AMDGPU.csdata,"",@progbits
; Kernel info:
; codeLenInByte = 2676
; TotalNumSgprs: 38
; NumVgprs: 53
; NumAgprs: 0
; TotalNumVgprs: 53
; ScratchSize: 0
; MemoryBound: 0
; FloatMode: 240
; IeeeMode: 1
; LDSByteSize: 4096 bytes/workgroup (compile time only)
; SGPRBlocks: 4
; VGPRBlocks: 6
; NumSGPRsForWavesPerEU: 38
; NumVGPRsForWavesPerEU: 53
; AccumOffset: 56
; Occupancy: 8
; WaveLimiterHint : 0
; COMPUTE_PGM_RSRC2:SCRATCH_EN: 0
; COMPUTE_PGM_RSRC2:USER_SGPR: 2
; COMPUTE_PGM_RSRC2:TRAP_HANDLER: 0
; COMPUTE_PGM_RSRC2:TGID_X_EN: 1
; COMPUTE_PGM_RSRC2:TGID_Y_EN: 1
; COMPUTE_PGM_RSRC2:TGID_Z_EN: 1
; COMPUTE_PGM_RSRC2:TIDIG_COMP_CNT: 1
; COMPUTE_PGM_RSRC3_GFX90A:ACCUM_OFFSET: 13
; COMPUTE_PGM_RSRC3_GFX90A:TG_SPLIT: 0
	.section	.text._ZL29rocblas_internal_gemmt_kernelIlLi16ELi32ELi8ELc78ELc78ELc76ELb0ELb0E19rocblas_complex_numIfES1_PKS1_PS1_EviT_T9_T10_S5_lS7_S5_lS6_T11_S5_li,"axG",@progbits,_ZL29rocblas_internal_gemmt_kernelIlLi16ELi32ELi8ELc78ELc78ELc76ELb0ELb0E19rocblas_complex_numIfES1_PKS1_PS1_EviT_T9_T10_S5_lS7_S5_lS6_T11_S5_li,comdat
	.globl	_ZL29rocblas_internal_gemmt_kernelIlLi16ELi32ELi8ELc78ELc78ELc76ELb0ELb0E19rocblas_complex_numIfES1_PKS1_PS1_EviT_T9_T10_S5_lS7_S5_lS6_T11_S5_li ; -- Begin function _ZL29rocblas_internal_gemmt_kernelIlLi16ELi32ELi8ELc78ELc78ELc76ELb0ELb0E19rocblas_complex_numIfES1_PKS1_PS1_EviT_T9_T10_S5_lS7_S5_lS6_T11_S5_li
	.p2align	8
	.type	_ZL29rocblas_internal_gemmt_kernelIlLi16ELi32ELi8ELc78ELc78ELc76ELb0ELb0E19rocblas_complex_numIfES1_PKS1_PS1_EviT_T9_T10_S5_lS7_S5_lS6_T11_S5_li,@function
_ZL29rocblas_internal_gemmt_kernelIlLi16ELi32ELi8ELc78ELc78ELc76ELb0ELb0E19rocblas_complex_numIfES1_PKS1_PS1_EviT_T9_T10_S5_lS7_S5_lS6_T11_S5_li: ; @_ZL29rocblas_internal_gemmt_kernelIlLi16ELi32ELi8ELc78ELc78ELc76ELb0ELb0E19rocblas_complex_numIfES1_PKS1_PS1_EviT_T9_T10_S5_lS7_S5_lS6_T11_S5_li
; %bb.0:
	s_load_dwordx2 s[16:17], s[0:1], 0x48
	s_load_dwordx2 s[18:19], s[0:1], 0x10
	s_waitcnt lgkmcnt(0)
	s_and_b32 s5, s17, 0x7fffffff
	s_cmp_eq_u32 s5, 0
	v_cmp_eq_f32_e64 s[6:7], s16, 1.0
	s_cselect_b64 s[20:21], -1, 0
	s_and_b64 s[6:7], s[6:7], s[20:21]
	s_and_b64 vcc, exec, s[6:7]
	s_cbranch_vccnz .LBB243_2
; %bb.1:
	s_mov_b64 s[6:7], -1
	s_load_dwordx2 s[22:23], s[0:1], 0x8
	s_cbranch_execz .LBB243_3
	s_branch .LBB243_4
.LBB243_2:
	s_mov_b64 s[6:7], 0
	s_load_dwordx2 s[22:23], s[0:1], 0x8
.LBB243_3:
	s_waitcnt lgkmcnt(0)
	s_cmp_lg_u64 s[22:23], 0
	v_cmp_neq_f32_e64 s[8:9], s18, 0
	v_cmp_neq_f32_e64 s[10:11], s19, 0
	s_cselect_b64 s[6:7], -1, 0
	s_or_b64 s[8:9], s[8:9], s[10:11]
	s_and_b64 s[6:7], s[6:7], s[8:9]
.LBB243_4:
	s_andn2_b64 vcc, exec, s[6:7]
	s_cbranch_vccnz .LBB243_30
; %bb.5:
	s_load_dword s24, s[0:1], 0x0
	s_lshl_b32 s25, s2, 5
	s_lshl_b32 s5, s3, 5
	v_cmp_eq_f32_e64 s[2:3], s18, 0
	v_cmp_eq_f32_e64 s[6:7], s19, 0
	s_and_b64 s[2:3], s[2:3], s[6:7]
	s_waitcnt lgkmcnt(0)
	v_cmp_lt_i64_e64 s[6:7], s[22:23], 1
	s_or_b64 s[2:3], s[2:3], s[6:7]
	v_and_b32_e32 v11, 0x3ff, v0
	v_bfe_u32 v9, v0, 10, 10
	v_mov_b32_e32 v30, 0
	s_and_b64 vcc, exec, s[2:3]
	v_mov_b32_e32 v32, 0
	v_mov_b32_e32 v26, 0
	;; [unrolled: 1-line block ×7, first 2 shown]
	s_cbranch_vccnz .LBB243_14
; %bb.6:
	s_load_dwordx8 s[8:15], s[0:1], 0x18
	s_load_dwordx4 s[28:31], s[0:1], 0x38
	v_lshl_add_u32 v0, v9, 4, v11
	v_and_b32_e32 v1, 31, v0
	v_lshrrev_b32_e32 v10, 5, v0
	v_lshrrev_b32_e32 v2, 3, v0
	s_waitcnt lgkmcnt(0)
	s_mul_i32 s2, s31, s4
	s_mul_hi_u32 s3, s30, s4
	s_add_i32 s3, s3, s2
	s_mul_i32 s2, s30, s4
	s_lshl_b64 s[2:3], s[2:3], 3
	s_add_u32 s14, s14, s2
	s_addc_u32 s15, s15, s3
	s_mul_i32 s2, s13, s4
	s_mul_hi_u32 s3, s12, s4
	s_add_i32 s3, s3, s2
	s_mul_i32 s2, s12, s4
	s_lshl_b64 s[2:3], s[2:3], 3
	v_or_b32_e32 v0, s25, v1
	s_add_u32 s6, s8, s2
	v_lshlrev_b32_e32 v1, 3, v1
	v_and_b32_e32 v8, 7, v11
	s_addc_u32 s7, s9, s3
	v_lshl_or_b32 v19, v10, 8, v1
	v_ashrrev_i32_e32 v1, 31, v0
	v_cmp_gt_i32_e64 s[2:3], s24, v0
	v_lshl_add_u64 v[12:13], v[0:1], 3, s[6:7]
	v_lshlrev_b32_e32 v0, 3, v8
	v_add_u32_e32 v3, s5, v2
	v_lshl_or_b32 v0, v2, 6, v0
	v_add_u32_e32 v21, 0x800, v0
	v_ashrrev_i32_e32 v0, 31, v3
	v_mul_lo_u32 v2, s28, v0
	v_mul_lo_u32 v4, s29, v3
	v_mad_u64_u32 v[0:1], s[8:9], s28, v3, 0
	v_add3_u32 v1, v1, v2, v4
	v_lshl_add_u64 v[14:15], v[0:1], 3, s[14:15]
	v_mov_b32_e32 v0, 0x800
	v_cmp_gt_i32_e64 s[6:7], s24, v3
	v_lshlrev_b32_e32 v23, 3, v11
	v_lshl_add_u32 v25, v9, 6, v0
	v_mov_b32_e32 v17, 0
	s_mov_b64 s[8:9], 0
	v_mov_b32_e32 v20, 0
	v_mov_b32_e32 v18, 0
	;; [unrolled: 1-line block ×8, first 2 shown]
	s_branch .LBB243_8
.LBB243_7:                              ;   in Loop: Header=BB243_8 Depth=1
	s_or_b64 exec, exec, s[12:13]
	s_waitcnt vmcnt(0)
	ds_write_b64 v21, v[0:1]
	s_waitcnt lgkmcnt(0)
	s_barrier
	ds_read2_b64 v[34:37], v23 offset1:16
	ds_read_b128 v[38:41], v25
	ds_read_b128 v[42:45], v25 offset:16
	ds_read_b128 v[4:7], v25 offset:32
	;; [unrolled: 1-line block ×3, first 2 shown]
	s_add_u32 s8, s8, 8
	s_waitcnt lgkmcnt(3)
	v_mul_f32_e32 v16, v39, v35
	v_mul_f32_e32 v27, v38, v35
	v_fma_f32 v16, v38, v34, -v16
	v_fmac_f32_e32 v27, v39, v34
	v_add_f32_e32 v16, v30, v16
	v_add_f32_e32 v50, v32, v27
	ds_read_b128 v[30:33], v25 offset:1024
	v_mul_f32_e32 v27, v39, v37
	v_mul_f32_e32 v29, v38, v37
	v_fma_f32 v27, v38, v36, -v27
	v_fmac_f32_e32 v29, v39, v36
	v_add_f32_e32 v38, v26, v27
	v_add_f32_e32 v39, v28, v29
	ds_read_b128 v[26:29], v25 offset:1040
	s_waitcnt lgkmcnt(1)
	v_mul_f32_e32 v46, v31, v35
	v_fma_f32 v46, v30, v34, -v46
	v_add_f32_e32 v22, v22, v46
	ds_read2_b64 v[46:49], v23 offset0:32 offset1:48
	v_mul_f32_e32 v35, v30, v35
	v_fmac_f32_e32 v35, v31, v34
	v_mul_f32_e32 v34, v31, v37
	v_fma_f32 v34, v30, v36, -v34
	v_mul_f32_e32 v30, v30, v37
	v_fmac_f32_e32 v30, v31, v36
	v_add_f32_e32 v20, v20, v30
	s_waitcnt lgkmcnt(0)
	v_mul_f32_e32 v30, v41, v47
	v_mul_f32_e32 v31, v40, v47
	v_fma_f32 v30, v40, v46, -v30
	v_fmac_f32_e32 v31, v41, v46
	v_add_f32_e32 v18, v18, v34
	v_add_f32_e32 v16, v16, v30
	;; [unrolled: 1-line block ×3, first 2 shown]
	v_mul_f32_e32 v31, v41, v49
	v_mul_f32_e32 v34, v40, v49
	v_fma_f32 v31, v40, v48, -v31
	v_fmac_f32_e32 v34, v41, v48
	v_add_f32_e32 v31, v38, v31
	v_add_f32_e32 v38, v39, v34
	v_mul_f32_e32 v34, v33, v47
	v_add_f32_e32 v24, v24, v35
	v_fma_f32 v34, v32, v46, -v34
	v_mul_f32_e32 v35, v32, v47
	v_fmac_f32_e32 v35, v33, v46
	v_add_f32_e32 v22, v22, v34
	v_mul_f32_e32 v34, v33, v49
	v_add_f32_e32 v24, v24, v35
	v_fma_f32 v39, v32, v48, -v34
	ds_read2_b64 v[34:37], v23 offset0:64 offset1:80
	v_mul_f32_e32 v32, v32, v49
	v_fmac_f32_e32 v32, v33, v48
	v_add_f32_e32 v18, v18, v39
	v_add_f32_e32 v20, v20, v32
	s_waitcnt lgkmcnt(0)
	v_mul_f32_e32 v33, v42, v35
	v_fmac_f32_e32 v33, v43, v34
	v_add_f32_e32 v39, v30, v33
	v_mul_f32_e32 v30, v43, v37
	v_mul_f32_e32 v32, v43, v35
	v_fma_f32 v30, v42, v36, -v30
	v_fma_f32 v32, v42, v34, -v32
	v_add_f32_e32 v40, v31, v30
	v_mul_f32_e32 v30, v27, v35
	v_add_f32_e32 v16, v16, v32
	v_mul_f32_e32 v32, v42, v37
	v_fma_f32 v30, v26, v34, -v30
	v_mul_f32_e32 v31, v26, v35
	v_fmac_f32_e32 v32, v43, v36
	v_fmac_f32_e32 v31, v27, v34
	v_add_f32_e32 v22, v22, v30
	v_mul_f32_e32 v30, v27, v37
	v_add_f32_e32 v38, v38, v32
	v_add_f32_e32 v24, v24, v31
	v_fma_f32 v34, v26, v36, -v30
	ds_read2_b64 v[30:33], v23 offset0:96 offset1:112
	v_mul_f32_e32 v26, v26, v37
	v_fmac_f32_e32 v26, v27, v36
	v_add_f32_e32 v20, v20, v26
	v_add_f32_e32 v18, v18, v34
	s_waitcnt lgkmcnt(0)
	v_mul_f32_e32 v26, v45, v31
	v_mul_f32_e32 v27, v44, v31
	v_fma_f32 v26, v44, v30, -v26
	v_fmac_f32_e32 v27, v45, v30
	v_add_f32_e32 v16, v16, v26
	v_add_f32_e32 v26, v39, v27
	v_mul_f32_e32 v27, v45, v33
	v_mul_f32_e32 v34, v44, v33
	v_fma_f32 v27, v44, v32, -v27
	v_fmac_f32_e32 v34, v45, v32
	v_add_f32_e32 v39, v40, v27
	v_add_f32_e32 v38, v38, v34
	v_mul_f32_e32 v27, v29, v31
	ds_read2_b64 v[34:37], v23 offset0:128 offset1:144
	v_fma_f32 v27, v28, v30, -v27
	v_add_f32_e32 v22, v22, v27
	v_mul_f32_e32 v27, v29, v33
	v_mul_f32_e32 v31, v28, v31
	v_fma_f32 v27, v28, v32, -v27
	v_mul_f32_e32 v28, v28, v33
	v_fmac_f32_e32 v28, v29, v32
	v_add_f32_e32 v20, v20, v28
	s_waitcnt lgkmcnt(0)
	v_mul_f32_e32 v28, v4, v35
	v_add_f32_e32 v18, v18, v27
	v_mul_f32_e32 v27, v5, v35
	v_fmac_f32_e32 v28, v5, v34
	v_fma_f32 v27, v4, v34, -v27
	v_add_f32_e32 v42, v26, v28
	v_mul_f32_e32 v26, v5, v37
	v_fmac_f32_e32 v31, v29, v30
	v_add_f32_e32 v16, v16, v27
	v_fma_f32 v30, v4, v36, -v26
	ds_read_b128 v[26:29], v25 offset:1056
	v_mul_f32_e32 v4, v4, v37
	v_fmac_f32_e32 v4, v5, v36
	v_add_f32_e32 v5, v39, v30
	v_add_f32_e32 v4, v38, v4
	ds_read_b128 v[38:41], v25 offset:1072
	s_waitcnt lgkmcnt(1)
	v_mul_f32_e32 v30, v27, v35
	v_add_f32_e32 v24, v24, v31
	v_fma_f32 v30, v26, v34, -v30
	v_mul_f32_e32 v31, v26, v35
	v_fmac_f32_e32 v31, v27, v34
	v_add_f32_e32 v22, v22, v30
	v_mul_f32_e32 v30, v27, v37
	v_add_f32_e32 v24, v24, v31
	v_fma_f32 v34, v26, v36, -v30
	ds_read2_b64 v[30:33], v23 offset0:160 offset1:176
	v_mul_f32_e32 v26, v26, v37
	v_fmac_f32_e32 v26, v27, v36
	v_add_f32_e32 v20, v20, v26
	v_add_f32_e32 v18, v18, v34
	s_waitcnt lgkmcnt(0)
	v_mul_f32_e32 v26, v7, v31
	v_mul_f32_e32 v27, v6, v31
	v_fma_f32 v26, v6, v30, -v26
	v_fmac_f32_e32 v27, v7, v30
	v_add_f32_e32 v16, v16, v26
	v_add_f32_e32 v26, v42, v27
	v_mul_f32_e32 v27, v7, v33
	v_fma_f32 v27, v6, v32, -v27
	v_mul_f32_e32 v6, v6, v33
	v_fmac_f32_e32 v6, v7, v32
	v_add_f32_e32 v34, v4, v6
	v_mul_f32_e32 v4, v29, v31
	v_add_f32_e32 v27, v5, v27
	v_fma_f32 v4, v28, v30, -v4
	v_mul_f32_e32 v5, v28, v31
	v_fmac_f32_e32 v5, v29, v30
	v_add_f32_e32 v22, v22, v4
	v_mul_f32_e32 v4, v29, v33
	v_add_f32_e32 v24, v24, v5
	v_fma_f32 v30, v28, v32, -v4
	ds_read2_b64 v[4:7], v23 offset0:192 offset1:208
	v_mul_f32_e32 v28, v28, v33
	v_fmac_f32_e32 v28, v29, v32
	v_add_f32_e32 v20, v20, v28
	v_add_f32_e32 v18, v18, v30
	s_waitcnt lgkmcnt(0)
	v_mul_f32_e32 v28, v1, v5
	v_fma_f32 v28, v0, v4, -v28
	v_add_f32_e32 v16, v16, v28
	v_mul_f32_e32 v28, v1, v7
	v_mul_f32_e32 v29, v0, v5
	v_fma_f32 v28, v0, v6, -v28
	v_mul_f32_e32 v0, v0, v7
	v_fmac_f32_e32 v0, v1, v6
	v_add_f32_e32 v0, v34, v0
	ds_read2_b64 v[34:37], v23 offset0:224 offset1:240
	v_fmac_f32_e32 v29, v1, v4
	v_add_f32_e32 v1, v27, v28
	v_mul_f32_e32 v27, v39, v5
	v_fma_f32 v27, v38, v4, -v27
	v_mul_f32_e32 v5, v38, v5
	v_fmac_f32_e32 v5, v39, v4
	v_add_f32_e32 v4, v22, v27
	v_mul_f32_e32 v22, v39, v7
	v_fma_f32 v22, v38, v6, -v22
	v_mul_f32_e32 v7, v38, v7
	v_fmac_f32_e32 v7, v39, v6
	v_add_f32_e32 v6, v18, v22
	s_waitcnt lgkmcnt(0)
	v_mul_f32_e32 v18, v3, v35
	v_fma_f32 v18, v2, v34, -v18
	v_add_f32_e32 v30, v16, v18
	v_mul_f32_e32 v16, v3, v37
	v_add_f32_e32 v7, v20, v7
	v_mul_f32_e32 v20, v2, v35
	v_fma_f32 v16, v2, v36, -v16
	v_mul_f32_e32 v2, v2, v37
	v_add_f32_e32 v26, v26, v29
	v_fmac_f32_e32 v20, v3, v34
	v_fmac_f32_e32 v2, v3, v36
	v_add_f32_e32 v32, v26, v20
	v_add_f32_e32 v26, v1, v16
	;; [unrolled: 1-line block ×3, first 2 shown]
	v_mul_f32_e32 v0, v41, v35
	v_mul_f32_e32 v1, v40, v35
	v_add_f32_e32 v5, v24, v5
	v_fma_f32 v0, v40, v34, -v0
	v_fmac_f32_e32 v1, v41, v34
	v_add_f32_e32 v22, v4, v0
	v_add_f32_e32 v24, v5, v1
	v_mul_f32_e32 v0, v41, v37
	v_mul_f32_e32 v1, v40, v37
	v_fma_f32 v0, v40, v36, -v0
	v_fmac_f32_e32 v1, v41, v36
	s_addc_u32 s9, s9, 0
	v_add_f32_e32 v18, v6, v0
	v_add_f32_e32 v20, v7, v1
	v_mov_b64_e32 v[0:1], s[8:9]
	v_cmp_gt_i64_e32 vcc, s[22:23], v[0:1]
	s_barrier
	s_cbranch_vccz .LBB243_14
.LBB243_8:                              ; =>This Inner Loop Header: Depth=1
	v_mov_b32_e32 v0, 0
	v_mov_b32_e32 v1, 0
	s_and_saveexec_b64 s[12:13], s[2:3]
	s_cbranch_execz .LBB243_12
; %bb.9:                                ;   in Loop: Header=BB243_8 Depth=1
	v_add_u32_e32 v16, s8, v10
	v_cmp_gt_u64_e32 vcc, s[22:23], v[16:17]
	v_mov_b32_e32 v1, 0
	v_mov_b32_e32 v0, 0
	s_and_saveexec_b64 s[14:15], vcc
	s_cbranch_execz .LBB243_11
; %bb.10:                               ;   in Loop: Header=BB243_8 Depth=1
	v_mad_u64_u32 v[0:1], s[26:27], s10, v16, 0
	v_mov_b32_e32 v2, v1
	v_mad_u64_u32 v[2:3], s[26:27], s11, v16, v[2:3]
	v_mov_b32_e32 v1, v2
	v_lshl_add_u64 v[0:1], v[0:1], 3, v[12:13]
	global_load_dwordx2 v[0:1], v[0:1], off
.LBB243_11:                             ;   in Loop: Header=BB243_8 Depth=1
	s_or_b64 exec, exec, s[14:15]
.LBB243_12:                             ;   in Loop: Header=BB243_8 Depth=1
	s_or_b64 exec, exec, s[12:13]
	v_add_u32_e32 v16, s8, v8
	v_cmp_gt_u64_e32 vcc, s[22:23], v[16:17]
	s_waitcnt vmcnt(0)
	ds_write_b64 v19, v[0:1]
	s_and_b64 s[14:15], vcc, s[6:7]
	v_mov_b32_e32 v0, 0
	v_mov_b32_e32 v1, 0
	s_and_saveexec_b64 s[12:13], s[14:15]
	s_cbranch_execz .LBB243_7
; %bb.13:                               ;   in Loop: Header=BB243_8 Depth=1
	v_lshl_add_u64 v[0:1], v[16:17], 3, v[14:15]
	global_load_dwordx2 v[0:1], v[0:1], off
	s_branch .LBB243_7
.LBB243_14:
	s_load_dwordx2 s[2:3], s[0:1], 0x60
	s_load_dwordx4 s[8:11], s[0:1], 0x50
	v_add_u32_e32 v10, s5, v9
	v_ashrrev_i32_e32 v1, 31, v10
	v_add_u32_e32 v0, s25, v11
	s_waitcnt lgkmcnt(0)
	s_mul_i32 s1, s3, s4
	s_mul_hi_u32 s3, s2, s4
	s_mul_i32 s0, s2, s4
	s_add_i32 s1, s3, s1
	s_lshl_b64 s[0:1], s[0:1], 3
	s_add_u32 s6, s8, s0
	s_addc_u32 s7, s9, s1
	v_cmp_neq_f32_e64 s[0:1], s16, 0
	s_xor_b64 s[4:5], s[20:21], -1
	v_mul_lo_u32 v1, s10, v1
	v_mul_lo_u32 v4, s11, v10
	v_mad_u64_u32 v[2:3], s[2:3], s10, v10, 0
	v_add3_u32 v3, v3, v1, v4
	s_or_b64 s[0:1], s[0:1], s[4:5]
	v_lshl_add_u64 v[4:5], v[2:3], 3, s[6:7]
	v_cmp_le_i32_e32 vcc, v10, v0
	v_cmp_gt_i32_e64 s[2:3], s24, v0
	v_cndmask_b32_e64 v2, 0, 1, s[0:1]
	s_and_b64 s[8:9], vcc, s[2:3]
	v_ashrrev_i32_e32 v1, 31, v0
	v_cmp_ne_u32_e64 s[0:1], 1, v2
	s_and_saveexec_b64 s[4:5], s[8:9]
	s_cbranch_execz .LBB243_18
; %bb.15:
	v_pk_mul_f32 v[6:7], v[32:33], s[18:19] op_sel:[0,1] op_sel_hi:[0,0]
	v_pk_fma_f32 v[2:3], v[30:31], s[18:19], v[6:7] op_sel_hi:[0,1,1] neg_lo:[0,0,1] neg_hi:[0,0,1]
	v_pk_fma_f32 v[8:9], v[30:31], s[18:19], v[6:7] op_sel_hi:[0,1,1]
	s_and_b64 vcc, exec, s[0:1]
	v_lshl_add_u64 v[6:7], v[0:1], 3, v[4:5]
	s_cbranch_vccnz .LBB243_17
; %bb.16:
	global_load_dwordx2 v[12:13], v[6:7], off
	s_mov_b32 s8, s17
	v_mov_b32_e32 v3, v9
	s_waitcnt vmcnt(0)
	v_pk_mul_f32 v[8:9], v[12:13], s[8:9] op_sel:[1,0] op_sel_hi:[0,0]
	v_pk_fma_f32 v[14:15], v[12:13], s[16:17], v[8:9] neg_lo:[0,0,1] neg_hi:[0,0,1]
	v_pk_fma_f32 v[8:9], v[12:13], s[16:17], v[8:9] op_sel_hi:[1,0,1]
	s_nop 0
	v_mov_b32_e32 v15, v9
	v_pk_add_f32 v[2:3], v[2:3], v[14:15]
	s_nop 0
	v_mov_b32_e32 v9, v3
.LBB243_17:
	v_mov_b32_e32 v3, v9
	global_store_dwordx2 v[6:7], v[2:3], off
.LBB243_18:
	s_or_b64 exec, exec, s[4:5]
	v_add_u32_e32 v2, 16, v0
	v_cmp_le_i32_e32 vcc, v10, v2
	v_cmp_gt_i32_e64 s[4:5], s24, v2
	s_and_b64 s[12:13], vcc, s[4:5]
	v_ashrrev_i32_e32 v3, 31, v2
	s_and_saveexec_b64 s[8:9], s[12:13]
	s_cbranch_execz .LBB243_22
; %bb.19:
	v_pk_mul_f32 v[8:9], v[28:29], s[18:19] op_sel:[0,1] op_sel_hi:[0,0]
	v_pk_fma_f32 v[6:7], v[26:27], s[18:19], v[8:9] op_sel_hi:[0,1,1] neg_lo:[0,0,1] neg_hi:[0,0,1]
	v_pk_fma_f32 v[8:9], v[26:27], s[18:19], v[8:9] op_sel_hi:[0,1,1]
	s_and_b64 vcc, exec, s[0:1]
	v_lshl_add_u64 v[4:5], v[2:3], 3, v[4:5]
	s_cbranch_vccnz .LBB243_21
; %bb.20:
	global_load_dwordx2 v[12:13], v[4:5], off
	s_mov_b32 s12, s17
	v_mov_b32_e32 v7, v9
	s_waitcnt vmcnt(0)
	v_pk_mul_f32 v[8:9], v[12:13], s[12:13] op_sel:[1,0] op_sel_hi:[0,0]
	v_pk_fma_f32 v[14:15], v[12:13], s[16:17], v[8:9] neg_lo:[0,0,1] neg_hi:[0,0,1]
	v_pk_fma_f32 v[8:9], v[12:13], s[16:17], v[8:9] op_sel_hi:[1,0,1]
	s_nop 0
	v_mov_b32_e32 v15, v9
	v_pk_add_f32 v[6:7], v[6:7], v[14:15]
	s_nop 0
	v_mov_b32_e32 v9, v7
.LBB243_21:
	v_mov_b32_e32 v7, v9
	global_store_dwordx2 v[4:5], v[6:7], off
.LBB243_22:
	s_or_b64 exec, exec, s[8:9]
	v_add_u32_e32 v10, 16, v10
	v_ashrrev_i32_e32 v4, 31, v10
	v_mul_lo_u32 v6, s10, v4
	v_mul_lo_u32 v7, s11, v10
	v_mad_u64_u32 v[4:5], s[8:9], s10, v10, 0
	v_add3_u32 v5, v5, v6, v7
	v_cmp_le_i32_e32 vcc, v10, v0
	v_lshl_add_u64 v[4:5], v[4:5], 3, s[6:7]
	s_and_b64 s[6:7], vcc, s[2:3]
	s_and_saveexec_b64 s[2:3], s[6:7]
	s_cbranch_execz .LBB243_26
; %bb.23:
	v_pk_mul_f32 v[8:9], v[24:25], s[18:19] op_sel:[0,1] op_sel_hi:[0,0]
	v_pk_fma_f32 v[6:7], v[22:23], s[18:19], v[8:9] op_sel_hi:[0,1,1] neg_lo:[0,0,1] neg_hi:[0,0,1]
	v_pk_fma_f32 v[8:9], v[22:23], s[18:19], v[8:9] op_sel_hi:[0,1,1]
	s_and_b64 vcc, exec, s[0:1]
	v_lshl_add_u64 v[0:1], v[0:1], 3, v[4:5]
	s_cbranch_vccnz .LBB243_25
; %bb.24:
	global_load_dwordx2 v[12:13], v[0:1], off
	s_mov_b32 s6, s17
	v_mov_b32_e32 v7, v9
	s_waitcnt vmcnt(0)
	v_pk_mul_f32 v[8:9], v[12:13], s[6:7] op_sel:[1,0] op_sel_hi:[0,0]
	v_pk_fma_f32 v[14:15], v[12:13], s[16:17], v[8:9] neg_lo:[0,0,1] neg_hi:[0,0,1]
	v_pk_fma_f32 v[8:9], v[12:13], s[16:17], v[8:9] op_sel_hi:[1,0,1]
	s_nop 0
	v_mov_b32_e32 v15, v9
	v_pk_add_f32 v[6:7], v[6:7], v[14:15]
	s_nop 0
	v_mov_b32_e32 v9, v7
.LBB243_25:
	v_mov_b32_e32 v7, v9
	global_store_dwordx2 v[0:1], v[6:7], off
.LBB243_26:
	s_or_b64 exec, exec, s[2:3]
	v_cmp_le_i32_e32 vcc, v10, v2
	s_and_b64 s[2:3], vcc, s[4:5]
	s_and_saveexec_b64 s[4:5], s[2:3]
	s_cbranch_execz .LBB243_30
; %bb.27:
	v_pk_mul_f32 v[6:7], v[20:21], s[18:19] op_sel:[0,1] op_sel_hi:[0,0]
	v_pk_fma_f32 v[0:1], v[18:19], s[18:19], v[6:7] op_sel_hi:[0,1,1] neg_lo:[0,0,1] neg_hi:[0,0,1]
	v_pk_fma_f32 v[6:7], v[18:19], s[18:19], v[6:7] op_sel_hi:[0,1,1]
	s_and_b64 vcc, exec, s[0:1]
	v_lshl_add_u64 v[2:3], v[2:3], 3, v[4:5]
	s_cbranch_vccnz .LBB243_29
; %bb.28:
	global_load_dwordx2 v[4:5], v[2:3], off
	s_mov_b32 s0, s17
	v_mov_b32_e32 v1, v7
	s_waitcnt vmcnt(0)
	v_pk_mul_f32 v[6:7], v[4:5], s[0:1] op_sel:[1,0] op_sel_hi:[0,0]
	v_pk_fma_f32 v[8:9], v[4:5], s[16:17], v[6:7] neg_lo:[0,0,1] neg_hi:[0,0,1]
	v_pk_fma_f32 v[4:5], v[4:5], s[16:17], v[6:7] op_sel_hi:[1,0,1]
	s_nop 0
	v_mov_b32_e32 v9, v5
	v_pk_add_f32 v[0:1], v[0:1], v[8:9]
	s_nop 0
	v_mov_b32_e32 v7, v1
.LBB243_29:
	v_mov_b32_e32 v1, v7
	global_store_dwordx2 v[2:3], v[0:1], off
.LBB243_30:
	s_endpgm
	.section	.rodata,"a",@progbits
	.p2align	6, 0x0
	.amdhsa_kernel _ZL29rocblas_internal_gemmt_kernelIlLi16ELi32ELi8ELc78ELc78ELc76ELb0ELb0E19rocblas_complex_numIfES1_PKS1_PS1_EviT_T9_T10_S5_lS7_S5_lS6_T11_S5_li
		.amdhsa_group_segment_fixed_size 4096
		.amdhsa_private_segment_fixed_size 0
		.amdhsa_kernarg_size 108
		.amdhsa_user_sgpr_count 2
		.amdhsa_user_sgpr_dispatch_ptr 0
		.amdhsa_user_sgpr_queue_ptr 0
		.amdhsa_user_sgpr_kernarg_segment_ptr 1
		.amdhsa_user_sgpr_dispatch_id 0
		.amdhsa_user_sgpr_kernarg_preload_length 0
		.amdhsa_user_sgpr_kernarg_preload_offset 0
		.amdhsa_user_sgpr_private_segment_size 0
		.amdhsa_uses_dynamic_stack 0
		.amdhsa_enable_private_segment 0
		.amdhsa_system_sgpr_workgroup_id_x 1
		.amdhsa_system_sgpr_workgroup_id_y 1
		.amdhsa_system_sgpr_workgroup_id_z 1
		.amdhsa_system_sgpr_workgroup_info 0
		.amdhsa_system_vgpr_workitem_id 1
		.amdhsa_next_free_vgpr 51
		.amdhsa_next_free_sgpr 32
		.amdhsa_accum_offset 52
		.amdhsa_reserve_vcc 1
		.amdhsa_float_round_mode_32 0
		.amdhsa_float_round_mode_16_64 0
		.amdhsa_float_denorm_mode_32 3
		.amdhsa_float_denorm_mode_16_64 3
		.amdhsa_dx10_clamp 1
		.amdhsa_ieee_mode 1
		.amdhsa_fp16_overflow 0
		.amdhsa_tg_split 0
		.amdhsa_exception_fp_ieee_invalid_op 0
		.amdhsa_exception_fp_denorm_src 0
		.amdhsa_exception_fp_ieee_div_zero 0
		.amdhsa_exception_fp_ieee_overflow 0
		.amdhsa_exception_fp_ieee_underflow 0
		.amdhsa_exception_fp_ieee_inexact 0
		.amdhsa_exception_int_div_zero 0
	.end_amdhsa_kernel
	.section	.text._ZL29rocblas_internal_gemmt_kernelIlLi16ELi32ELi8ELc78ELc78ELc76ELb0ELb0E19rocblas_complex_numIfES1_PKS1_PS1_EviT_T9_T10_S5_lS7_S5_lS6_T11_S5_li,"axG",@progbits,_ZL29rocblas_internal_gemmt_kernelIlLi16ELi32ELi8ELc78ELc78ELc76ELb0ELb0E19rocblas_complex_numIfES1_PKS1_PS1_EviT_T9_T10_S5_lS7_S5_lS6_T11_S5_li,comdat
.Lfunc_end243:
	.size	_ZL29rocblas_internal_gemmt_kernelIlLi16ELi32ELi8ELc78ELc78ELc76ELb0ELb0E19rocblas_complex_numIfES1_PKS1_PS1_EviT_T9_T10_S5_lS7_S5_lS6_T11_S5_li, .Lfunc_end243-_ZL29rocblas_internal_gemmt_kernelIlLi16ELi32ELi8ELc78ELc78ELc76ELb0ELb0E19rocblas_complex_numIfES1_PKS1_PS1_EviT_T9_T10_S5_lS7_S5_lS6_T11_S5_li
                                        ; -- End function
	.set _ZL29rocblas_internal_gemmt_kernelIlLi16ELi32ELi8ELc78ELc78ELc76ELb0ELb0E19rocblas_complex_numIfES1_PKS1_PS1_EviT_T9_T10_S5_lS7_S5_lS6_T11_S5_li.num_vgpr, 51
	.set _ZL29rocblas_internal_gemmt_kernelIlLi16ELi32ELi8ELc78ELc78ELc76ELb0ELb0E19rocblas_complex_numIfES1_PKS1_PS1_EviT_T9_T10_S5_lS7_S5_lS6_T11_S5_li.num_agpr, 0
	.set _ZL29rocblas_internal_gemmt_kernelIlLi16ELi32ELi8ELc78ELc78ELc76ELb0ELb0E19rocblas_complex_numIfES1_PKS1_PS1_EviT_T9_T10_S5_lS7_S5_lS6_T11_S5_li.numbered_sgpr, 32
	.set _ZL29rocblas_internal_gemmt_kernelIlLi16ELi32ELi8ELc78ELc78ELc76ELb0ELb0E19rocblas_complex_numIfES1_PKS1_PS1_EviT_T9_T10_S5_lS7_S5_lS6_T11_S5_li.num_named_barrier, 0
	.set _ZL29rocblas_internal_gemmt_kernelIlLi16ELi32ELi8ELc78ELc78ELc76ELb0ELb0E19rocblas_complex_numIfES1_PKS1_PS1_EviT_T9_T10_S5_lS7_S5_lS6_T11_S5_li.private_seg_size, 0
	.set _ZL29rocblas_internal_gemmt_kernelIlLi16ELi32ELi8ELc78ELc78ELc76ELb0ELb0E19rocblas_complex_numIfES1_PKS1_PS1_EviT_T9_T10_S5_lS7_S5_lS6_T11_S5_li.uses_vcc, 1
	.set _ZL29rocblas_internal_gemmt_kernelIlLi16ELi32ELi8ELc78ELc78ELc76ELb0ELb0E19rocblas_complex_numIfES1_PKS1_PS1_EviT_T9_T10_S5_lS7_S5_lS6_T11_S5_li.uses_flat_scratch, 0
	.set _ZL29rocblas_internal_gemmt_kernelIlLi16ELi32ELi8ELc78ELc78ELc76ELb0ELb0E19rocblas_complex_numIfES1_PKS1_PS1_EviT_T9_T10_S5_lS7_S5_lS6_T11_S5_li.has_dyn_sized_stack, 0
	.set _ZL29rocblas_internal_gemmt_kernelIlLi16ELi32ELi8ELc78ELc78ELc76ELb0ELb0E19rocblas_complex_numIfES1_PKS1_PS1_EviT_T9_T10_S5_lS7_S5_lS6_T11_S5_li.has_recursion, 0
	.set _ZL29rocblas_internal_gemmt_kernelIlLi16ELi32ELi8ELc78ELc78ELc76ELb0ELb0E19rocblas_complex_numIfES1_PKS1_PS1_EviT_T9_T10_S5_lS7_S5_lS6_T11_S5_li.has_indirect_call, 0
	.section	.AMDGPU.csdata,"",@progbits
; Kernel info:
; codeLenInByte = 2544
; TotalNumSgprs: 38
; NumVgprs: 51
; NumAgprs: 0
; TotalNumVgprs: 51
; ScratchSize: 0
; MemoryBound: 0
; FloatMode: 240
; IeeeMode: 1
; LDSByteSize: 4096 bytes/workgroup (compile time only)
; SGPRBlocks: 4
; VGPRBlocks: 6
; NumSGPRsForWavesPerEU: 38
; NumVGPRsForWavesPerEU: 51
; AccumOffset: 52
; Occupancy: 8
; WaveLimiterHint : 0
; COMPUTE_PGM_RSRC2:SCRATCH_EN: 0
; COMPUTE_PGM_RSRC2:USER_SGPR: 2
; COMPUTE_PGM_RSRC2:TRAP_HANDLER: 0
; COMPUTE_PGM_RSRC2:TGID_X_EN: 1
; COMPUTE_PGM_RSRC2:TGID_Y_EN: 1
; COMPUTE_PGM_RSRC2:TGID_Z_EN: 1
; COMPUTE_PGM_RSRC2:TIDIG_COMP_CNT: 1
; COMPUTE_PGM_RSRC3_GFX90A:ACCUM_OFFSET: 12
; COMPUTE_PGM_RSRC3_GFX90A:TG_SPLIT: 0
	.section	.text._ZL29rocblas_internal_gemmt_kernelIlLi16ELi32ELi8ELc78ELc84ELc76ELb0ELb0E19rocblas_complex_numIfES1_PKS1_PS1_EviT_T9_T10_S5_lS7_S5_lS6_T11_S5_li,"axG",@progbits,_ZL29rocblas_internal_gemmt_kernelIlLi16ELi32ELi8ELc78ELc84ELc76ELb0ELb0E19rocblas_complex_numIfES1_PKS1_PS1_EviT_T9_T10_S5_lS7_S5_lS6_T11_S5_li,comdat
	.globl	_ZL29rocblas_internal_gemmt_kernelIlLi16ELi32ELi8ELc78ELc84ELc76ELb0ELb0E19rocblas_complex_numIfES1_PKS1_PS1_EviT_T9_T10_S5_lS7_S5_lS6_T11_S5_li ; -- Begin function _ZL29rocblas_internal_gemmt_kernelIlLi16ELi32ELi8ELc78ELc84ELc76ELb0ELb0E19rocblas_complex_numIfES1_PKS1_PS1_EviT_T9_T10_S5_lS7_S5_lS6_T11_S5_li
	.p2align	8
	.type	_ZL29rocblas_internal_gemmt_kernelIlLi16ELi32ELi8ELc78ELc84ELc76ELb0ELb0E19rocblas_complex_numIfES1_PKS1_PS1_EviT_T9_T10_S5_lS7_S5_lS6_T11_S5_li,@function
_ZL29rocblas_internal_gemmt_kernelIlLi16ELi32ELi8ELc78ELc84ELc76ELb0ELb0E19rocblas_complex_numIfES1_PKS1_PS1_EviT_T9_T10_S5_lS7_S5_lS6_T11_S5_li: ; @_ZL29rocblas_internal_gemmt_kernelIlLi16ELi32ELi8ELc78ELc84ELc76ELb0ELb0E19rocblas_complex_numIfES1_PKS1_PS1_EviT_T9_T10_S5_lS7_S5_lS6_T11_S5_li
; %bb.0:
	s_load_dwordx2 s[20:21], s[0:1], 0x48
	s_load_dwordx2 s[22:23], s[0:1], 0x10
	s_waitcnt lgkmcnt(0)
	s_and_b32 s5, s21, 0x7fffffff
	s_cmp_eq_u32 s5, 0
	v_cmp_eq_f32_e64 s[6:7], s20, 1.0
	s_cselect_b64 s[24:25], -1, 0
	s_and_b64 s[6:7], s[6:7], s[24:25]
	s_and_b64 vcc, exec, s[6:7]
	s_cbranch_vccnz .LBB244_2
; %bb.1:
	s_mov_b64 s[6:7], -1
	s_load_dwordx2 s[26:27], s[0:1], 0x8
	s_cbranch_execz .LBB244_3
	s_branch .LBB244_4
.LBB244_2:
	s_mov_b64 s[6:7], 0
	s_load_dwordx2 s[26:27], s[0:1], 0x8
.LBB244_3:
	s_waitcnt lgkmcnt(0)
	s_cmp_lg_u64 s[26:27], 0
	v_cmp_neq_f32_e64 s[8:9], s22, 0
	v_cmp_neq_f32_e64 s[10:11], s23, 0
	s_cselect_b64 s[6:7], -1, 0
	s_or_b64 s[8:9], s[8:9], s[10:11]
	s_and_b64 s[6:7], s[6:7], s[8:9]
.LBB244_4:
	s_andn2_b64 vcc, exec, s[6:7]
	s_cbranch_vccnz .LBB244_30
; %bb.5:
	s_load_dword s28, s[0:1], 0x0
	s_lshl_b32 s29, s2, 5
	s_lshl_b32 s5, s3, 5
	v_cmp_eq_f32_e64 s[2:3], s22, 0
	v_cmp_eq_f32_e64 s[6:7], s23, 0
	s_and_b64 s[2:3], s[2:3], s[6:7]
	s_waitcnt lgkmcnt(0)
	v_cmp_lt_i64_e64 s[6:7], s[26:27], 1
	s_or_b64 s[2:3], s[2:3], s[6:7]
	v_and_b32_e32 v11, 0x3ff, v0
	v_bfe_u32 v9, v0, 10, 10
	v_mov_b32_e32 v30, 0
	s_and_b64 vcc, exec, s[2:3]
	v_mov_b32_e32 v32, 0
	v_mov_b32_e32 v26, 0
	;; [unrolled: 1-line block ×7, first 2 shown]
	s_cbranch_vccnz .LBB244_14
; %bb.6:
	s_load_dwordx8 s[8:15], s[0:1], 0x18
	s_load_dwordx4 s[16:19], s[0:1], 0x38
	v_lshl_add_u32 v1, v9, 4, v11
	v_lshrrev_b32_e32 v10, 5, v1
	v_lshrrev_b32_e32 v4, 3, v1
	v_and_b32_e32 v1, 31, v1
	s_waitcnt lgkmcnt(0)
	s_mul_i32 s2, s19, s4
	s_mul_hi_u32 s3, s18, s4
	s_add_i32 s3, s3, s2
	s_mul_i32 s2, s18, s4
	s_lshl_b64 s[2:3], s[2:3], 3
	s_add_u32 s14, s14, s2
	s_addc_u32 s15, s15, s3
	s_mul_i32 s2, s13, s4
	s_mul_hi_u32 s3, s12, s4
	v_and_b32_e32 v8, 7, v11
	v_or_b32_e32 v2, s29, v1
	s_add_i32 s3, s3, s2
	s_mul_i32 s2, s12, s4
	v_lshlrev_b32_e32 v1, 3, v1
	s_lshl_b64 s[2:3], s[2:3], 3
	v_lshl_or_b32 v19, v10, 8, v1
	v_lshlrev_b32_e32 v1, 3, v8
	v_add_u32_e32 v0, s5, v4
	s_add_u32 s6, s8, s2
	v_lshl_or_b32 v1, v4, 6, v1
	s_addc_u32 s7, s9, s3
	v_ashrrev_i32_e32 v3, 31, v2
	v_add_u32_e32 v21, 0x800, v1
	v_ashrrev_i32_e32 v1, 31, v0
	v_lshl_add_u64 v[12:13], v[2:3], 3, s[6:7]
	v_cmp_gt_i32_e64 s[6:7], s28, v0
	v_lshl_add_u64 v[14:15], v[0:1], 3, s[14:15]
	v_mov_b32_e32 v0, 0x800
	v_cmp_gt_i32_e64 s[2:3], s28, v2
	v_lshlrev_b32_e32 v23, 3, v11
	v_lshl_add_u32 v25, v9, 6, v0
	v_mov_b32_e32 v17, 0
	s_mov_b64 s[8:9], 0
	v_mov_b32_e32 v20, 0
	v_mov_b32_e32 v18, 0
	;; [unrolled: 1-line block ×8, first 2 shown]
	s_branch .LBB244_8
.LBB244_7:                              ;   in Loop: Header=BB244_8 Depth=1
	s_or_b64 exec, exec, s[12:13]
	s_waitcnt vmcnt(0)
	ds_write_b64 v21, v[0:1]
	s_waitcnt lgkmcnt(0)
	s_barrier
	ds_read2_b64 v[34:37], v23 offset1:16
	ds_read_b128 v[38:41], v25
	ds_read_b128 v[42:45], v25 offset:16
	ds_read_b128 v[4:7], v25 offset:32
	;; [unrolled: 1-line block ×3, first 2 shown]
	s_add_u32 s8, s8, 8
	s_waitcnt lgkmcnt(3)
	v_mul_f32_e32 v16, v39, v35
	v_mul_f32_e32 v27, v38, v35
	v_fma_f32 v16, v38, v34, -v16
	v_fmac_f32_e32 v27, v39, v34
	v_add_f32_e32 v16, v30, v16
	v_add_f32_e32 v50, v32, v27
	ds_read_b128 v[30:33], v25 offset:1024
	v_mul_f32_e32 v27, v39, v37
	v_mul_f32_e32 v29, v38, v37
	v_fma_f32 v27, v38, v36, -v27
	v_fmac_f32_e32 v29, v39, v36
	v_add_f32_e32 v38, v26, v27
	v_add_f32_e32 v39, v28, v29
	ds_read_b128 v[26:29], v25 offset:1040
	s_waitcnt lgkmcnt(1)
	v_mul_f32_e32 v46, v31, v35
	v_fma_f32 v46, v30, v34, -v46
	v_add_f32_e32 v22, v22, v46
	ds_read2_b64 v[46:49], v23 offset0:32 offset1:48
	v_mul_f32_e32 v35, v30, v35
	v_fmac_f32_e32 v35, v31, v34
	v_mul_f32_e32 v34, v31, v37
	v_fma_f32 v34, v30, v36, -v34
	v_mul_f32_e32 v30, v30, v37
	v_fmac_f32_e32 v30, v31, v36
	v_add_f32_e32 v20, v20, v30
	s_waitcnt lgkmcnt(0)
	v_mul_f32_e32 v30, v41, v47
	v_mul_f32_e32 v31, v40, v47
	v_fma_f32 v30, v40, v46, -v30
	v_fmac_f32_e32 v31, v41, v46
	v_add_f32_e32 v18, v18, v34
	v_add_f32_e32 v16, v16, v30
	;; [unrolled: 1-line block ×3, first 2 shown]
	v_mul_f32_e32 v31, v41, v49
	v_mul_f32_e32 v34, v40, v49
	v_fma_f32 v31, v40, v48, -v31
	v_fmac_f32_e32 v34, v41, v48
	v_add_f32_e32 v31, v38, v31
	v_add_f32_e32 v38, v39, v34
	v_mul_f32_e32 v34, v33, v47
	v_add_f32_e32 v24, v24, v35
	v_fma_f32 v34, v32, v46, -v34
	v_mul_f32_e32 v35, v32, v47
	v_fmac_f32_e32 v35, v33, v46
	v_add_f32_e32 v22, v22, v34
	v_mul_f32_e32 v34, v33, v49
	v_add_f32_e32 v24, v24, v35
	v_fma_f32 v39, v32, v48, -v34
	ds_read2_b64 v[34:37], v23 offset0:64 offset1:80
	v_mul_f32_e32 v32, v32, v49
	v_fmac_f32_e32 v32, v33, v48
	v_add_f32_e32 v18, v18, v39
	v_add_f32_e32 v20, v20, v32
	s_waitcnt lgkmcnt(0)
	v_mul_f32_e32 v33, v42, v35
	v_fmac_f32_e32 v33, v43, v34
	v_add_f32_e32 v39, v30, v33
	v_mul_f32_e32 v30, v43, v37
	v_mul_f32_e32 v32, v43, v35
	v_fma_f32 v30, v42, v36, -v30
	v_fma_f32 v32, v42, v34, -v32
	v_add_f32_e32 v40, v31, v30
	v_mul_f32_e32 v30, v27, v35
	v_add_f32_e32 v16, v16, v32
	v_mul_f32_e32 v32, v42, v37
	v_fma_f32 v30, v26, v34, -v30
	v_mul_f32_e32 v31, v26, v35
	v_fmac_f32_e32 v32, v43, v36
	v_fmac_f32_e32 v31, v27, v34
	v_add_f32_e32 v22, v22, v30
	v_mul_f32_e32 v30, v27, v37
	v_add_f32_e32 v38, v38, v32
	v_add_f32_e32 v24, v24, v31
	v_fma_f32 v34, v26, v36, -v30
	ds_read2_b64 v[30:33], v23 offset0:96 offset1:112
	v_mul_f32_e32 v26, v26, v37
	v_fmac_f32_e32 v26, v27, v36
	v_add_f32_e32 v20, v20, v26
	v_add_f32_e32 v18, v18, v34
	s_waitcnt lgkmcnt(0)
	v_mul_f32_e32 v26, v45, v31
	v_mul_f32_e32 v27, v44, v31
	v_fma_f32 v26, v44, v30, -v26
	v_fmac_f32_e32 v27, v45, v30
	v_add_f32_e32 v16, v16, v26
	v_add_f32_e32 v26, v39, v27
	v_mul_f32_e32 v27, v45, v33
	v_mul_f32_e32 v34, v44, v33
	v_fma_f32 v27, v44, v32, -v27
	v_fmac_f32_e32 v34, v45, v32
	v_add_f32_e32 v39, v40, v27
	v_add_f32_e32 v38, v38, v34
	v_mul_f32_e32 v27, v29, v31
	ds_read2_b64 v[34:37], v23 offset0:128 offset1:144
	v_fma_f32 v27, v28, v30, -v27
	v_add_f32_e32 v22, v22, v27
	v_mul_f32_e32 v27, v29, v33
	v_mul_f32_e32 v31, v28, v31
	v_fma_f32 v27, v28, v32, -v27
	v_mul_f32_e32 v28, v28, v33
	v_fmac_f32_e32 v28, v29, v32
	v_add_f32_e32 v20, v20, v28
	s_waitcnt lgkmcnt(0)
	v_mul_f32_e32 v28, v4, v35
	v_add_f32_e32 v18, v18, v27
	v_mul_f32_e32 v27, v5, v35
	v_fmac_f32_e32 v28, v5, v34
	v_fma_f32 v27, v4, v34, -v27
	v_add_f32_e32 v42, v26, v28
	v_mul_f32_e32 v26, v5, v37
	v_fmac_f32_e32 v31, v29, v30
	v_add_f32_e32 v16, v16, v27
	v_fma_f32 v30, v4, v36, -v26
	ds_read_b128 v[26:29], v25 offset:1056
	v_mul_f32_e32 v4, v4, v37
	v_fmac_f32_e32 v4, v5, v36
	v_add_f32_e32 v5, v39, v30
	v_add_f32_e32 v4, v38, v4
	ds_read_b128 v[38:41], v25 offset:1072
	s_waitcnt lgkmcnt(1)
	v_mul_f32_e32 v30, v27, v35
	v_add_f32_e32 v24, v24, v31
	v_fma_f32 v30, v26, v34, -v30
	v_mul_f32_e32 v31, v26, v35
	v_fmac_f32_e32 v31, v27, v34
	v_add_f32_e32 v22, v22, v30
	v_mul_f32_e32 v30, v27, v37
	v_add_f32_e32 v24, v24, v31
	v_fma_f32 v34, v26, v36, -v30
	ds_read2_b64 v[30:33], v23 offset0:160 offset1:176
	v_mul_f32_e32 v26, v26, v37
	v_fmac_f32_e32 v26, v27, v36
	v_add_f32_e32 v20, v20, v26
	v_add_f32_e32 v18, v18, v34
	s_waitcnt lgkmcnt(0)
	v_mul_f32_e32 v26, v7, v31
	v_mul_f32_e32 v27, v6, v31
	v_fma_f32 v26, v6, v30, -v26
	v_fmac_f32_e32 v27, v7, v30
	v_add_f32_e32 v16, v16, v26
	v_add_f32_e32 v26, v42, v27
	v_mul_f32_e32 v27, v7, v33
	v_fma_f32 v27, v6, v32, -v27
	v_mul_f32_e32 v6, v6, v33
	v_fmac_f32_e32 v6, v7, v32
	v_add_f32_e32 v34, v4, v6
	v_mul_f32_e32 v4, v29, v31
	v_add_f32_e32 v27, v5, v27
	v_fma_f32 v4, v28, v30, -v4
	v_mul_f32_e32 v5, v28, v31
	v_fmac_f32_e32 v5, v29, v30
	v_add_f32_e32 v22, v22, v4
	v_mul_f32_e32 v4, v29, v33
	v_add_f32_e32 v24, v24, v5
	v_fma_f32 v30, v28, v32, -v4
	ds_read2_b64 v[4:7], v23 offset0:192 offset1:208
	v_mul_f32_e32 v28, v28, v33
	v_fmac_f32_e32 v28, v29, v32
	v_add_f32_e32 v20, v20, v28
	v_add_f32_e32 v18, v18, v30
	s_waitcnt lgkmcnt(0)
	v_mul_f32_e32 v28, v1, v5
	v_fma_f32 v28, v0, v4, -v28
	v_add_f32_e32 v16, v16, v28
	v_mul_f32_e32 v28, v1, v7
	v_mul_f32_e32 v29, v0, v5
	v_fma_f32 v28, v0, v6, -v28
	v_mul_f32_e32 v0, v0, v7
	v_fmac_f32_e32 v0, v1, v6
	v_add_f32_e32 v0, v34, v0
	ds_read2_b64 v[34:37], v23 offset0:224 offset1:240
	v_fmac_f32_e32 v29, v1, v4
	v_add_f32_e32 v1, v27, v28
	v_mul_f32_e32 v27, v39, v5
	v_fma_f32 v27, v38, v4, -v27
	v_mul_f32_e32 v5, v38, v5
	v_fmac_f32_e32 v5, v39, v4
	v_add_f32_e32 v4, v22, v27
	v_mul_f32_e32 v22, v39, v7
	v_fma_f32 v22, v38, v6, -v22
	v_mul_f32_e32 v7, v38, v7
	v_fmac_f32_e32 v7, v39, v6
	v_add_f32_e32 v6, v18, v22
	s_waitcnt lgkmcnt(0)
	v_mul_f32_e32 v18, v3, v35
	v_fma_f32 v18, v2, v34, -v18
	v_add_f32_e32 v30, v16, v18
	v_mul_f32_e32 v16, v3, v37
	v_add_f32_e32 v7, v20, v7
	v_mul_f32_e32 v20, v2, v35
	v_fma_f32 v16, v2, v36, -v16
	v_mul_f32_e32 v2, v2, v37
	v_add_f32_e32 v26, v26, v29
	v_fmac_f32_e32 v20, v3, v34
	v_fmac_f32_e32 v2, v3, v36
	v_add_f32_e32 v32, v26, v20
	v_add_f32_e32 v26, v1, v16
	;; [unrolled: 1-line block ×3, first 2 shown]
	v_mul_f32_e32 v0, v41, v35
	v_mul_f32_e32 v1, v40, v35
	v_add_f32_e32 v5, v24, v5
	v_fma_f32 v0, v40, v34, -v0
	v_fmac_f32_e32 v1, v41, v34
	v_add_f32_e32 v22, v4, v0
	v_add_f32_e32 v24, v5, v1
	v_mul_f32_e32 v0, v41, v37
	v_mul_f32_e32 v1, v40, v37
	v_fma_f32 v0, v40, v36, -v0
	v_fmac_f32_e32 v1, v41, v36
	s_addc_u32 s9, s9, 0
	v_add_f32_e32 v18, v6, v0
	v_add_f32_e32 v20, v7, v1
	v_mov_b64_e32 v[0:1], s[8:9]
	v_cmp_gt_i64_e32 vcc, s[26:27], v[0:1]
	s_barrier
	s_cbranch_vccz .LBB244_14
.LBB244_8:                              ; =>This Inner Loop Header: Depth=1
	v_mov_b32_e32 v0, 0
	v_mov_b32_e32 v1, 0
	s_and_saveexec_b64 s[12:13], s[2:3]
	s_cbranch_execz .LBB244_12
; %bb.9:                                ;   in Loop: Header=BB244_8 Depth=1
	v_add_u32_e32 v16, s8, v10
	v_cmp_gt_u64_e32 vcc, s[26:27], v[16:17]
	v_mov_b32_e32 v1, 0
	v_mov_b32_e32 v0, 0
	s_and_saveexec_b64 s[14:15], vcc
	s_cbranch_execz .LBB244_11
; %bb.10:                               ;   in Loop: Header=BB244_8 Depth=1
	v_mad_u64_u32 v[0:1], s[18:19], s10, v16, 0
	v_mov_b32_e32 v2, v1
	v_mad_u64_u32 v[2:3], s[18:19], s11, v16, v[2:3]
	v_mov_b32_e32 v1, v2
	v_lshl_add_u64 v[0:1], v[0:1], 3, v[12:13]
	global_load_dwordx2 v[0:1], v[0:1], off
.LBB244_11:                             ;   in Loop: Header=BB244_8 Depth=1
	s_or_b64 exec, exec, s[14:15]
.LBB244_12:                             ;   in Loop: Header=BB244_8 Depth=1
	s_or_b64 exec, exec, s[12:13]
	v_add_u32_e32 v16, s8, v8
	v_cmp_gt_u64_e32 vcc, s[26:27], v[16:17]
	s_waitcnt vmcnt(0)
	ds_write_b64 v19, v[0:1]
	s_and_b64 s[14:15], vcc, s[6:7]
	v_mov_b32_e32 v0, 0
	v_mov_b32_e32 v1, 0
	s_and_saveexec_b64 s[12:13], s[14:15]
	s_cbranch_execz .LBB244_7
; %bb.13:                               ;   in Loop: Header=BB244_8 Depth=1
	v_mad_u64_u32 v[0:1], s[14:15], s16, v16, 0
	v_mov_b32_e32 v2, v1
	v_mad_u64_u32 v[2:3], s[14:15], s17, v16, v[2:3]
	v_mov_b32_e32 v1, v2
	v_lshl_add_u64 v[0:1], v[0:1], 3, v[14:15]
	global_load_dwordx2 v[0:1], v[0:1], off
	s_branch .LBB244_7
.LBB244_14:
	s_load_dwordx2 s[2:3], s[0:1], 0x60
	s_load_dwordx4 s[8:11], s[0:1], 0x50
	v_add_u32_e32 v10, s5, v9
	v_ashrrev_i32_e32 v1, 31, v10
	v_add_u32_e32 v0, s29, v11
	s_waitcnt lgkmcnt(0)
	s_mul_i32 s1, s3, s4
	s_mul_hi_u32 s3, s2, s4
	s_mul_i32 s0, s2, s4
	s_add_i32 s1, s3, s1
	s_lshl_b64 s[0:1], s[0:1], 3
	s_add_u32 s6, s8, s0
	s_addc_u32 s7, s9, s1
	v_cmp_neq_f32_e64 s[0:1], s20, 0
	s_xor_b64 s[4:5], s[24:25], -1
	v_mul_lo_u32 v1, s10, v1
	v_mul_lo_u32 v4, s11, v10
	v_mad_u64_u32 v[2:3], s[2:3], s10, v10, 0
	v_add3_u32 v3, v3, v1, v4
	s_or_b64 s[0:1], s[0:1], s[4:5]
	v_lshl_add_u64 v[4:5], v[2:3], 3, s[6:7]
	v_cmp_le_i32_e32 vcc, v10, v0
	v_cmp_gt_i32_e64 s[2:3], s28, v0
	v_cndmask_b32_e64 v2, 0, 1, s[0:1]
	s_and_b64 s[8:9], vcc, s[2:3]
	v_ashrrev_i32_e32 v1, 31, v0
	v_cmp_ne_u32_e64 s[0:1], 1, v2
	s_and_saveexec_b64 s[4:5], s[8:9]
	s_cbranch_execz .LBB244_18
; %bb.15:
	v_pk_mul_f32 v[6:7], v[32:33], s[22:23] op_sel:[0,1] op_sel_hi:[0,0]
	v_pk_fma_f32 v[2:3], v[30:31], s[22:23], v[6:7] op_sel_hi:[0,1,1] neg_lo:[0,0,1] neg_hi:[0,0,1]
	v_pk_fma_f32 v[8:9], v[30:31], s[22:23], v[6:7] op_sel_hi:[0,1,1]
	s_and_b64 vcc, exec, s[0:1]
	v_lshl_add_u64 v[6:7], v[0:1], 3, v[4:5]
	s_cbranch_vccnz .LBB244_17
; %bb.16:
	global_load_dwordx2 v[12:13], v[6:7], off
	s_mov_b32 s8, s21
	v_mov_b32_e32 v3, v9
	s_waitcnt vmcnt(0)
	v_pk_mul_f32 v[8:9], v[12:13], s[8:9] op_sel:[1,0] op_sel_hi:[0,0]
	v_pk_fma_f32 v[14:15], v[12:13], s[20:21], v[8:9] neg_lo:[0,0,1] neg_hi:[0,0,1]
	v_pk_fma_f32 v[8:9], v[12:13], s[20:21], v[8:9] op_sel_hi:[1,0,1]
	s_nop 0
	v_mov_b32_e32 v15, v9
	v_pk_add_f32 v[2:3], v[2:3], v[14:15]
	s_nop 0
	v_mov_b32_e32 v9, v3
.LBB244_17:
	v_mov_b32_e32 v3, v9
	global_store_dwordx2 v[6:7], v[2:3], off
.LBB244_18:
	s_or_b64 exec, exec, s[4:5]
	v_add_u32_e32 v2, 16, v0
	v_cmp_le_i32_e32 vcc, v10, v2
	v_cmp_gt_i32_e64 s[4:5], s28, v2
	s_and_b64 s[12:13], vcc, s[4:5]
	v_ashrrev_i32_e32 v3, 31, v2
	s_and_saveexec_b64 s[8:9], s[12:13]
	s_cbranch_execz .LBB244_22
; %bb.19:
	v_pk_mul_f32 v[8:9], v[28:29], s[22:23] op_sel:[0,1] op_sel_hi:[0,0]
	v_pk_fma_f32 v[6:7], v[26:27], s[22:23], v[8:9] op_sel_hi:[0,1,1] neg_lo:[0,0,1] neg_hi:[0,0,1]
	v_pk_fma_f32 v[8:9], v[26:27], s[22:23], v[8:9] op_sel_hi:[0,1,1]
	s_and_b64 vcc, exec, s[0:1]
	v_lshl_add_u64 v[4:5], v[2:3], 3, v[4:5]
	s_cbranch_vccnz .LBB244_21
; %bb.20:
	global_load_dwordx2 v[12:13], v[4:5], off
	s_mov_b32 s12, s21
	v_mov_b32_e32 v7, v9
	s_waitcnt vmcnt(0)
	v_pk_mul_f32 v[8:9], v[12:13], s[12:13] op_sel:[1,0] op_sel_hi:[0,0]
	v_pk_fma_f32 v[14:15], v[12:13], s[20:21], v[8:9] neg_lo:[0,0,1] neg_hi:[0,0,1]
	v_pk_fma_f32 v[8:9], v[12:13], s[20:21], v[8:9] op_sel_hi:[1,0,1]
	s_nop 0
	v_mov_b32_e32 v15, v9
	v_pk_add_f32 v[6:7], v[6:7], v[14:15]
	s_nop 0
	v_mov_b32_e32 v9, v7
.LBB244_21:
	v_mov_b32_e32 v7, v9
	global_store_dwordx2 v[4:5], v[6:7], off
.LBB244_22:
	s_or_b64 exec, exec, s[8:9]
	v_add_u32_e32 v10, 16, v10
	v_ashrrev_i32_e32 v4, 31, v10
	v_mul_lo_u32 v6, s10, v4
	v_mul_lo_u32 v7, s11, v10
	v_mad_u64_u32 v[4:5], s[8:9], s10, v10, 0
	v_add3_u32 v5, v5, v6, v7
	v_cmp_le_i32_e32 vcc, v10, v0
	v_lshl_add_u64 v[4:5], v[4:5], 3, s[6:7]
	s_and_b64 s[6:7], vcc, s[2:3]
	s_and_saveexec_b64 s[2:3], s[6:7]
	s_cbranch_execz .LBB244_26
; %bb.23:
	v_pk_mul_f32 v[8:9], v[24:25], s[22:23] op_sel:[0,1] op_sel_hi:[0,0]
	v_pk_fma_f32 v[6:7], v[22:23], s[22:23], v[8:9] op_sel_hi:[0,1,1] neg_lo:[0,0,1] neg_hi:[0,0,1]
	v_pk_fma_f32 v[8:9], v[22:23], s[22:23], v[8:9] op_sel_hi:[0,1,1]
	s_and_b64 vcc, exec, s[0:1]
	v_lshl_add_u64 v[0:1], v[0:1], 3, v[4:5]
	s_cbranch_vccnz .LBB244_25
; %bb.24:
	global_load_dwordx2 v[12:13], v[0:1], off
	s_mov_b32 s6, s21
	v_mov_b32_e32 v7, v9
	s_waitcnt vmcnt(0)
	v_pk_mul_f32 v[8:9], v[12:13], s[6:7] op_sel:[1,0] op_sel_hi:[0,0]
	v_pk_fma_f32 v[14:15], v[12:13], s[20:21], v[8:9] neg_lo:[0,0,1] neg_hi:[0,0,1]
	v_pk_fma_f32 v[8:9], v[12:13], s[20:21], v[8:9] op_sel_hi:[1,0,1]
	s_nop 0
	v_mov_b32_e32 v15, v9
	v_pk_add_f32 v[6:7], v[6:7], v[14:15]
	s_nop 0
	v_mov_b32_e32 v9, v7
.LBB244_25:
	v_mov_b32_e32 v7, v9
	global_store_dwordx2 v[0:1], v[6:7], off
.LBB244_26:
	s_or_b64 exec, exec, s[2:3]
	v_cmp_le_i32_e32 vcc, v10, v2
	s_and_b64 s[2:3], vcc, s[4:5]
	s_and_saveexec_b64 s[4:5], s[2:3]
	s_cbranch_execz .LBB244_30
; %bb.27:
	v_pk_mul_f32 v[6:7], v[20:21], s[22:23] op_sel:[0,1] op_sel_hi:[0,0]
	v_pk_fma_f32 v[0:1], v[18:19], s[22:23], v[6:7] op_sel_hi:[0,1,1] neg_lo:[0,0,1] neg_hi:[0,0,1]
	v_pk_fma_f32 v[6:7], v[18:19], s[22:23], v[6:7] op_sel_hi:[0,1,1]
	s_and_b64 vcc, exec, s[0:1]
	v_lshl_add_u64 v[2:3], v[2:3], 3, v[4:5]
	s_cbranch_vccnz .LBB244_29
; %bb.28:
	global_load_dwordx2 v[4:5], v[2:3], off
	s_mov_b32 s0, s21
	v_mov_b32_e32 v1, v7
	s_waitcnt vmcnt(0)
	v_pk_mul_f32 v[6:7], v[4:5], s[0:1] op_sel:[1,0] op_sel_hi:[0,0]
	v_pk_fma_f32 v[8:9], v[4:5], s[20:21], v[6:7] neg_lo:[0,0,1] neg_hi:[0,0,1]
	v_pk_fma_f32 v[4:5], v[4:5], s[20:21], v[6:7] op_sel_hi:[1,0,1]
	s_nop 0
	v_mov_b32_e32 v9, v5
	v_pk_add_f32 v[0:1], v[0:1], v[8:9]
	s_nop 0
	v_mov_b32_e32 v7, v1
.LBB244_29:
	v_mov_b32_e32 v1, v7
	global_store_dwordx2 v[2:3], v[0:1], off
.LBB244_30:
	s_endpgm
	.section	.rodata,"a",@progbits
	.p2align	6, 0x0
	.amdhsa_kernel _ZL29rocblas_internal_gemmt_kernelIlLi16ELi32ELi8ELc78ELc84ELc76ELb0ELb0E19rocblas_complex_numIfES1_PKS1_PS1_EviT_T9_T10_S5_lS7_S5_lS6_T11_S5_li
		.amdhsa_group_segment_fixed_size 4096
		.amdhsa_private_segment_fixed_size 0
		.amdhsa_kernarg_size 108
		.amdhsa_user_sgpr_count 2
		.amdhsa_user_sgpr_dispatch_ptr 0
		.amdhsa_user_sgpr_queue_ptr 0
		.amdhsa_user_sgpr_kernarg_segment_ptr 1
		.amdhsa_user_sgpr_dispatch_id 0
		.amdhsa_user_sgpr_kernarg_preload_length 0
		.amdhsa_user_sgpr_kernarg_preload_offset 0
		.amdhsa_user_sgpr_private_segment_size 0
		.amdhsa_uses_dynamic_stack 0
		.amdhsa_enable_private_segment 0
		.amdhsa_system_sgpr_workgroup_id_x 1
		.amdhsa_system_sgpr_workgroup_id_y 1
		.amdhsa_system_sgpr_workgroup_id_z 1
		.amdhsa_system_sgpr_workgroup_info 0
		.amdhsa_system_vgpr_workitem_id 1
		.amdhsa_next_free_vgpr 51
		.amdhsa_next_free_sgpr 30
		.amdhsa_accum_offset 52
		.amdhsa_reserve_vcc 1
		.amdhsa_float_round_mode_32 0
		.amdhsa_float_round_mode_16_64 0
		.amdhsa_float_denorm_mode_32 3
		.amdhsa_float_denorm_mode_16_64 3
		.amdhsa_dx10_clamp 1
		.amdhsa_ieee_mode 1
		.amdhsa_fp16_overflow 0
		.amdhsa_tg_split 0
		.amdhsa_exception_fp_ieee_invalid_op 0
		.amdhsa_exception_fp_denorm_src 0
		.amdhsa_exception_fp_ieee_div_zero 0
		.amdhsa_exception_fp_ieee_overflow 0
		.amdhsa_exception_fp_ieee_underflow 0
		.amdhsa_exception_fp_ieee_inexact 0
		.amdhsa_exception_int_div_zero 0
	.end_amdhsa_kernel
	.section	.text._ZL29rocblas_internal_gemmt_kernelIlLi16ELi32ELi8ELc78ELc84ELc76ELb0ELb0E19rocblas_complex_numIfES1_PKS1_PS1_EviT_T9_T10_S5_lS7_S5_lS6_T11_S5_li,"axG",@progbits,_ZL29rocblas_internal_gemmt_kernelIlLi16ELi32ELi8ELc78ELc84ELc76ELb0ELb0E19rocblas_complex_numIfES1_PKS1_PS1_EviT_T9_T10_S5_lS7_S5_lS6_T11_S5_li,comdat
.Lfunc_end244:
	.size	_ZL29rocblas_internal_gemmt_kernelIlLi16ELi32ELi8ELc78ELc84ELc76ELb0ELb0E19rocblas_complex_numIfES1_PKS1_PS1_EviT_T9_T10_S5_lS7_S5_lS6_T11_S5_li, .Lfunc_end244-_ZL29rocblas_internal_gemmt_kernelIlLi16ELi32ELi8ELc78ELc84ELc76ELb0ELb0E19rocblas_complex_numIfES1_PKS1_PS1_EviT_T9_T10_S5_lS7_S5_lS6_T11_S5_li
                                        ; -- End function
	.set _ZL29rocblas_internal_gemmt_kernelIlLi16ELi32ELi8ELc78ELc84ELc76ELb0ELb0E19rocblas_complex_numIfES1_PKS1_PS1_EviT_T9_T10_S5_lS7_S5_lS6_T11_S5_li.num_vgpr, 51
	.set _ZL29rocblas_internal_gemmt_kernelIlLi16ELi32ELi8ELc78ELc84ELc76ELb0ELb0E19rocblas_complex_numIfES1_PKS1_PS1_EviT_T9_T10_S5_lS7_S5_lS6_T11_S5_li.num_agpr, 0
	.set _ZL29rocblas_internal_gemmt_kernelIlLi16ELi32ELi8ELc78ELc84ELc76ELb0ELb0E19rocblas_complex_numIfES1_PKS1_PS1_EviT_T9_T10_S5_lS7_S5_lS6_T11_S5_li.numbered_sgpr, 30
	.set _ZL29rocblas_internal_gemmt_kernelIlLi16ELi32ELi8ELc78ELc84ELc76ELb0ELb0E19rocblas_complex_numIfES1_PKS1_PS1_EviT_T9_T10_S5_lS7_S5_lS6_T11_S5_li.num_named_barrier, 0
	.set _ZL29rocblas_internal_gemmt_kernelIlLi16ELi32ELi8ELc78ELc84ELc76ELb0ELb0E19rocblas_complex_numIfES1_PKS1_PS1_EviT_T9_T10_S5_lS7_S5_lS6_T11_S5_li.private_seg_size, 0
	.set _ZL29rocblas_internal_gemmt_kernelIlLi16ELi32ELi8ELc78ELc84ELc76ELb0ELb0E19rocblas_complex_numIfES1_PKS1_PS1_EviT_T9_T10_S5_lS7_S5_lS6_T11_S5_li.uses_vcc, 1
	.set _ZL29rocblas_internal_gemmt_kernelIlLi16ELi32ELi8ELc78ELc84ELc76ELb0ELb0E19rocblas_complex_numIfES1_PKS1_PS1_EviT_T9_T10_S5_lS7_S5_lS6_T11_S5_li.uses_flat_scratch, 0
	.set _ZL29rocblas_internal_gemmt_kernelIlLi16ELi32ELi8ELc78ELc84ELc76ELb0ELb0E19rocblas_complex_numIfES1_PKS1_PS1_EviT_T9_T10_S5_lS7_S5_lS6_T11_S5_li.has_dyn_sized_stack, 0
	.set _ZL29rocblas_internal_gemmt_kernelIlLi16ELi32ELi8ELc78ELc84ELc76ELb0ELb0E19rocblas_complex_numIfES1_PKS1_PS1_EviT_T9_T10_S5_lS7_S5_lS6_T11_S5_li.has_recursion, 0
	.set _ZL29rocblas_internal_gemmt_kernelIlLi16ELi32ELi8ELc78ELc84ELc76ELb0ELb0E19rocblas_complex_numIfES1_PKS1_PS1_EviT_T9_T10_S5_lS7_S5_lS6_T11_S5_li.has_indirect_call, 0
	.section	.AMDGPU.csdata,"",@progbits
; Kernel info:
; codeLenInByte = 2536
; TotalNumSgprs: 36
; NumVgprs: 51
; NumAgprs: 0
; TotalNumVgprs: 51
; ScratchSize: 0
; MemoryBound: 0
; FloatMode: 240
; IeeeMode: 1
; LDSByteSize: 4096 bytes/workgroup (compile time only)
; SGPRBlocks: 4
; VGPRBlocks: 6
; NumSGPRsForWavesPerEU: 36
; NumVGPRsForWavesPerEU: 51
; AccumOffset: 52
; Occupancy: 8
; WaveLimiterHint : 0
; COMPUTE_PGM_RSRC2:SCRATCH_EN: 0
; COMPUTE_PGM_RSRC2:USER_SGPR: 2
; COMPUTE_PGM_RSRC2:TRAP_HANDLER: 0
; COMPUTE_PGM_RSRC2:TGID_X_EN: 1
; COMPUTE_PGM_RSRC2:TGID_Y_EN: 1
; COMPUTE_PGM_RSRC2:TGID_Z_EN: 1
; COMPUTE_PGM_RSRC2:TIDIG_COMP_CNT: 1
; COMPUTE_PGM_RSRC3_GFX90A:ACCUM_OFFSET: 12
; COMPUTE_PGM_RSRC3_GFX90A:TG_SPLIT: 0
	.section	.text._ZL29rocblas_internal_gemmt_kernelIlLi16ELi32ELi8ELc78ELc67ELc76ELb0ELb1E19rocblas_complex_numIfES1_PKS1_PS1_EviT_T9_T10_S5_lS7_S5_lS6_T11_S5_li,"axG",@progbits,_ZL29rocblas_internal_gemmt_kernelIlLi16ELi32ELi8ELc78ELc67ELc76ELb0ELb1E19rocblas_complex_numIfES1_PKS1_PS1_EviT_T9_T10_S5_lS7_S5_lS6_T11_S5_li,comdat
	.globl	_ZL29rocblas_internal_gemmt_kernelIlLi16ELi32ELi8ELc78ELc67ELc76ELb0ELb1E19rocblas_complex_numIfES1_PKS1_PS1_EviT_T9_T10_S5_lS7_S5_lS6_T11_S5_li ; -- Begin function _ZL29rocblas_internal_gemmt_kernelIlLi16ELi32ELi8ELc78ELc67ELc76ELb0ELb1E19rocblas_complex_numIfES1_PKS1_PS1_EviT_T9_T10_S5_lS7_S5_lS6_T11_S5_li
	.p2align	8
	.type	_ZL29rocblas_internal_gemmt_kernelIlLi16ELi32ELi8ELc78ELc67ELc76ELb0ELb1E19rocblas_complex_numIfES1_PKS1_PS1_EviT_T9_T10_S5_lS7_S5_lS6_T11_S5_li,@function
_ZL29rocblas_internal_gemmt_kernelIlLi16ELi32ELi8ELc78ELc67ELc76ELb0ELb1E19rocblas_complex_numIfES1_PKS1_PS1_EviT_T9_T10_S5_lS7_S5_lS6_T11_S5_li: ; @_ZL29rocblas_internal_gemmt_kernelIlLi16ELi32ELi8ELc78ELc67ELc76ELb0ELb1E19rocblas_complex_numIfES1_PKS1_PS1_EviT_T9_T10_S5_lS7_S5_lS6_T11_S5_li
; %bb.0:
	s_load_dwordx2 s[6:7], s[0:1], 0x48
	s_load_dwordx2 s[20:21], s[0:1], 0x10
	s_waitcnt lgkmcnt(0)
	s_and_b32 s5, s7, 0x7fffffff
	s_cmp_eq_u32 s5, 0
	v_cmp_eq_f32_e64 s[8:9], s6, 1.0
	s_cselect_b64 s[22:23], -1, 0
	s_and_b64 s[8:9], s[8:9], s[22:23]
	s_and_b64 vcc, exec, s[8:9]
	s_cbranch_vccnz .LBB245_2
; %bb.1:
	s_mov_b64 s[8:9], -1
	s_load_dwordx2 s[24:25], s[0:1], 0x8
	s_cbranch_execz .LBB245_3
	s_branch .LBB245_4
.LBB245_2:
	s_mov_b64 s[8:9], 0
	s_load_dwordx2 s[24:25], s[0:1], 0x8
.LBB245_3:
	s_waitcnt lgkmcnt(0)
	s_cmp_lg_u64 s[24:25], 0
	v_cmp_neq_f32_e64 s[10:11], s20, 0
	v_cmp_neq_f32_e64 s[12:13], s21, 0
	s_cselect_b64 s[8:9], -1, 0
	s_or_b64 s[10:11], s[10:11], s[12:13]
	s_and_b64 s[8:9], s[8:9], s[10:11]
.LBB245_4:
	s_andn2_b64 vcc, exec, s[8:9]
	s_cbranch_vccnz .LBB245_32
; %bb.5:
	s_load_dword s26, s[0:1], 0x0
	s_lshl_b32 s27, s2, 5
	s_lshl_b32 s5, s3, 5
	v_cmp_eq_f32_e64 s[2:3], s20, 0
	v_cmp_eq_f32_e64 s[8:9], s21, 0
	s_and_b64 s[2:3], s[2:3], s[8:9]
	s_waitcnt lgkmcnt(0)
	v_cmp_lt_i64_e64 s[8:9], s[24:25], 1
	s_or_b64 s[2:3], s[2:3], s[8:9]
	v_and_b32_e32 v11, 0x3ff, v0
	v_bfe_u32 v9, v0, 10, 10
	v_mov_b32_e32 v30, 0
	s_and_b64 vcc, exec, s[2:3]
	v_mov_b32_e32 v32, 0
	v_mov_b32_e32 v26, 0
	;; [unrolled: 1-line block ×7, first 2 shown]
	s_cbranch_vccnz .LBB245_16
; %bb.6:
	s_load_dwordx8 s[8:15], s[0:1], 0x18
	s_load_dwordx4 s[16:19], s[0:1], 0x38
	v_lshl_add_u32 v1, v9, 4, v11
	v_lshrrev_b32_e32 v10, 5, v1
	v_lshrrev_b32_e32 v4, 3, v1
	v_and_b32_e32 v1, 31, v1
	s_waitcnt lgkmcnt(0)
	s_mul_i32 s2, s19, s4
	s_mul_hi_u32 s3, s18, s4
	s_add_i32 s3, s3, s2
	s_mul_i32 s2, s18, s4
	s_lshl_b64 s[2:3], s[2:3], 3
	s_add_u32 s14, s14, s2
	v_and_b32_e32 v8, 7, v11
	v_or_b32_e32 v2, s27, v1
	s_addc_u32 s15, s15, s3
	s_mul_i32 s2, s13, s4
	s_mul_hi_u32 s3, s12, s4
	v_lshlrev_b32_e32 v1, 3, v1
	s_add_i32 s3, s3, s2
	s_mul_i32 s2, s12, s4
	v_lshl_or_b32 v19, v10, 8, v1
	v_lshlrev_b32_e32 v1, 3, v8
	v_add_u32_e32 v0, s5, v4
	s_lshl_b64 s[2:3], s[2:3], 3
	v_lshl_or_b32 v1, v4, 6, v1
	s_add_u32 s8, s8, s2
	v_add_u32_e32 v21, 0x800, v1
	v_ashrrev_i32_e32 v1, 31, v0
	s_addc_u32 s9, s9, s3
	v_ashrrev_i32_e32 v3, 31, v2
	v_cmp_gt_i32_e32 vcc, s26, v0
	v_lshl_add_u64 v[14:15], v[0:1], 3, s[14:15]
	v_mov_b32_e32 v0, 0x800
	v_cmp_gt_i32_e64 s[2:3], s26, v2
	v_lshl_add_u64 v[12:13], v[2:3], 3, s[8:9]
	v_lshlrev_b32_e32 v23, 3, v11
	v_lshl_add_u32 v25, v9, 6, v0
	v_mov_b32_e32 v17, 0
	s_mov_b64 s[8:9], 0
	s_xor_b64 s[12:13], vcc, -1
	v_mov_b32_e32 v20, 0
	v_mov_b32_e32 v18, 0
	;; [unrolled: 1-line block ×8, first 2 shown]
	s_branch .LBB245_8
.LBB245_7:                              ;   in Loop: Header=BB245_8 Depth=1
	s_or_b64 exec, exec, s[14:15]
	ds_write_b32 v21, v0 offset:4
	s_waitcnt lgkmcnt(0)
	s_barrier
	ds_read2_b64 v[34:37], v23 offset1:16
	ds_read_b128 v[38:41], v25
	ds_read_b128 v[42:45], v25 offset:16
	ds_read_b128 v[4:7], v25 offset:32
	;; [unrolled: 1-line block ×3, first 2 shown]
	s_add_u32 s8, s8, 8
	s_waitcnt lgkmcnt(3)
	v_mul_f32_e32 v16, v39, v35
	v_mul_f32_e32 v27, v38, v35
	v_fma_f32 v16, v38, v34, -v16
	v_fmac_f32_e32 v27, v39, v34
	v_add_f32_e32 v16, v30, v16
	v_add_f32_e32 v50, v32, v27
	ds_read_b128 v[30:33], v25 offset:1024
	v_mul_f32_e32 v27, v39, v37
	v_mul_f32_e32 v29, v38, v37
	v_fma_f32 v27, v38, v36, -v27
	v_fmac_f32_e32 v29, v39, v36
	v_add_f32_e32 v38, v26, v27
	v_add_f32_e32 v39, v28, v29
	ds_read_b128 v[26:29], v25 offset:1040
	s_waitcnt lgkmcnt(1)
	v_mul_f32_e32 v46, v31, v35
	v_fma_f32 v46, v30, v34, -v46
	v_add_f32_e32 v22, v22, v46
	ds_read2_b64 v[46:49], v23 offset0:32 offset1:48
	v_mul_f32_e32 v35, v30, v35
	v_fmac_f32_e32 v35, v31, v34
	v_mul_f32_e32 v34, v31, v37
	v_fma_f32 v34, v30, v36, -v34
	v_mul_f32_e32 v30, v30, v37
	v_fmac_f32_e32 v30, v31, v36
	v_add_f32_e32 v20, v20, v30
	s_waitcnt lgkmcnt(0)
	v_mul_f32_e32 v30, v41, v47
	v_mul_f32_e32 v31, v40, v47
	v_fma_f32 v30, v40, v46, -v30
	v_fmac_f32_e32 v31, v41, v46
	v_add_f32_e32 v18, v18, v34
	v_add_f32_e32 v16, v16, v30
	;; [unrolled: 1-line block ×3, first 2 shown]
	v_mul_f32_e32 v31, v41, v49
	v_mul_f32_e32 v34, v40, v49
	v_fma_f32 v31, v40, v48, -v31
	v_fmac_f32_e32 v34, v41, v48
	v_add_f32_e32 v31, v38, v31
	v_add_f32_e32 v38, v39, v34
	v_mul_f32_e32 v34, v33, v47
	v_add_f32_e32 v24, v24, v35
	v_fma_f32 v34, v32, v46, -v34
	v_mul_f32_e32 v35, v32, v47
	v_fmac_f32_e32 v35, v33, v46
	v_add_f32_e32 v22, v22, v34
	v_mul_f32_e32 v34, v33, v49
	v_add_f32_e32 v24, v24, v35
	v_fma_f32 v39, v32, v48, -v34
	ds_read2_b64 v[34:37], v23 offset0:64 offset1:80
	v_mul_f32_e32 v32, v32, v49
	v_fmac_f32_e32 v32, v33, v48
	v_add_f32_e32 v18, v18, v39
	v_add_f32_e32 v20, v20, v32
	s_waitcnt lgkmcnt(0)
	v_mul_f32_e32 v33, v42, v35
	v_fmac_f32_e32 v33, v43, v34
	v_add_f32_e32 v39, v30, v33
	v_mul_f32_e32 v30, v43, v37
	v_mul_f32_e32 v32, v43, v35
	v_fma_f32 v30, v42, v36, -v30
	v_fma_f32 v32, v42, v34, -v32
	v_add_f32_e32 v40, v31, v30
	v_mul_f32_e32 v30, v27, v35
	v_add_f32_e32 v16, v16, v32
	v_mul_f32_e32 v32, v42, v37
	v_fma_f32 v30, v26, v34, -v30
	v_mul_f32_e32 v31, v26, v35
	v_fmac_f32_e32 v32, v43, v36
	v_fmac_f32_e32 v31, v27, v34
	v_add_f32_e32 v22, v22, v30
	v_mul_f32_e32 v30, v27, v37
	v_add_f32_e32 v38, v38, v32
	v_add_f32_e32 v24, v24, v31
	v_fma_f32 v34, v26, v36, -v30
	ds_read2_b64 v[30:33], v23 offset0:96 offset1:112
	v_mul_f32_e32 v26, v26, v37
	v_fmac_f32_e32 v26, v27, v36
	v_add_f32_e32 v20, v20, v26
	v_add_f32_e32 v18, v18, v34
	s_waitcnt lgkmcnt(0)
	v_mul_f32_e32 v26, v45, v31
	v_mul_f32_e32 v27, v44, v31
	v_fma_f32 v26, v44, v30, -v26
	v_fmac_f32_e32 v27, v45, v30
	v_add_f32_e32 v16, v16, v26
	v_add_f32_e32 v26, v39, v27
	v_mul_f32_e32 v27, v45, v33
	v_mul_f32_e32 v34, v44, v33
	v_fma_f32 v27, v44, v32, -v27
	v_fmac_f32_e32 v34, v45, v32
	v_add_f32_e32 v39, v40, v27
	v_add_f32_e32 v38, v38, v34
	v_mul_f32_e32 v27, v29, v31
	ds_read2_b64 v[34:37], v23 offset0:128 offset1:144
	v_fma_f32 v27, v28, v30, -v27
	v_add_f32_e32 v22, v22, v27
	v_mul_f32_e32 v27, v29, v33
	v_mul_f32_e32 v31, v28, v31
	v_fma_f32 v27, v28, v32, -v27
	v_mul_f32_e32 v28, v28, v33
	v_fmac_f32_e32 v28, v29, v32
	v_add_f32_e32 v20, v20, v28
	s_waitcnt lgkmcnt(0)
	v_mul_f32_e32 v28, v4, v35
	v_add_f32_e32 v18, v18, v27
	v_mul_f32_e32 v27, v5, v35
	v_fmac_f32_e32 v28, v5, v34
	v_fma_f32 v27, v4, v34, -v27
	v_add_f32_e32 v42, v26, v28
	v_mul_f32_e32 v26, v5, v37
	v_fmac_f32_e32 v31, v29, v30
	v_add_f32_e32 v16, v16, v27
	v_fma_f32 v30, v4, v36, -v26
	ds_read_b128 v[26:29], v25 offset:1056
	v_mul_f32_e32 v4, v4, v37
	v_fmac_f32_e32 v4, v5, v36
	v_add_f32_e32 v5, v39, v30
	v_add_f32_e32 v4, v38, v4
	ds_read_b128 v[38:41], v25 offset:1072
	s_waitcnt lgkmcnt(1)
	v_mul_f32_e32 v30, v27, v35
	v_add_f32_e32 v24, v24, v31
	v_fma_f32 v30, v26, v34, -v30
	v_mul_f32_e32 v31, v26, v35
	v_fmac_f32_e32 v31, v27, v34
	v_add_f32_e32 v22, v22, v30
	v_mul_f32_e32 v30, v27, v37
	v_add_f32_e32 v24, v24, v31
	v_fma_f32 v34, v26, v36, -v30
	ds_read2_b64 v[30:33], v23 offset0:160 offset1:176
	v_mul_f32_e32 v26, v26, v37
	v_fmac_f32_e32 v26, v27, v36
	v_add_f32_e32 v20, v20, v26
	v_add_f32_e32 v18, v18, v34
	s_waitcnt lgkmcnt(0)
	v_mul_f32_e32 v26, v7, v31
	v_mul_f32_e32 v27, v6, v31
	v_fma_f32 v26, v6, v30, -v26
	v_fmac_f32_e32 v27, v7, v30
	v_add_f32_e32 v16, v16, v26
	v_add_f32_e32 v26, v42, v27
	v_mul_f32_e32 v27, v7, v33
	v_fma_f32 v27, v6, v32, -v27
	v_mul_f32_e32 v6, v6, v33
	v_fmac_f32_e32 v6, v7, v32
	v_add_f32_e32 v34, v4, v6
	v_mul_f32_e32 v4, v29, v31
	v_add_f32_e32 v27, v5, v27
	v_fma_f32 v4, v28, v30, -v4
	v_mul_f32_e32 v5, v28, v31
	v_fmac_f32_e32 v5, v29, v30
	v_add_f32_e32 v22, v22, v4
	v_mul_f32_e32 v4, v29, v33
	v_add_f32_e32 v24, v24, v5
	v_fma_f32 v30, v28, v32, -v4
	ds_read2_b64 v[4:7], v23 offset0:192 offset1:208
	v_mul_f32_e32 v28, v28, v33
	v_fmac_f32_e32 v28, v29, v32
	v_add_f32_e32 v20, v20, v28
	v_add_f32_e32 v18, v18, v30
	s_waitcnt lgkmcnt(0)
	v_mul_f32_e32 v28, v1, v5
	v_fma_f32 v28, v0, v4, -v28
	v_add_f32_e32 v16, v16, v28
	v_mul_f32_e32 v28, v1, v7
	v_mul_f32_e32 v29, v0, v5
	v_fma_f32 v28, v0, v6, -v28
	v_mul_f32_e32 v0, v0, v7
	v_fmac_f32_e32 v0, v1, v6
	v_add_f32_e32 v0, v34, v0
	ds_read2_b64 v[34:37], v23 offset0:224 offset1:240
	v_fmac_f32_e32 v29, v1, v4
	v_add_f32_e32 v1, v27, v28
	v_mul_f32_e32 v27, v39, v5
	v_fma_f32 v27, v38, v4, -v27
	v_mul_f32_e32 v5, v38, v5
	v_fmac_f32_e32 v5, v39, v4
	v_add_f32_e32 v4, v22, v27
	v_mul_f32_e32 v22, v39, v7
	v_fma_f32 v22, v38, v6, -v22
	v_mul_f32_e32 v7, v38, v7
	v_fmac_f32_e32 v7, v39, v6
	v_add_f32_e32 v6, v18, v22
	s_waitcnt lgkmcnt(0)
	v_mul_f32_e32 v18, v3, v35
	v_fma_f32 v18, v2, v34, -v18
	v_add_f32_e32 v30, v16, v18
	v_mul_f32_e32 v16, v3, v37
	v_add_f32_e32 v7, v20, v7
	v_mul_f32_e32 v20, v2, v35
	v_fma_f32 v16, v2, v36, -v16
	v_mul_f32_e32 v2, v2, v37
	v_add_f32_e32 v26, v26, v29
	v_fmac_f32_e32 v20, v3, v34
	v_fmac_f32_e32 v2, v3, v36
	v_add_f32_e32 v32, v26, v20
	v_add_f32_e32 v26, v1, v16
	;; [unrolled: 1-line block ×3, first 2 shown]
	v_mul_f32_e32 v0, v41, v35
	v_mul_f32_e32 v1, v40, v35
	v_add_f32_e32 v5, v24, v5
	v_fma_f32 v0, v40, v34, -v0
	v_fmac_f32_e32 v1, v41, v34
	v_add_f32_e32 v22, v4, v0
	v_add_f32_e32 v24, v5, v1
	v_mul_f32_e32 v0, v41, v37
	v_mul_f32_e32 v1, v40, v37
	v_fma_f32 v0, v40, v36, -v0
	v_fmac_f32_e32 v1, v41, v36
	s_addc_u32 s9, s9, 0
	v_add_f32_e32 v18, v6, v0
	v_add_f32_e32 v20, v7, v1
	v_mov_b64_e32 v[0:1], s[8:9]
	v_cmp_gt_i64_e32 vcc, s[24:25], v[0:1]
	s_barrier
	s_cbranch_vccz .LBB245_16
.LBB245_8:                              ; =>This Inner Loop Header: Depth=1
	v_mov_b32_e32 v0, 0
	v_mov_b32_e32 v1, 0
	s_and_saveexec_b64 s[14:15], s[2:3]
	s_cbranch_execz .LBB245_12
; %bb.9:                                ;   in Loop: Header=BB245_8 Depth=1
	v_add_u32_e32 v16, s8, v10
	v_cmp_gt_u64_e32 vcc, s[24:25], v[16:17]
	v_mov_b32_e32 v1, 0
	v_mov_b32_e32 v0, 0
	s_and_saveexec_b64 s[18:19], vcc
	s_cbranch_execz .LBB245_11
; %bb.10:                               ;   in Loop: Header=BB245_8 Depth=1
	v_mad_u64_u32 v[0:1], s[28:29], s10, v16, 0
	v_mov_b32_e32 v2, v1
	v_mad_u64_u32 v[2:3], s[28:29], s11, v16, v[2:3]
	v_mov_b32_e32 v1, v2
	v_lshl_add_u64 v[0:1], v[0:1], 3, v[12:13]
	global_load_dwordx2 v[0:1], v[0:1], off
.LBB245_11:                             ;   in Loop: Header=BB245_8 Depth=1
	s_or_b64 exec, exec, s[18:19]
.LBB245_12:                             ;   in Loop: Header=BB245_8 Depth=1
	s_or_b64 exec, exec, s[14:15]
	v_add_u32_e32 v16, s8, v8
	v_cmp_le_u64_e32 vcc, s[24:25], v[16:17]
	s_or_b64 s[14:15], vcc, s[12:13]
	s_waitcnt vmcnt(0)
	ds_write_b64 v19, v[0:1]
	s_and_saveexec_b64 s[18:19], s[14:15]
	s_xor_b64 s[14:15], exec, s[18:19]
; %bb.13:                               ;   in Loop: Header=BB245_8 Depth=1
	ds_write_b32 v21, v17
; %bb.14:                               ;   in Loop: Header=BB245_8 Depth=1
	s_or_saveexec_b64 s[14:15], s[14:15]
	v_mov_b32_e32 v0, 0
	s_xor_b64 exec, exec, s[14:15]
	s_cbranch_execz .LBB245_7
; %bb.15:                               ;   in Loop: Header=BB245_8 Depth=1
	v_mad_u64_u32 v[0:1], s[18:19], s16, v16, 0
	v_mov_b32_e32 v2, v1
	v_mad_u64_u32 v[2:3], s[18:19], s17, v16, v[2:3]
	v_mov_b32_e32 v1, v2
	v_lshl_add_u64 v[0:1], v[0:1], 3, v[14:15]
	global_load_dwordx2 v[2:3], v[0:1], off
	s_waitcnt vmcnt(0)
	v_xor_b32_e32 v0, 0x80000000, v3
	ds_write_b32 v21, v2
	s_branch .LBB245_7
.LBB245_16:
	s_load_dwordx2 s[2:3], s[0:1], 0x60
	s_load_dwordx4 s[8:11], s[0:1], 0x50
	v_add_u32_e32 v10, s5, v9
	v_ashrrev_i32_e32 v1, 31, v10
	v_add_u32_e32 v0, s27, v11
	s_waitcnt lgkmcnt(0)
	s_mul_i32 s1, s3, s4
	s_mul_hi_u32 s3, s2, s4
	s_mul_i32 s0, s2, s4
	s_add_i32 s1, s3, s1
	s_lshl_b64 s[0:1], s[0:1], 3
	s_add_u32 s8, s8, s0
	s_addc_u32 s9, s9, s1
	v_cmp_neq_f32_e64 s[0:1], s6, 0
	s_xor_b64 s[4:5], s[22:23], -1
	v_mul_lo_u32 v1, s10, v1
	v_mul_lo_u32 v4, s11, v10
	v_mad_u64_u32 v[2:3], s[2:3], s10, v10, 0
	v_add3_u32 v3, v3, v1, v4
	s_or_b64 s[0:1], s[0:1], s[4:5]
	v_lshl_add_u64 v[4:5], v[2:3], 3, s[8:9]
	v_cmp_le_i32_e32 vcc, v10, v0
	v_cmp_gt_i32_e64 s[2:3], s26, v0
	v_cndmask_b32_e64 v2, 0, 1, s[0:1]
	s_and_b64 s[12:13], vcc, s[2:3]
	v_ashrrev_i32_e32 v1, 31, v0
	v_cmp_ne_u32_e64 s[0:1], 1, v2
	s_and_saveexec_b64 s[4:5], s[12:13]
	s_cbranch_execz .LBB245_20
; %bb.17:
	v_pk_mul_f32 v[6:7], v[32:33], s[20:21] op_sel:[0,1] op_sel_hi:[0,0]
	v_pk_fma_f32 v[2:3], v[30:31], s[20:21], v[6:7] op_sel_hi:[0,1,1] neg_lo:[0,0,1] neg_hi:[0,0,1]
	v_pk_fma_f32 v[8:9], v[30:31], s[20:21], v[6:7] op_sel_hi:[0,1,1]
	s_and_b64 vcc, exec, s[0:1]
	v_lshl_add_u64 v[6:7], v[0:1], 3, v[4:5]
	s_cbranch_vccnz .LBB245_19
; %bb.18:
	global_load_dwordx2 v[12:13], v[6:7], off
	s_mov_b32 s12, s7
	v_mov_b32_e32 v3, v9
	s_waitcnt vmcnt(0)
	v_pk_mul_f32 v[8:9], v[12:13], s[12:13] op_sel:[1,0] op_sel_hi:[0,0]
	v_pk_fma_f32 v[14:15], v[12:13], s[6:7], v[8:9] neg_lo:[0,0,1] neg_hi:[0,0,1]
	v_pk_fma_f32 v[8:9], v[12:13], s[6:7], v[8:9] op_sel_hi:[1,0,1]
	s_nop 0
	v_mov_b32_e32 v15, v9
	v_pk_add_f32 v[2:3], v[2:3], v[14:15]
	s_nop 0
	v_mov_b32_e32 v9, v3
.LBB245_19:
	v_mov_b32_e32 v3, v9
	global_store_dwordx2 v[6:7], v[2:3], off
.LBB245_20:
	s_or_b64 exec, exec, s[4:5]
	v_add_u32_e32 v2, 16, v0
	v_cmp_le_i32_e32 vcc, v10, v2
	v_cmp_gt_i32_e64 s[4:5], s26, v2
	s_and_b64 s[14:15], vcc, s[4:5]
	v_ashrrev_i32_e32 v3, 31, v2
	s_and_saveexec_b64 s[12:13], s[14:15]
	s_cbranch_execz .LBB245_24
; %bb.21:
	v_pk_mul_f32 v[8:9], v[28:29], s[20:21] op_sel:[0,1] op_sel_hi:[0,0]
	v_pk_fma_f32 v[6:7], v[26:27], s[20:21], v[8:9] op_sel_hi:[0,1,1] neg_lo:[0,0,1] neg_hi:[0,0,1]
	v_pk_fma_f32 v[8:9], v[26:27], s[20:21], v[8:9] op_sel_hi:[0,1,1]
	s_and_b64 vcc, exec, s[0:1]
	v_lshl_add_u64 v[4:5], v[2:3], 3, v[4:5]
	s_cbranch_vccnz .LBB245_23
; %bb.22:
	global_load_dwordx2 v[12:13], v[4:5], off
	s_mov_b32 s14, s7
	v_mov_b32_e32 v7, v9
	s_waitcnt vmcnt(0)
	v_pk_mul_f32 v[8:9], v[12:13], s[14:15] op_sel:[1,0] op_sel_hi:[0,0]
	v_pk_fma_f32 v[14:15], v[12:13], s[6:7], v[8:9] neg_lo:[0,0,1] neg_hi:[0,0,1]
	v_pk_fma_f32 v[8:9], v[12:13], s[6:7], v[8:9] op_sel_hi:[1,0,1]
	s_nop 0
	v_mov_b32_e32 v15, v9
	v_pk_add_f32 v[6:7], v[6:7], v[14:15]
	s_nop 0
	v_mov_b32_e32 v9, v7
.LBB245_23:
	v_mov_b32_e32 v7, v9
	global_store_dwordx2 v[4:5], v[6:7], off
.LBB245_24:
	s_or_b64 exec, exec, s[12:13]
	v_add_u32_e32 v10, 16, v10
	v_ashrrev_i32_e32 v4, 31, v10
	v_mul_lo_u32 v6, s10, v4
	v_mul_lo_u32 v7, s11, v10
	v_mad_u64_u32 v[4:5], s[10:11], s10, v10, 0
	v_add3_u32 v5, v5, v6, v7
	v_cmp_le_i32_e32 vcc, v10, v0
	v_lshl_add_u64 v[4:5], v[4:5], 3, s[8:9]
	s_and_b64 s[8:9], vcc, s[2:3]
	s_and_saveexec_b64 s[2:3], s[8:9]
	s_cbranch_execz .LBB245_28
; %bb.25:
	v_pk_mul_f32 v[8:9], v[24:25], s[20:21] op_sel:[0,1] op_sel_hi:[0,0]
	v_pk_fma_f32 v[6:7], v[22:23], s[20:21], v[8:9] op_sel_hi:[0,1,1] neg_lo:[0,0,1] neg_hi:[0,0,1]
	v_pk_fma_f32 v[8:9], v[22:23], s[20:21], v[8:9] op_sel_hi:[0,1,1]
	s_and_b64 vcc, exec, s[0:1]
	v_lshl_add_u64 v[0:1], v[0:1], 3, v[4:5]
	s_cbranch_vccnz .LBB245_27
; %bb.26:
	global_load_dwordx2 v[12:13], v[0:1], off
	s_mov_b32 s8, s7
	v_mov_b32_e32 v7, v9
	s_waitcnt vmcnt(0)
	v_pk_mul_f32 v[8:9], v[12:13], s[8:9] op_sel:[1,0] op_sel_hi:[0,0]
	v_pk_fma_f32 v[14:15], v[12:13], s[6:7], v[8:9] neg_lo:[0,0,1] neg_hi:[0,0,1]
	v_pk_fma_f32 v[8:9], v[12:13], s[6:7], v[8:9] op_sel_hi:[1,0,1]
	s_nop 0
	v_mov_b32_e32 v15, v9
	v_pk_add_f32 v[6:7], v[6:7], v[14:15]
	s_nop 0
	v_mov_b32_e32 v9, v7
.LBB245_27:
	v_mov_b32_e32 v7, v9
	global_store_dwordx2 v[0:1], v[6:7], off
.LBB245_28:
	s_or_b64 exec, exec, s[2:3]
	v_cmp_le_i32_e32 vcc, v10, v2
	s_and_b64 s[2:3], vcc, s[4:5]
	s_and_saveexec_b64 s[4:5], s[2:3]
	s_cbranch_execz .LBB245_32
; %bb.29:
	v_pk_mul_f32 v[6:7], v[20:21], s[20:21] op_sel:[0,1] op_sel_hi:[0,0]
	v_pk_fma_f32 v[0:1], v[18:19], s[20:21], v[6:7] op_sel_hi:[0,1,1] neg_lo:[0,0,1] neg_hi:[0,0,1]
	v_pk_fma_f32 v[6:7], v[18:19], s[20:21], v[6:7] op_sel_hi:[0,1,1]
	s_and_b64 vcc, exec, s[0:1]
	v_lshl_add_u64 v[2:3], v[2:3], 3, v[4:5]
	s_cbranch_vccnz .LBB245_31
; %bb.30:
	global_load_dwordx2 v[4:5], v[2:3], off
	s_mov_b32 s0, s7
	v_mov_b32_e32 v1, v7
	s_waitcnt vmcnt(0)
	v_pk_mul_f32 v[6:7], v[4:5], s[0:1] op_sel:[1,0] op_sel_hi:[0,0]
	v_pk_fma_f32 v[8:9], v[4:5], s[6:7], v[6:7] neg_lo:[0,0,1] neg_hi:[0,0,1]
	v_pk_fma_f32 v[4:5], v[4:5], s[6:7], v[6:7] op_sel_hi:[1,0,1]
	s_nop 0
	v_mov_b32_e32 v9, v5
	v_pk_add_f32 v[0:1], v[0:1], v[8:9]
	s_nop 0
	v_mov_b32_e32 v7, v1
.LBB245_31:
	v_mov_b32_e32 v1, v7
	global_store_dwordx2 v[2:3], v[0:1], off
.LBB245_32:
	s_endpgm
	.section	.rodata,"a",@progbits
	.p2align	6, 0x0
	.amdhsa_kernel _ZL29rocblas_internal_gemmt_kernelIlLi16ELi32ELi8ELc78ELc67ELc76ELb0ELb1E19rocblas_complex_numIfES1_PKS1_PS1_EviT_T9_T10_S5_lS7_S5_lS6_T11_S5_li
		.amdhsa_group_segment_fixed_size 4096
		.amdhsa_private_segment_fixed_size 0
		.amdhsa_kernarg_size 108
		.amdhsa_user_sgpr_count 2
		.amdhsa_user_sgpr_dispatch_ptr 0
		.amdhsa_user_sgpr_queue_ptr 0
		.amdhsa_user_sgpr_kernarg_segment_ptr 1
		.amdhsa_user_sgpr_dispatch_id 0
		.amdhsa_user_sgpr_kernarg_preload_length 0
		.amdhsa_user_sgpr_kernarg_preload_offset 0
		.amdhsa_user_sgpr_private_segment_size 0
		.amdhsa_uses_dynamic_stack 0
		.amdhsa_enable_private_segment 0
		.amdhsa_system_sgpr_workgroup_id_x 1
		.amdhsa_system_sgpr_workgroup_id_y 1
		.amdhsa_system_sgpr_workgroup_id_z 1
		.amdhsa_system_sgpr_workgroup_info 0
		.amdhsa_system_vgpr_workitem_id 1
		.amdhsa_next_free_vgpr 51
		.amdhsa_next_free_sgpr 30
		.amdhsa_accum_offset 52
		.amdhsa_reserve_vcc 1
		.amdhsa_float_round_mode_32 0
		.amdhsa_float_round_mode_16_64 0
		.amdhsa_float_denorm_mode_32 3
		.amdhsa_float_denorm_mode_16_64 3
		.amdhsa_dx10_clamp 1
		.amdhsa_ieee_mode 1
		.amdhsa_fp16_overflow 0
		.amdhsa_tg_split 0
		.amdhsa_exception_fp_ieee_invalid_op 0
		.amdhsa_exception_fp_denorm_src 0
		.amdhsa_exception_fp_ieee_div_zero 0
		.amdhsa_exception_fp_ieee_overflow 0
		.amdhsa_exception_fp_ieee_underflow 0
		.amdhsa_exception_fp_ieee_inexact 0
		.amdhsa_exception_int_div_zero 0
	.end_amdhsa_kernel
	.section	.text._ZL29rocblas_internal_gemmt_kernelIlLi16ELi32ELi8ELc78ELc67ELc76ELb0ELb1E19rocblas_complex_numIfES1_PKS1_PS1_EviT_T9_T10_S5_lS7_S5_lS6_T11_S5_li,"axG",@progbits,_ZL29rocblas_internal_gemmt_kernelIlLi16ELi32ELi8ELc78ELc67ELc76ELb0ELb1E19rocblas_complex_numIfES1_PKS1_PS1_EviT_T9_T10_S5_lS7_S5_lS6_T11_S5_li,comdat
.Lfunc_end245:
	.size	_ZL29rocblas_internal_gemmt_kernelIlLi16ELi32ELi8ELc78ELc67ELc76ELb0ELb1E19rocblas_complex_numIfES1_PKS1_PS1_EviT_T9_T10_S5_lS7_S5_lS6_T11_S5_li, .Lfunc_end245-_ZL29rocblas_internal_gemmt_kernelIlLi16ELi32ELi8ELc78ELc67ELc76ELb0ELb1E19rocblas_complex_numIfES1_PKS1_PS1_EviT_T9_T10_S5_lS7_S5_lS6_T11_S5_li
                                        ; -- End function
	.set _ZL29rocblas_internal_gemmt_kernelIlLi16ELi32ELi8ELc78ELc67ELc76ELb0ELb1E19rocblas_complex_numIfES1_PKS1_PS1_EviT_T9_T10_S5_lS7_S5_lS6_T11_S5_li.num_vgpr, 51
	.set _ZL29rocblas_internal_gemmt_kernelIlLi16ELi32ELi8ELc78ELc67ELc76ELb0ELb1E19rocblas_complex_numIfES1_PKS1_PS1_EviT_T9_T10_S5_lS7_S5_lS6_T11_S5_li.num_agpr, 0
	.set _ZL29rocblas_internal_gemmt_kernelIlLi16ELi32ELi8ELc78ELc67ELc76ELb0ELb1E19rocblas_complex_numIfES1_PKS1_PS1_EviT_T9_T10_S5_lS7_S5_lS6_T11_S5_li.numbered_sgpr, 30
	.set _ZL29rocblas_internal_gemmt_kernelIlLi16ELi32ELi8ELc78ELc67ELc76ELb0ELb1E19rocblas_complex_numIfES1_PKS1_PS1_EviT_T9_T10_S5_lS7_S5_lS6_T11_S5_li.num_named_barrier, 0
	.set _ZL29rocblas_internal_gemmt_kernelIlLi16ELi32ELi8ELc78ELc67ELc76ELb0ELb1E19rocblas_complex_numIfES1_PKS1_PS1_EviT_T9_T10_S5_lS7_S5_lS6_T11_S5_li.private_seg_size, 0
	.set _ZL29rocblas_internal_gemmt_kernelIlLi16ELi32ELi8ELc78ELc67ELc76ELb0ELb1E19rocblas_complex_numIfES1_PKS1_PS1_EviT_T9_T10_S5_lS7_S5_lS6_T11_S5_li.uses_vcc, 1
	.set _ZL29rocblas_internal_gemmt_kernelIlLi16ELi32ELi8ELc78ELc67ELc76ELb0ELb1E19rocblas_complex_numIfES1_PKS1_PS1_EviT_T9_T10_S5_lS7_S5_lS6_T11_S5_li.uses_flat_scratch, 0
	.set _ZL29rocblas_internal_gemmt_kernelIlLi16ELi32ELi8ELc78ELc67ELc76ELb0ELb1E19rocblas_complex_numIfES1_PKS1_PS1_EviT_T9_T10_S5_lS7_S5_lS6_T11_S5_li.has_dyn_sized_stack, 0
	.set _ZL29rocblas_internal_gemmt_kernelIlLi16ELi32ELi8ELc78ELc67ELc76ELb0ELb1E19rocblas_complex_numIfES1_PKS1_PS1_EviT_T9_T10_S5_lS7_S5_lS6_T11_S5_li.has_recursion, 0
	.set _ZL29rocblas_internal_gemmt_kernelIlLi16ELi32ELi8ELc78ELc67ELc76ELb0ELb1E19rocblas_complex_numIfES1_PKS1_PS1_EviT_T9_T10_S5_lS7_S5_lS6_T11_S5_li.has_indirect_call, 0
	.section	.AMDGPU.csdata,"",@progbits
; Kernel info:
; codeLenInByte = 2568
; TotalNumSgprs: 36
; NumVgprs: 51
; NumAgprs: 0
; TotalNumVgprs: 51
; ScratchSize: 0
; MemoryBound: 0
; FloatMode: 240
; IeeeMode: 1
; LDSByteSize: 4096 bytes/workgroup (compile time only)
; SGPRBlocks: 4
; VGPRBlocks: 6
; NumSGPRsForWavesPerEU: 36
; NumVGPRsForWavesPerEU: 51
; AccumOffset: 52
; Occupancy: 8
; WaveLimiterHint : 0
; COMPUTE_PGM_RSRC2:SCRATCH_EN: 0
; COMPUTE_PGM_RSRC2:USER_SGPR: 2
; COMPUTE_PGM_RSRC2:TRAP_HANDLER: 0
; COMPUTE_PGM_RSRC2:TGID_X_EN: 1
; COMPUTE_PGM_RSRC2:TGID_Y_EN: 1
; COMPUTE_PGM_RSRC2:TGID_Z_EN: 1
; COMPUTE_PGM_RSRC2:TIDIG_COMP_CNT: 1
; COMPUTE_PGM_RSRC3_GFX90A:ACCUM_OFFSET: 12
; COMPUTE_PGM_RSRC3_GFX90A:TG_SPLIT: 0
	.section	.text._ZL29rocblas_internal_gemmt_kernelIlLi16ELi32ELi8ELc84ELc78ELc76ELb0ELb0E19rocblas_complex_numIfES1_PKS1_PS1_EviT_T9_T10_S5_lS7_S5_lS6_T11_S5_li,"axG",@progbits,_ZL29rocblas_internal_gemmt_kernelIlLi16ELi32ELi8ELc84ELc78ELc76ELb0ELb0E19rocblas_complex_numIfES1_PKS1_PS1_EviT_T9_T10_S5_lS7_S5_lS6_T11_S5_li,comdat
	.globl	_ZL29rocblas_internal_gemmt_kernelIlLi16ELi32ELi8ELc84ELc78ELc76ELb0ELb0E19rocblas_complex_numIfES1_PKS1_PS1_EviT_T9_T10_S5_lS7_S5_lS6_T11_S5_li ; -- Begin function _ZL29rocblas_internal_gemmt_kernelIlLi16ELi32ELi8ELc84ELc78ELc76ELb0ELb0E19rocblas_complex_numIfES1_PKS1_PS1_EviT_T9_T10_S5_lS7_S5_lS6_T11_S5_li
	.p2align	8
	.type	_ZL29rocblas_internal_gemmt_kernelIlLi16ELi32ELi8ELc84ELc78ELc76ELb0ELb0E19rocblas_complex_numIfES1_PKS1_PS1_EviT_T9_T10_S5_lS7_S5_lS6_T11_S5_li,@function
_ZL29rocblas_internal_gemmt_kernelIlLi16ELi32ELi8ELc84ELc78ELc76ELb0ELb0E19rocblas_complex_numIfES1_PKS1_PS1_EviT_T9_T10_S5_lS7_S5_lS6_T11_S5_li: ; @_ZL29rocblas_internal_gemmt_kernelIlLi16ELi32ELi8ELc84ELc78ELc76ELb0ELb0E19rocblas_complex_numIfES1_PKS1_PS1_EviT_T9_T10_S5_lS7_S5_lS6_T11_S5_li
; %bb.0:
	s_load_dwordx2 s[12:13], s[0:1], 0x48
	s_load_dwordx2 s[14:15], s[0:1], 0x10
	s_waitcnt lgkmcnt(0)
	s_and_b32 s5, s13, 0x7fffffff
	s_cmp_eq_u32 s5, 0
	v_cmp_eq_f32_e64 s[6:7], s12, 1.0
	s_cselect_b64 s[16:17], -1, 0
	s_and_b64 s[6:7], s[6:7], s[16:17]
	s_and_b64 vcc, exec, s[6:7]
	s_cbranch_vccnz .LBB246_2
; %bb.1:
	s_mov_b64 s[6:7], -1
	s_load_dwordx2 s[8:9], s[0:1], 0x8
	s_cbranch_execz .LBB246_3
	s_branch .LBB246_4
.LBB246_2:
	s_mov_b64 s[6:7], 0
	s_load_dwordx2 s[8:9], s[0:1], 0x8
.LBB246_3:
	s_waitcnt lgkmcnt(0)
	s_cmp_lg_u64 s[8:9], 0
	v_cmp_neq_f32_e64 s[10:11], s14, 0
	v_cmp_neq_f32_e64 s[18:19], s15, 0
	s_cselect_b64 s[6:7], -1, 0
	s_or_b64 s[10:11], s[10:11], s[18:19]
	s_and_b64 s[6:7], s[6:7], s[10:11]
.LBB246_4:
	s_andn2_b64 vcc, exec, s[6:7]
	s_cbranch_vccnz .LBB246_30
; %bb.5:
	s_load_dword s22, s[0:1], 0x0
	s_lshl_b32 s23, s2, 5
	s_lshl_b32 s5, s3, 5
	v_cmp_eq_f32_e64 s[2:3], s14, 0
	v_cmp_eq_f32_e64 s[6:7], s15, 0
	s_and_b64 s[2:3], s[2:3], s[6:7]
	s_waitcnt lgkmcnt(0)
	v_cmp_lt_i64_e64 s[6:7], s[8:9], 1
	s_or_b64 s[2:3], s[2:3], s[6:7]
	v_and_b32_e32 v11, 0x3ff, v0
	v_bfe_u32 v9, v0, 10, 10
	v_mov_b32_e32 v30, 0
	s_and_b64 vcc, exec, s[2:3]
	v_mov_b32_e32 v32, 0
	v_mov_b32_e32 v26, 0
	;; [unrolled: 1-line block ×7, first 2 shown]
	s_cbranch_vccnz .LBB246_14
; %bb.6:
	s_load_dwordx8 s[24:31], s[0:1], 0x18
	s_load_dwordx4 s[36:39], s[0:1], 0x38
	v_lshl_add_u32 v0, v9, 4, v11
	v_lshrrev_b32_e32 v10, 5, v0
	v_lshrrev_b32_e32 v2, 3, v0
	v_and_b32_e32 v0, 31, v0
	s_waitcnt lgkmcnt(0)
	s_mul_i32 s2, s39, s4
	s_mul_hi_u32 s3, s38, s4
	s_add_i32 s3, s3, s2
	s_mul_i32 s2, s38, s4
	s_lshl_b64 s[2:3], s[2:3], 3
	s_add_u32 s10, s30, s2
	s_addc_u32 s11, s31, s3
	s_mul_i32 s2, s29, s4
	s_mul_hi_u32 s3, s28, s4
	s_add_i32 s3, s3, s2
	s_mul_i32 s2, s28, s4
	s_lshl_b64 s[2:3], s[2:3], 3
	v_or_b32_e32 v1, s23, v0
	s_add_u32 s6, s24, s2
	v_lshlrev_b32_e32 v0, 3, v0
	s_addc_u32 s7, s25, s3
	v_cmp_gt_i32_e64 s[2:3], s22, v1
	v_lshl_or_b32 v19, v10, 8, v0
	s_ashr_i32 s20, s23, 31
	v_mul_lo_u32 v4, s27, v1
	v_mad_u64_u32 v[0:1], s[18:19], s26, v1, 0
	s_mul_i32 s18, s26, s20
	v_and_b32_e32 v8, 7, v11
	v_add3_u32 v1, v1, s18, v4
	v_lshl_add_u64 v[12:13], v[0:1], 3, s[6:7]
	v_lshlrev_b32_e32 v0, 3, v8
	v_add_u32_e32 v3, s5, v2
	v_lshl_or_b32 v0, v2, 6, v0
	v_add_u32_e32 v21, 0x800, v0
	v_ashrrev_i32_e32 v0, 31, v3
	v_mul_lo_u32 v2, s36, v0
	v_mul_lo_u32 v4, s37, v3
	v_mad_u64_u32 v[0:1], s[18:19], s36, v3, 0
	v_add3_u32 v1, v1, v2, v4
	v_lshl_add_u64 v[14:15], v[0:1], 3, s[10:11]
	v_mov_b32_e32 v0, 0x800
	v_cmp_gt_i32_e64 s[6:7], s22, v3
	v_lshlrev_b32_e32 v23, 3, v11
	v_lshl_add_u32 v25, v9, 6, v0
	v_mov_b32_e32 v17, 0
	s_mov_b64 s[10:11], 0
	v_mov_b32_e32 v20, 0
	v_mov_b32_e32 v18, 0
	;; [unrolled: 1-line block ×8, first 2 shown]
	s_branch .LBB246_8
.LBB246_7:                              ;   in Loop: Header=BB246_8 Depth=1
	s_or_b64 exec, exec, s[18:19]
	s_waitcnt vmcnt(0)
	ds_write_b64 v21, v[0:1]
	s_waitcnt lgkmcnt(0)
	s_barrier
	ds_read2_b64 v[34:37], v23 offset1:16
	ds_read_b128 v[38:41], v25
	ds_read_b128 v[42:45], v25 offset:16
	ds_read_b128 v[4:7], v25 offset:32
	;; [unrolled: 1-line block ×3, first 2 shown]
	s_add_u32 s10, s10, 8
	s_waitcnt lgkmcnt(3)
	v_mul_f32_e32 v16, v39, v35
	v_mul_f32_e32 v27, v38, v35
	v_fma_f32 v16, v38, v34, -v16
	v_fmac_f32_e32 v27, v39, v34
	v_add_f32_e32 v16, v30, v16
	v_add_f32_e32 v50, v32, v27
	ds_read_b128 v[30:33], v25 offset:1024
	v_mul_f32_e32 v27, v39, v37
	v_mul_f32_e32 v29, v38, v37
	v_fma_f32 v27, v38, v36, -v27
	v_fmac_f32_e32 v29, v39, v36
	v_add_f32_e32 v38, v26, v27
	v_add_f32_e32 v39, v28, v29
	ds_read_b128 v[26:29], v25 offset:1040
	s_waitcnt lgkmcnt(1)
	v_mul_f32_e32 v46, v31, v35
	v_fma_f32 v46, v30, v34, -v46
	v_add_f32_e32 v22, v22, v46
	ds_read2_b64 v[46:49], v23 offset0:32 offset1:48
	v_mul_f32_e32 v35, v30, v35
	v_fmac_f32_e32 v35, v31, v34
	v_mul_f32_e32 v34, v31, v37
	v_fma_f32 v34, v30, v36, -v34
	v_mul_f32_e32 v30, v30, v37
	v_fmac_f32_e32 v30, v31, v36
	v_add_f32_e32 v20, v20, v30
	s_waitcnt lgkmcnt(0)
	v_mul_f32_e32 v30, v41, v47
	v_mul_f32_e32 v31, v40, v47
	v_fma_f32 v30, v40, v46, -v30
	v_fmac_f32_e32 v31, v41, v46
	v_add_f32_e32 v18, v18, v34
	v_add_f32_e32 v16, v16, v30
	;; [unrolled: 1-line block ×3, first 2 shown]
	v_mul_f32_e32 v31, v41, v49
	v_mul_f32_e32 v34, v40, v49
	v_fma_f32 v31, v40, v48, -v31
	v_fmac_f32_e32 v34, v41, v48
	v_add_f32_e32 v31, v38, v31
	v_add_f32_e32 v38, v39, v34
	v_mul_f32_e32 v34, v33, v47
	v_add_f32_e32 v24, v24, v35
	v_fma_f32 v34, v32, v46, -v34
	v_mul_f32_e32 v35, v32, v47
	v_fmac_f32_e32 v35, v33, v46
	v_add_f32_e32 v22, v22, v34
	v_mul_f32_e32 v34, v33, v49
	v_add_f32_e32 v24, v24, v35
	v_fma_f32 v39, v32, v48, -v34
	ds_read2_b64 v[34:37], v23 offset0:64 offset1:80
	v_mul_f32_e32 v32, v32, v49
	v_fmac_f32_e32 v32, v33, v48
	v_add_f32_e32 v18, v18, v39
	v_add_f32_e32 v20, v20, v32
	s_waitcnt lgkmcnt(0)
	v_mul_f32_e32 v33, v42, v35
	v_fmac_f32_e32 v33, v43, v34
	v_add_f32_e32 v39, v30, v33
	v_mul_f32_e32 v30, v43, v37
	v_mul_f32_e32 v32, v43, v35
	v_fma_f32 v30, v42, v36, -v30
	v_fma_f32 v32, v42, v34, -v32
	v_add_f32_e32 v40, v31, v30
	v_mul_f32_e32 v30, v27, v35
	v_add_f32_e32 v16, v16, v32
	v_mul_f32_e32 v32, v42, v37
	v_fma_f32 v30, v26, v34, -v30
	v_mul_f32_e32 v31, v26, v35
	v_fmac_f32_e32 v32, v43, v36
	v_fmac_f32_e32 v31, v27, v34
	v_add_f32_e32 v22, v22, v30
	v_mul_f32_e32 v30, v27, v37
	v_add_f32_e32 v38, v38, v32
	v_add_f32_e32 v24, v24, v31
	v_fma_f32 v34, v26, v36, -v30
	ds_read2_b64 v[30:33], v23 offset0:96 offset1:112
	v_mul_f32_e32 v26, v26, v37
	v_fmac_f32_e32 v26, v27, v36
	v_add_f32_e32 v20, v20, v26
	v_add_f32_e32 v18, v18, v34
	s_waitcnt lgkmcnt(0)
	v_mul_f32_e32 v26, v45, v31
	v_mul_f32_e32 v27, v44, v31
	v_fma_f32 v26, v44, v30, -v26
	v_fmac_f32_e32 v27, v45, v30
	v_add_f32_e32 v16, v16, v26
	v_add_f32_e32 v26, v39, v27
	v_mul_f32_e32 v27, v45, v33
	v_mul_f32_e32 v34, v44, v33
	v_fma_f32 v27, v44, v32, -v27
	v_fmac_f32_e32 v34, v45, v32
	v_add_f32_e32 v39, v40, v27
	v_add_f32_e32 v38, v38, v34
	v_mul_f32_e32 v27, v29, v31
	ds_read2_b64 v[34:37], v23 offset0:128 offset1:144
	v_fma_f32 v27, v28, v30, -v27
	v_add_f32_e32 v22, v22, v27
	v_mul_f32_e32 v27, v29, v33
	v_mul_f32_e32 v31, v28, v31
	v_fma_f32 v27, v28, v32, -v27
	v_mul_f32_e32 v28, v28, v33
	v_fmac_f32_e32 v28, v29, v32
	v_add_f32_e32 v20, v20, v28
	s_waitcnt lgkmcnt(0)
	v_mul_f32_e32 v28, v4, v35
	v_add_f32_e32 v18, v18, v27
	v_mul_f32_e32 v27, v5, v35
	v_fmac_f32_e32 v28, v5, v34
	v_fma_f32 v27, v4, v34, -v27
	v_add_f32_e32 v42, v26, v28
	v_mul_f32_e32 v26, v5, v37
	v_fmac_f32_e32 v31, v29, v30
	v_add_f32_e32 v16, v16, v27
	v_fma_f32 v30, v4, v36, -v26
	ds_read_b128 v[26:29], v25 offset:1056
	v_mul_f32_e32 v4, v4, v37
	v_fmac_f32_e32 v4, v5, v36
	v_add_f32_e32 v5, v39, v30
	v_add_f32_e32 v4, v38, v4
	ds_read_b128 v[38:41], v25 offset:1072
	s_waitcnt lgkmcnt(1)
	v_mul_f32_e32 v30, v27, v35
	v_add_f32_e32 v24, v24, v31
	v_fma_f32 v30, v26, v34, -v30
	v_mul_f32_e32 v31, v26, v35
	v_fmac_f32_e32 v31, v27, v34
	v_add_f32_e32 v22, v22, v30
	v_mul_f32_e32 v30, v27, v37
	v_add_f32_e32 v24, v24, v31
	v_fma_f32 v34, v26, v36, -v30
	ds_read2_b64 v[30:33], v23 offset0:160 offset1:176
	v_mul_f32_e32 v26, v26, v37
	v_fmac_f32_e32 v26, v27, v36
	v_add_f32_e32 v20, v20, v26
	v_add_f32_e32 v18, v18, v34
	s_waitcnt lgkmcnt(0)
	v_mul_f32_e32 v26, v7, v31
	v_mul_f32_e32 v27, v6, v31
	v_fma_f32 v26, v6, v30, -v26
	v_fmac_f32_e32 v27, v7, v30
	v_add_f32_e32 v16, v16, v26
	v_add_f32_e32 v26, v42, v27
	v_mul_f32_e32 v27, v7, v33
	v_fma_f32 v27, v6, v32, -v27
	v_mul_f32_e32 v6, v6, v33
	v_fmac_f32_e32 v6, v7, v32
	v_add_f32_e32 v34, v4, v6
	v_mul_f32_e32 v4, v29, v31
	v_add_f32_e32 v27, v5, v27
	v_fma_f32 v4, v28, v30, -v4
	v_mul_f32_e32 v5, v28, v31
	v_fmac_f32_e32 v5, v29, v30
	v_add_f32_e32 v22, v22, v4
	v_mul_f32_e32 v4, v29, v33
	v_add_f32_e32 v24, v24, v5
	v_fma_f32 v30, v28, v32, -v4
	ds_read2_b64 v[4:7], v23 offset0:192 offset1:208
	v_mul_f32_e32 v28, v28, v33
	v_fmac_f32_e32 v28, v29, v32
	v_add_f32_e32 v20, v20, v28
	v_add_f32_e32 v18, v18, v30
	s_waitcnt lgkmcnt(0)
	v_mul_f32_e32 v28, v1, v5
	v_fma_f32 v28, v0, v4, -v28
	v_add_f32_e32 v16, v16, v28
	v_mul_f32_e32 v28, v1, v7
	v_mul_f32_e32 v29, v0, v5
	v_fma_f32 v28, v0, v6, -v28
	v_mul_f32_e32 v0, v0, v7
	v_fmac_f32_e32 v0, v1, v6
	v_add_f32_e32 v0, v34, v0
	ds_read2_b64 v[34:37], v23 offset0:224 offset1:240
	v_fmac_f32_e32 v29, v1, v4
	v_add_f32_e32 v1, v27, v28
	v_mul_f32_e32 v27, v39, v5
	v_fma_f32 v27, v38, v4, -v27
	v_mul_f32_e32 v5, v38, v5
	v_fmac_f32_e32 v5, v39, v4
	v_add_f32_e32 v4, v22, v27
	v_mul_f32_e32 v22, v39, v7
	v_fma_f32 v22, v38, v6, -v22
	v_mul_f32_e32 v7, v38, v7
	v_fmac_f32_e32 v7, v39, v6
	v_add_f32_e32 v6, v18, v22
	s_waitcnt lgkmcnt(0)
	v_mul_f32_e32 v18, v3, v35
	v_fma_f32 v18, v2, v34, -v18
	v_add_f32_e32 v30, v16, v18
	v_mul_f32_e32 v16, v3, v37
	v_add_f32_e32 v7, v20, v7
	v_mul_f32_e32 v20, v2, v35
	v_fma_f32 v16, v2, v36, -v16
	v_mul_f32_e32 v2, v2, v37
	v_add_f32_e32 v26, v26, v29
	v_fmac_f32_e32 v20, v3, v34
	v_fmac_f32_e32 v2, v3, v36
	v_add_f32_e32 v32, v26, v20
	v_add_f32_e32 v26, v1, v16
	;; [unrolled: 1-line block ×3, first 2 shown]
	v_mul_f32_e32 v0, v41, v35
	v_mul_f32_e32 v1, v40, v35
	v_add_f32_e32 v5, v24, v5
	v_fma_f32 v0, v40, v34, -v0
	v_fmac_f32_e32 v1, v41, v34
	v_add_f32_e32 v22, v4, v0
	v_add_f32_e32 v24, v5, v1
	v_mul_f32_e32 v0, v41, v37
	v_mul_f32_e32 v1, v40, v37
	v_fma_f32 v0, v40, v36, -v0
	v_fmac_f32_e32 v1, v41, v36
	s_addc_u32 s11, s11, 0
	v_add_f32_e32 v18, v6, v0
	v_add_f32_e32 v20, v7, v1
	v_mov_b64_e32 v[0:1], s[10:11]
	v_cmp_gt_i64_e32 vcc, s[8:9], v[0:1]
	s_barrier
	s_cbranch_vccz .LBB246_14
.LBB246_8:                              ; =>This Inner Loop Header: Depth=1
	v_mov_b32_e32 v0, 0
	v_mov_b32_e32 v1, 0
	s_and_saveexec_b64 s[18:19], s[2:3]
	s_cbranch_execz .LBB246_12
; %bb.9:                                ;   in Loop: Header=BB246_8 Depth=1
	v_add_u32_e32 v16, s10, v10
	v_cmp_gt_u64_e32 vcc, s[8:9], v[16:17]
	v_mov_b32_e32 v1, 0
	v_mov_b32_e32 v0, 0
	s_and_saveexec_b64 s[20:21], vcc
	s_cbranch_execz .LBB246_11
; %bb.10:                               ;   in Loop: Header=BB246_8 Depth=1
	v_lshl_add_u64 v[0:1], v[16:17], 3, v[12:13]
	global_load_dwordx2 v[0:1], v[0:1], off
.LBB246_11:                             ;   in Loop: Header=BB246_8 Depth=1
	s_or_b64 exec, exec, s[20:21]
.LBB246_12:                             ;   in Loop: Header=BB246_8 Depth=1
	s_or_b64 exec, exec, s[18:19]
	v_add_u32_e32 v16, s10, v8
	v_cmp_gt_u64_e32 vcc, s[8:9], v[16:17]
	s_waitcnt vmcnt(0)
	ds_write_b64 v19, v[0:1]
	s_and_b64 s[20:21], vcc, s[6:7]
	v_mov_b32_e32 v0, 0
	v_mov_b32_e32 v1, 0
	s_and_saveexec_b64 s[18:19], s[20:21]
	s_cbranch_execz .LBB246_7
; %bb.13:                               ;   in Loop: Header=BB246_8 Depth=1
	v_lshl_add_u64 v[0:1], v[16:17], 3, v[14:15]
	global_load_dwordx2 v[0:1], v[0:1], off
	s_branch .LBB246_7
.LBB246_14:
	s_load_dwordx2 s[2:3], s[0:1], 0x60
	s_load_dwordx4 s[8:11], s[0:1], 0x50
	v_add_u32_e32 v10, s5, v9
	v_ashrrev_i32_e32 v1, 31, v10
	v_add_u32_e32 v0, s23, v11
	s_waitcnt lgkmcnt(0)
	s_mul_i32 s1, s3, s4
	s_mul_hi_u32 s3, s2, s4
	s_mul_i32 s0, s2, s4
	s_add_i32 s1, s3, s1
	s_lshl_b64 s[0:1], s[0:1], 3
	s_add_u32 s6, s8, s0
	s_addc_u32 s7, s9, s1
	v_cmp_neq_f32_e64 s[0:1], s12, 0
	s_xor_b64 s[4:5], s[16:17], -1
	v_mul_lo_u32 v1, s10, v1
	v_mul_lo_u32 v4, s11, v10
	v_mad_u64_u32 v[2:3], s[2:3], s10, v10, 0
	v_add3_u32 v3, v3, v1, v4
	s_or_b64 s[0:1], s[0:1], s[4:5]
	v_lshl_add_u64 v[4:5], v[2:3], 3, s[6:7]
	v_cmp_le_i32_e32 vcc, v10, v0
	v_cmp_gt_i32_e64 s[2:3], s22, v0
	v_cndmask_b32_e64 v2, 0, 1, s[0:1]
	s_and_b64 s[8:9], vcc, s[2:3]
	v_ashrrev_i32_e32 v1, 31, v0
	v_cmp_ne_u32_e64 s[0:1], 1, v2
	s_and_saveexec_b64 s[4:5], s[8:9]
	s_cbranch_execz .LBB246_18
; %bb.15:
	v_pk_mul_f32 v[6:7], v[32:33], s[14:15] op_sel:[0,1] op_sel_hi:[0,0]
	v_pk_fma_f32 v[2:3], v[30:31], s[14:15], v[6:7] op_sel_hi:[0,1,1] neg_lo:[0,0,1] neg_hi:[0,0,1]
	v_pk_fma_f32 v[8:9], v[30:31], s[14:15], v[6:7] op_sel_hi:[0,1,1]
	s_and_b64 vcc, exec, s[0:1]
	v_lshl_add_u64 v[6:7], v[0:1], 3, v[4:5]
	s_cbranch_vccnz .LBB246_17
; %bb.16:
	global_load_dwordx2 v[12:13], v[6:7], off
	s_mov_b32 s8, s13
	v_mov_b32_e32 v3, v9
	s_waitcnt vmcnt(0)
	v_pk_mul_f32 v[8:9], v[12:13], s[8:9] op_sel:[1,0] op_sel_hi:[0,0]
	v_pk_fma_f32 v[14:15], v[12:13], s[12:13], v[8:9] neg_lo:[0,0,1] neg_hi:[0,0,1]
	v_pk_fma_f32 v[8:9], v[12:13], s[12:13], v[8:9] op_sel_hi:[1,0,1]
	s_nop 0
	v_mov_b32_e32 v15, v9
	v_pk_add_f32 v[2:3], v[2:3], v[14:15]
	s_nop 0
	v_mov_b32_e32 v9, v3
.LBB246_17:
	v_mov_b32_e32 v3, v9
	global_store_dwordx2 v[6:7], v[2:3], off
.LBB246_18:
	s_or_b64 exec, exec, s[4:5]
	v_add_u32_e32 v2, 16, v0
	v_cmp_le_i32_e32 vcc, v10, v2
	v_cmp_gt_i32_e64 s[4:5], s22, v2
	s_and_b64 s[16:17], vcc, s[4:5]
	v_ashrrev_i32_e32 v3, 31, v2
	s_and_saveexec_b64 s[8:9], s[16:17]
	s_cbranch_execz .LBB246_22
; %bb.19:
	v_pk_mul_f32 v[8:9], v[28:29], s[14:15] op_sel:[0,1] op_sel_hi:[0,0]
	v_pk_fma_f32 v[6:7], v[26:27], s[14:15], v[8:9] op_sel_hi:[0,1,1] neg_lo:[0,0,1] neg_hi:[0,0,1]
	v_pk_fma_f32 v[8:9], v[26:27], s[14:15], v[8:9] op_sel_hi:[0,1,1]
	s_and_b64 vcc, exec, s[0:1]
	v_lshl_add_u64 v[4:5], v[2:3], 3, v[4:5]
	s_cbranch_vccnz .LBB246_21
; %bb.20:
	global_load_dwordx2 v[12:13], v[4:5], off
	s_mov_b32 s16, s13
	v_mov_b32_e32 v7, v9
	s_waitcnt vmcnt(0)
	v_pk_mul_f32 v[8:9], v[12:13], s[16:17] op_sel:[1,0] op_sel_hi:[0,0]
	v_pk_fma_f32 v[14:15], v[12:13], s[12:13], v[8:9] neg_lo:[0,0,1] neg_hi:[0,0,1]
	v_pk_fma_f32 v[8:9], v[12:13], s[12:13], v[8:9] op_sel_hi:[1,0,1]
	s_nop 0
	v_mov_b32_e32 v15, v9
	v_pk_add_f32 v[6:7], v[6:7], v[14:15]
	s_nop 0
	v_mov_b32_e32 v9, v7
.LBB246_21:
	v_mov_b32_e32 v7, v9
	global_store_dwordx2 v[4:5], v[6:7], off
.LBB246_22:
	s_or_b64 exec, exec, s[8:9]
	v_add_u32_e32 v10, 16, v10
	v_ashrrev_i32_e32 v4, 31, v10
	v_mul_lo_u32 v6, s10, v4
	v_mul_lo_u32 v7, s11, v10
	v_mad_u64_u32 v[4:5], s[8:9], s10, v10, 0
	v_add3_u32 v5, v5, v6, v7
	v_cmp_le_i32_e32 vcc, v10, v0
	v_lshl_add_u64 v[4:5], v[4:5], 3, s[6:7]
	s_and_b64 s[6:7], vcc, s[2:3]
	s_and_saveexec_b64 s[2:3], s[6:7]
	s_cbranch_execz .LBB246_26
; %bb.23:
	v_pk_mul_f32 v[8:9], v[24:25], s[14:15] op_sel:[0,1] op_sel_hi:[0,0]
	v_pk_fma_f32 v[6:7], v[22:23], s[14:15], v[8:9] op_sel_hi:[0,1,1] neg_lo:[0,0,1] neg_hi:[0,0,1]
	v_pk_fma_f32 v[8:9], v[22:23], s[14:15], v[8:9] op_sel_hi:[0,1,1]
	s_and_b64 vcc, exec, s[0:1]
	v_lshl_add_u64 v[0:1], v[0:1], 3, v[4:5]
	s_cbranch_vccnz .LBB246_25
; %bb.24:
	global_load_dwordx2 v[12:13], v[0:1], off
	s_mov_b32 s6, s13
	v_mov_b32_e32 v7, v9
	s_waitcnt vmcnt(0)
	v_pk_mul_f32 v[8:9], v[12:13], s[6:7] op_sel:[1,0] op_sel_hi:[0,0]
	v_pk_fma_f32 v[14:15], v[12:13], s[12:13], v[8:9] neg_lo:[0,0,1] neg_hi:[0,0,1]
	v_pk_fma_f32 v[8:9], v[12:13], s[12:13], v[8:9] op_sel_hi:[1,0,1]
	s_nop 0
	v_mov_b32_e32 v15, v9
	v_pk_add_f32 v[6:7], v[6:7], v[14:15]
	s_nop 0
	v_mov_b32_e32 v9, v7
.LBB246_25:
	v_mov_b32_e32 v7, v9
	global_store_dwordx2 v[0:1], v[6:7], off
.LBB246_26:
	s_or_b64 exec, exec, s[2:3]
	v_cmp_le_i32_e32 vcc, v10, v2
	s_and_b64 s[2:3], vcc, s[4:5]
	s_and_saveexec_b64 s[4:5], s[2:3]
	s_cbranch_execz .LBB246_30
; %bb.27:
	v_pk_mul_f32 v[6:7], v[20:21], s[14:15] op_sel:[0,1] op_sel_hi:[0,0]
	v_pk_fma_f32 v[0:1], v[18:19], s[14:15], v[6:7] op_sel_hi:[0,1,1] neg_lo:[0,0,1] neg_hi:[0,0,1]
	v_pk_fma_f32 v[6:7], v[18:19], s[14:15], v[6:7] op_sel_hi:[0,1,1]
	s_and_b64 vcc, exec, s[0:1]
	v_lshl_add_u64 v[2:3], v[2:3], 3, v[4:5]
	s_cbranch_vccnz .LBB246_29
; %bb.28:
	global_load_dwordx2 v[4:5], v[2:3], off
	s_mov_b32 s0, s13
	v_mov_b32_e32 v1, v7
	s_waitcnt vmcnt(0)
	v_pk_mul_f32 v[6:7], v[4:5], s[0:1] op_sel:[1,0] op_sel_hi:[0,0]
	v_pk_fma_f32 v[8:9], v[4:5], s[12:13], v[6:7] neg_lo:[0,0,1] neg_hi:[0,0,1]
	v_pk_fma_f32 v[4:5], v[4:5], s[12:13], v[6:7] op_sel_hi:[1,0,1]
	s_nop 0
	v_mov_b32_e32 v9, v5
	v_pk_add_f32 v[0:1], v[0:1], v[8:9]
	s_nop 0
	v_mov_b32_e32 v7, v1
.LBB246_29:
	v_mov_b32_e32 v1, v7
	global_store_dwordx2 v[2:3], v[0:1], off
.LBB246_30:
	s_endpgm
	.section	.rodata,"a",@progbits
	.p2align	6, 0x0
	.amdhsa_kernel _ZL29rocblas_internal_gemmt_kernelIlLi16ELi32ELi8ELc84ELc78ELc76ELb0ELb0E19rocblas_complex_numIfES1_PKS1_PS1_EviT_T9_T10_S5_lS7_S5_lS6_T11_S5_li
		.amdhsa_group_segment_fixed_size 4096
		.amdhsa_private_segment_fixed_size 0
		.amdhsa_kernarg_size 108
		.amdhsa_user_sgpr_count 2
		.amdhsa_user_sgpr_dispatch_ptr 0
		.amdhsa_user_sgpr_queue_ptr 0
		.amdhsa_user_sgpr_kernarg_segment_ptr 1
		.amdhsa_user_sgpr_dispatch_id 0
		.amdhsa_user_sgpr_kernarg_preload_length 0
		.amdhsa_user_sgpr_kernarg_preload_offset 0
		.amdhsa_user_sgpr_private_segment_size 0
		.amdhsa_uses_dynamic_stack 0
		.amdhsa_enable_private_segment 0
		.amdhsa_system_sgpr_workgroup_id_x 1
		.amdhsa_system_sgpr_workgroup_id_y 1
		.amdhsa_system_sgpr_workgroup_id_z 1
		.amdhsa_system_sgpr_workgroup_info 0
		.amdhsa_system_vgpr_workitem_id 1
		.amdhsa_next_free_vgpr 51
		.amdhsa_next_free_sgpr 40
		.amdhsa_accum_offset 52
		.amdhsa_reserve_vcc 1
		.amdhsa_float_round_mode_32 0
		.amdhsa_float_round_mode_16_64 0
		.amdhsa_float_denorm_mode_32 3
		.amdhsa_float_denorm_mode_16_64 3
		.amdhsa_dx10_clamp 1
		.amdhsa_ieee_mode 1
		.amdhsa_fp16_overflow 0
		.amdhsa_tg_split 0
		.amdhsa_exception_fp_ieee_invalid_op 0
		.amdhsa_exception_fp_denorm_src 0
		.amdhsa_exception_fp_ieee_div_zero 0
		.amdhsa_exception_fp_ieee_overflow 0
		.amdhsa_exception_fp_ieee_underflow 0
		.amdhsa_exception_fp_ieee_inexact 0
		.amdhsa_exception_int_div_zero 0
	.end_amdhsa_kernel
	.section	.text._ZL29rocblas_internal_gemmt_kernelIlLi16ELi32ELi8ELc84ELc78ELc76ELb0ELb0E19rocblas_complex_numIfES1_PKS1_PS1_EviT_T9_T10_S5_lS7_S5_lS6_T11_S5_li,"axG",@progbits,_ZL29rocblas_internal_gemmt_kernelIlLi16ELi32ELi8ELc84ELc78ELc76ELb0ELb0E19rocblas_complex_numIfES1_PKS1_PS1_EviT_T9_T10_S5_lS7_S5_lS6_T11_S5_li,comdat
.Lfunc_end246:
	.size	_ZL29rocblas_internal_gemmt_kernelIlLi16ELi32ELi8ELc84ELc78ELc76ELb0ELb0E19rocblas_complex_numIfES1_PKS1_PS1_EviT_T9_T10_S5_lS7_S5_lS6_T11_S5_li, .Lfunc_end246-_ZL29rocblas_internal_gemmt_kernelIlLi16ELi32ELi8ELc84ELc78ELc76ELb0ELb0E19rocblas_complex_numIfES1_PKS1_PS1_EviT_T9_T10_S5_lS7_S5_lS6_T11_S5_li
                                        ; -- End function
	.set _ZL29rocblas_internal_gemmt_kernelIlLi16ELi32ELi8ELc84ELc78ELc76ELb0ELb0E19rocblas_complex_numIfES1_PKS1_PS1_EviT_T9_T10_S5_lS7_S5_lS6_T11_S5_li.num_vgpr, 51
	.set _ZL29rocblas_internal_gemmt_kernelIlLi16ELi32ELi8ELc84ELc78ELc76ELb0ELb0E19rocblas_complex_numIfES1_PKS1_PS1_EviT_T9_T10_S5_lS7_S5_lS6_T11_S5_li.num_agpr, 0
	.set _ZL29rocblas_internal_gemmt_kernelIlLi16ELi32ELi8ELc84ELc78ELc76ELb0ELb0E19rocblas_complex_numIfES1_PKS1_PS1_EviT_T9_T10_S5_lS7_S5_lS6_T11_S5_li.numbered_sgpr, 40
	.set _ZL29rocblas_internal_gemmt_kernelIlLi16ELi32ELi8ELc84ELc78ELc76ELb0ELb0E19rocblas_complex_numIfES1_PKS1_PS1_EviT_T9_T10_S5_lS7_S5_lS6_T11_S5_li.num_named_barrier, 0
	.set _ZL29rocblas_internal_gemmt_kernelIlLi16ELi32ELi8ELc84ELc78ELc76ELb0ELb0E19rocblas_complex_numIfES1_PKS1_PS1_EviT_T9_T10_S5_lS7_S5_lS6_T11_S5_li.private_seg_size, 0
	.set _ZL29rocblas_internal_gemmt_kernelIlLi16ELi32ELi8ELc84ELc78ELc76ELb0ELb0E19rocblas_complex_numIfES1_PKS1_PS1_EviT_T9_T10_S5_lS7_S5_lS6_T11_S5_li.uses_vcc, 1
	.set _ZL29rocblas_internal_gemmt_kernelIlLi16ELi32ELi8ELc84ELc78ELc76ELb0ELb0E19rocblas_complex_numIfES1_PKS1_PS1_EviT_T9_T10_S5_lS7_S5_lS6_T11_S5_li.uses_flat_scratch, 0
	.set _ZL29rocblas_internal_gemmt_kernelIlLi16ELi32ELi8ELc84ELc78ELc76ELb0ELb0E19rocblas_complex_numIfES1_PKS1_PS1_EviT_T9_T10_S5_lS7_S5_lS6_T11_S5_li.has_dyn_sized_stack, 0
	.set _ZL29rocblas_internal_gemmt_kernelIlLi16ELi32ELi8ELc84ELc78ELc76ELb0ELb0E19rocblas_complex_numIfES1_PKS1_PS1_EviT_T9_T10_S5_lS7_S5_lS6_T11_S5_li.has_recursion, 0
	.set _ZL29rocblas_internal_gemmt_kernelIlLi16ELi32ELi8ELc84ELc78ELc76ELb0ELb0E19rocblas_complex_numIfES1_PKS1_PS1_EviT_T9_T10_S5_lS7_S5_lS6_T11_S5_li.has_indirect_call, 0
	.section	.AMDGPU.csdata,"",@progbits
; Kernel info:
; codeLenInByte = 2548
; TotalNumSgprs: 46
; NumVgprs: 51
; NumAgprs: 0
; TotalNumVgprs: 51
; ScratchSize: 0
; MemoryBound: 0
; FloatMode: 240
; IeeeMode: 1
; LDSByteSize: 4096 bytes/workgroup (compile time only)
; SGPRBlocks: 5
; VGPRBlocks: 6
; NumSGPRsForWavesPerEU: 46
; NumVGPRsForWavesPerEU: 51
; AccumOffset: 52
; Occupancy: 8
; WaveLimiterHint : 0
; COMPUTE_PGM_RSRC2:SCRATCH_EN: 0
; COMPUTE_PGM_RSRC2:USER_SGPR: 2
; COMPUTE_PGM_RSRC2:TRAP_HANDLER: 0
; COMPUTE_PGM_RSRC2:TGID_X_EN: 1
; COMPUTE_PGM_RSRC2:TGID_Y_EN: 1
; COMPUTE_PGM_RSRC2:TGID_Z_EN: 1
; COMPUTE_PGM_RSRC2:TIDIG_COMP_CNT: 1
; COMPUTE_PGM_RSRC3_GFX90A:ACCUM_OFFSET: 12
; COMPUTE_PGM_RSRC3_GFX90A:TG_SPLIT: 0
	.section	.text._ZL29rocblas_internal_gemmt_kernelIlLi16ELi32ELi8ELc84ELc84ELc76ELb0ELb0E19rocblas_complex_numIfES1_PKS1_PS1_EviT_T9_T10_S5_lS7_S5_lS6_T11_S5_li,"axG",@progbits,_ZL29rocblas_internal_gemmt_kernelIlLi16ELi32ELi8ELc84ELc84ELc76ELb0ELb0E19rocblas_complex_numIfES1_PKS1_PS1_EviT_T9_T10_S5_lS7_S5_lS6_T11_S5_li,comdat
	.globl	_ZL29rocblas_internal_gemmt_kernelIlLi16ELi32ELi8ELc84ELc84ELc76ELb0ELb0E19rocblas_complex_numIfES1_PKS1_PS1_EviT_T9_T10_S5_lS7_S5_lS6_T11_S5_li ; -- Begin function _ZL29rocblas_internal_gemmt_kernelIlLi16ELi32ELi8ELc84ELc84ELc76ELb0ELb0E19rocblas_complex_numIfES1_PKS1_PS1_EviT_T9_T10_S5_lS7_S5_lS6_T11_S5_li
	.p2align	8
	.type	_ZL29rocblas_internal_gemmt_kernelIlLi16ELi32ELi8ELc84ELc84ELc76ELb0ELb0E19rocblas_complex_numIfES1_PKS1_PS1_EviT_T9_T10_S5_lS7_S5_lS6_T11_S5_li,@function
_ZL29rocblas_internal_gemmt_kernelIlLi16ELi32ELi8ELc84ELc84ELc76ELb0ELb0E19rocblas_complex_numIfES1_PKS1_PS1_EviT_T9_T10_S5_lS7_S5_lS6_T11_S5_li: ; @_ZL29rocblas_internal_gemmt_kernelIlLi16ELi32ELi8ELc84ELc84ELc76ELb0ELb0E19rocblas_complex_numIfES1_PKS1_PS1_EviT_T9_T10_S5_lS7_S5_lS6_T11_S5_li
; %bb.0:
	s_load_dwordx2 s[12:13], s[0:1], 0x48
	s_load_dwordx2 s[14:15], s[0:1], 0x10
	s_waitcnt lgkmcnt(0)
	s_and_b32 s5, s13, 0x7fffffff
	s_cmp_eq_u32 s5, 0
	v_cmp_eq_f32_e64 s[6:7], s12, 1.0
	s_cselect_b64 s[16:17], -1, 0
	s_and_b64 s[6:7], s[6:7], s[16:17]
	s_and_b64 vcc, exec, s[6:7]
	s_cbranch_vccnz .LBB247_2
; %bb.1:
	s_mov_b64 s[6:7], -1
	s_load_dwordx2 s[18:19], s[0:1], 0x8
	s_cbranch_execz .LBB247_3
	s_branch .LBB247_4
.LBB247_2:
	s_mov_b64 s[6:7], 0
	s_load_dwordx2 s[18:19], s[0:1], 0x8
.LBB247_3:
	s_waitcnt lgkmcnt(0)
	s_cmp_lg_u64 s[18:19], 0
	v_cmp_neq_f32_e64 s[8:9], s14, 0
	v_cmp_neq_f32_e64 s[10:11], s15, 0
	s_cselect_b64 s[6:7], -1, 0
	s_or_b64 s[8:9], s[8:9], s[10:11]
	s_and_b64 s[6:7], s[6:7], s[8:9]
.LBB247_4:
	s_andn2_b64 vcc, exec, s[6:7]
	s_cbranch_vccnz .LBB247_30
; %bb.5:
	s_load_dword s24, s[0:1], 0x0
	s_lshl_b32 s25, s2, 5
	s_lshl_b32 s5, s3, 5
	v_cmp_eq_f32_e64 s[2:3], s14, 0
	v_cmp_eq_f32_e64 s[6:7], s15, 0
	s_and_b64 s[2:3], s[2:3], s[6:7]
	s_waitcnt lgkmcnt(0)
	v_cmp_lt_i64_e64 s[6:7], s[18:19], 1
	s_or_b64 s[2:3], s[2:3], s[6:7]
	v_and_b32_e32 v11, 0x3ff, v0
	v_bfe_u32 v9, v0, 10, 10
	v_mov_b32_e32 v30, 0
	s_and_b64 vcc, exec, s[2:3]
	v_mov_b32_e32 v32, 0
	v_mov_b32_e32 v26, 0
	;; [unrolled: 1-line block ×7, first 2 shown]
	s_cbranch_vccnz .LBB247_14
; %bb.6:
	s_load_dwordx8 s[36:43], s[0:1], 0x18
	s_load_dwordx4 s[8:11], s[0:1], 0x38
	v_lshl_add_u32 v1, v9, 4, v11
	v_lshrrev_b32_e32 v10, 5, v1
	v_lshrrev_b32_e32 v4, 3, v1
	v_and_b32_e32 v1, 31, v1
	s_waitcnt lgkmcnt(0)
	s_mul_i32 s2, s11, s4
	s_mul_hi_u32 s3, s10, s4
	s_add_i32 s3, s3, s2
	s_mul_i32 s2, s10, s4
	s_lshl_b64 s[2:3], s[2:3], 3
	s_add_u32 s10, s42, s2
	s_addc_u32 s11, s43, s3
	s_mul_i32 s2, s41, s4
	s_mul_hi_u32 s3, s40, s4
	s_add_i32 s3, s3, s2
	s_mul_i32 s2, s40, s4
	s_lshl_b64 s[2:3], s[2:3], 3
	v_or_b32_e32 v2, s25, v1
	s_add_u32 s6, s36, s2
	v_lshlrev_b32_e32 v1, 3, v1
	s_addc_u32 s7, s37, s3
	v_cmp_gt_i32_e64 s[2:3], s24, v2
	v_lshl_or_b32 v19, v10, 8, v1
	s_ashr_i32 s22, s25, 31
	v_mul_lo_u32 v1, s39, v2
	v_mad_u64_u32 v[2:3], s[20:21], s38, v2, 0
	v_and_b32_e32 v8, 7, v11
	s_mul_i32 s20, s38, s22
	v_add3_u32 v3, v3, s20, v1
	v_lshlrev_b32_e32 v1, 3, v8
	v_add_u32_e32 v0, s5, v4
	v_lshl_or_b32 v1, v4, 6, v1
	v_add_u32_e32 v21, 0x800, v1
	v_ashrrev_i32_e32 v1, 31, v0
	v_lshl_add_u64 v[12:13], v[2:3], 3, s[6:7]
	v_cmp_gt_i32_e64 s[6:7], s24, v0
	v_lshl_add_u64 v[14:15], v[0:1], 3, s[10:11]
	v_mov_b32_e32 v0, 0x800
	v_lshlrev_b32_e32 v23, 3, v11
	v_lshl_add_u32 v25, v9, 6, v0
	v_mov_b32_e32 v17, 0
	s_mov_b64 s[10:11], 0
	v_mov_b32_e32 v20, 0
	v_mov_b32_e32 v18, 0
	;; [unrolled: 1-line block ×8, first 2 shown]
	s_branch .LBB247_8
.LBB247_7:                              ;   in Loop: Header=BB247_8 Depth=1
	s_or_b64 exec, exec, s[20:21]
	s_waitcnt vmcnt(0)
	ds_write_b64 v21, v[0:1]
	s_waitcnt lgkmcnt(0)
	s_barrier
	ds_read2_b64 v[34:37], v23 offset1:16
	ds_read_b128 v[38:41], v25
	ds_read_b128 v[42:45], v25 offset:16
	ds_read_b128 v[4:7], v25 offset:32
	;; [unrolled: 1-line block ×3, first 2 shown]
	s_add_u32 s10, s10, 8
	s_waitcnt lgkmcnt(3)
	v_mul_f32_e32 v16, v39, v35
	v_mul_f32_e32 v27, v38, v35
	v_fma_f32 v16, v38, v34, -v16
	v_fmac_f32_e32 v27, v39, v34
	v_add_f32_e32 v16, v30, v16
	v_add_f32_e32 v50, v32, v27
	ds_read_b128 v[30:33], v25 offset:1024
	v_mul_f32_e32 v27, v39, v37
	v_mul_f32_e32 v29, v38, v37
	v_fma_f32 v27, v38, v36, -v27
	v_fmac_f32_e32 v29, v39, v36
	v_add_f32_e32 v38, v26, v27
	v_add_f32_e32 v39, v28, v29
	ds_read_b128 v[26:29], v25 offset:1040
	s_waitcnt lgkmcnt(1)
	v_mul_f32_e32 v46, v31, v35
	v_fma_f32 v46, v30, v34, -v46
	v_add_f32_e32 v22, v22, v46
	ds_read2_b64 v[46:49], v23 offset0:32 offset1:48
	v_mul_f32_e32 v35, v30, v35
	v_fmac_f32_e32 v35, v31, v34
	v_mul_f32_e32 v34, v31, v37
	v_fma_f32 v34, v30, v36, -v34
	v_mul_f32_e32 v30, v30, v37
	v_fmac_f32_e32 v30, v31, v36
	v_add_f32_e32 v20, v20, v30
	s_waitcnt lgkmcnt(0)
	v_mul_f32_e32 v30, v41, v47
	v_mul_f32_e32 v31, v40, v47
	v_fma_f32 v30, v40, v46, -v30
	v_fmac_f32_e32 v31, v41, v46
	v_add_f32_e32 v18, v18, v34
	v_add_f32_e32 v16, v16, v30
	;; [unrolled: 1-line block ×3, first 2 shown]
	v_mul_f32_e32 v31, v41, v49
	v_mul_f32_e32 v34, v40, v49
	v_fma_f32 v31, v40, v48, -v31
	v_fmac_f32_e32 v34, v41, v48
	v_add_f32_e32 v31, v38, v31
	v_add_f32_e32 v38, v39, v34
	v_mul_f32_e32 v34, v33, v47
	v_add_f32_e32 v24, v24, v35
	v_fma_f32 v34, v32, v46, -v34
	v_mul_f32_e32 v35, v32, v47
	v_fmac_f32_e32 v35, v33, v46
	v_add_f32_e32 v22, v22, v34
	v_mul_f32_e32 v34, v33, v49
	v_add_f32_e32 v24, v24, v35
	v_fma_f32 v39, v32, v48, -v34
	ds_read2_b64 v[34:37], v23 offset0:64 offset1:80
	v_mul_f32_e32 v32, v32, v49
	v_fmac_f32_e32 v32, v33, v48
	v_add_f32_e32 v18, v18, v39
	v_add_f32_e32 v20, v20, v32
	s_waitcnt lgkmcnt(0)
	v_mul_f32_e32 v33, v42, v35
	v_fmac_f32_e32 v33, v43, v34
	v_add_f32_e32 v39, v30, v33
	v_mul_f32_e32 v30, v43, v37
	v_mul_f32_e32 v32, v43, v35
	v_fma_f32 v30, v42, v36, -v30
	v_fma_f32 v32, v42, v34, -v32
	v_add_f32_e32 v40, v31, v30
	v_mul_f32_e32 v30, v27, v35
	v_add_f32_e32 v16, v16, v32
	v_mul_f32_e32 v32, v42, v37
	v_fma_f32 v30, v26, v34, -v30
	v_mul_f32_e32 v31, v26, v35
	v_fmac_f32_e32 v32, v43, v36
	v_fmac_f32_e32 v31, v27, v34
	v_add_f32_e32 v22, v22, v30
	v_mul_f32_e32 v30, v27, v37
	v_add_f32_e32 v38, v38, v32
	v_add_f32_e32 v24, v24, v31
	v_fma_f32 v34, v26, v36, -v30
	ds_read2_b64 v[30:33], v23 offset0:96 offset1:112
	v_mul_f32_e32 v26, v26, v37
	v_fmac_f32_e32 v26, v27, v36
	v_add_f32_e32 v20, v20, v26
	v_add_f32_e32 v18, v18, v34
	s_waitcnt lgkmcnt(0)
	v_mul_f32_e32 v26, v45, v31
	v_mul_f32_e32 v27, v44, v31
	v_fma_f32 v26, v44, v30, -v26
	v_fmac_f32_e32 v27, v45, v30
	v_add_f32_e32 v16, v16, v26
	v_add_f32_e32 v26, v39, v27
	v_mul_f32_e32 v27, v45, v33
	v_mul_f32_e32 v34, v44, v33
	v_fma_f32 v27, v44, v32, -v27
	v_fmac_f32_e32 v34, v45, v32
	v_add_f32_e32 v39, v40, v27
	v_add_f32_e32 v38, v38, v34
	v_mul_f32_e32 v27, v29, v31
	ds_read2_b64 v[34:37], v23 offset0:128 offset1:144
	v_fma_f32 v27, v28, v30, -v27
	v_add_f32_e32 v22, v22, v27
	v_mul_f32_e32 v27, v29, v33
	v_mul_f32_e32 v31, v28, v31
	v_fma_f32 v27, v28, v32, -v27
	v_mul_f32_e32 v28, v28, v33
	v_fmac_f32_e32 v28, v29, v32
	v_add_f32_e32 v20, v20, v28
	s_waitcnt lgkmcnt(0)
	v_mul_f32_e32 v28, v4, v35
	v_add_f32_e32 v18, v18, v27
	v_mul_f32_e32 v27, v5, v35
	v_fmac_f32_e32 v28, v5, v34
	v_fma_f32 v27, v4, v34, -v27
	v_add_f32_e32 v42, v26, v28
	v_mul_f32_e32 v26, v5, v37
	v_fmac_f32_e32 v31, v29, v30
	v_add_f32_e32 v16, v16, v27
	v_fma_f32 v30, v4, v36, -v26
	ds_read_b128 v[26:29], v25 offset:1056
	v_mul_f32_e32 v4, v4, v37
	v_fmac_f32_e32 v4, v5, v36
	v_add_f32_e32 v5, v39, v30
	v_add_f32_e32 v4, v38, v4
	ds_read_b128 v[38:41], v25 offset:1072
	s_waitcnt lgkmcnt(1)
	v_mul_f32_e32 v30, v27, v35
	v_add_f32_e32 v24, v24, v31
	v_fma_f32 v30, v26, v34, -v30
	v_mul_f32_e32 v31, v26, v35
	v_fmac_f32_e32 v31, v27, v34
	v_add_f32_e32 v22, v22, v30
	v_mul_f32_e32 v30, v27, v37
	v_add_f32_e32 v24, v24, v31
	v_fma_f32 v34, v26, v36, -v30
	ds_read2_b64 v[30:33], v23 offset0:160 offset1:176
	v_mul_f32_e32 v26, v26, v37
	v_fmac_f32_e32 v26, v27, v36
	v_add_f32_e32 v20, v20, v26
	v_add_f32_e32 v18, v18, v34
	s_waitcnt lgkmcnt(0)
	v_mul_f32_e32 v26, v7, v31
	v_mul_f32_e32 v27, v6, v31
	v_fma_f32 v26, v6, v30, -v26
	v_fmac_f32_e32 v27, v7, v30
	v_add_f32_e32 v16, v16, v26
	v_add_f32_e32 v26, v42, v27
	v_mul_f32_e32 v27, v7, v33
	v_fma_f32 v27, v6, v32, -v27
	v_mul_f32_e32 v6, v6, v33
	v_fmac_f32_e32 v6, v7, v32
	v_add_f32_e32 v34, v4, v6
	v_mul_f32_e32 v4, v29, v31
	v_add_f32_e32 v27, v5, v27
	v_fma_f32 v4, v28, v30, -v4
	v_mul_f32_e32 v5, v28, v31
	v_fmac_f32_e32 v5, v29, v30
	v_add_f32_e32 v22, v22, v4
	v_mul_f32_e32 v4, v29, v33
	v_add_f32_e32 v24, v24, v5
	v_fma_f32 v30, v28, v32, -v4
	ds_read2_b64 v[4:7], v23 offset0:192 offset1:208
	v_mul_f32_e32 v28, v28, v33
	v_fmac_f32_e32 v28, v29, v32
	v_add_f32_e32 v20, v20, v28
	v_add_f32_e32 v18, v18, v30
	s_waitcnt lgkmcnt(0)
	v_mul_f32_e32 v28, v1, v5
	v_fma_f32 v28, v0, v4, -v28
	v_add_f32_e32 v16, v16, v28
	v_mul_f32_e32 v28, v1, v7
	v_mul_f32_e32 v29, v0, v5
	v_fma_f32 v28, v0, v6, -v28
	v_mul_f32_e32 v0, v0, v7
	v_fmac_f32_e32 v0, v1, v6
	v_add_f32_e32 v0, v34, v0
	ds_read2_b64 v[34:37], v23 offset0:224 offset1:240
	v_fmac_f32_e32 v29, v1, v4
	v_add_f32_e32 v1, v27, v28
	v_mul_f32_e32 v27, v39, v5
	v_fma_f32 v27, v38, v4, -v27
	v_mul_f32_e32 v5, v38, v5
	v_fmac_f32_e32 v5, v39, v4
	v_add_f32_e32 v4, v22, v27
	v_mul_f32_e32 v22, v39, v7
	v_fma_f32 v22, v38, v6, -v22
	v_mul_f32_e32 v7, v38, v7
	v_fmac_f32_e32 v7, v39, v6
	v_add_f32_e32 v6, v18, v22
	s_waitcnt lgkmcnt(0)
	v_mul_f32_e32 v18, v3, v35
	v_fma_f32 v18, v2, v34, -v18
	v_add_f32_e32 v30, v16, v18
	v_mul_f32_e32 v16, v3, v37
	v_add_f32_e32 v7, v20, v7
	v_mul_f32_e32 v20, v2, v35
	v_fma_f32 v16, v2, v36, -v16
	v_mul_f32_e32 v2, v2, v37
	v_add_f32_e32 v26, v26, v29
	v_fmac_f32_e32 v20, v3, v34
	v_fmac_f32_e32 v2, v3, v36
	v_add_f32_e32 v32, v26, v20
	v_add_f32_e32 v26, v1, v16
	;; [unrolled: 1-line block ×3, first 2 shown]
	v_mul_f32_e32 v0, v41, v35
	v_mul_f32_e32 v1, v40, v35
	v_add_f32_e32 v5, v24, v5
	v_fma_f32 v0, v40, v34, -v0
	v_fmac_f32_e32 v1, v41, v34
	v_add_f32_e32 v22, v4, v0
	v_add_f32_e32 v24, v5, v1
	v_mul_f32_e32 v0, v41, v37
	v_mul_f32_e32 v1, v40, v37
	v_fma_f32 v0, v40, v36, -v0
	v_fmac_f32_e32 v1, v41, v36
	s_addc_u32 s11, s11, 0
	v_add_f32_e32 v18, v6, v0
	v_add_f32_e32 v20, v7, v1
	v_mov_b64_e32 v[0:1], s[10:11]
	v_cmp_gt_i64_e32 vcc, s[18:19], v[0:1]
	s_barrier
	s_cbranch_vccz .LBB247_14
.LBB247_8:                              ; =>This Inner Loop Header: Depth=1
	v_mov_b32_e32 v0, 0
	v_mov_b32_e32 v1, 0
	s_and_saveexec_b64 s[20:21], s[2:3]
	s_cbranch_execz .LBB247_12
; %bb.9:                                ;   in Loop: Header=BB247_8 Depth=1
	v_add_u32_e32 v16, s10, v10
	v_cmp_gt_u64_e32 vcc, s[18:19], v[16:17]
	v_mov_b32_e32 v1, 0
	v_mov_b32_e32 v0, 0
	s_and_saveexec_b64 s[22:23], vcc
	s_cbranch_execz .LBB247_11
; %bb.10:                               ;   in Loop: Header=BB247_8 Depth=1
	v_lshl_add_u64 v[0:1], v[16:17], 3, v[12:13]
	global_load_dwordx2 v[0:1], v[0:1], off
.LBB247_11:                             ;   in Loop: Header=BB247_8 Depth=1
	s_or_b64 exec, exec, s[22:23]
.LBB247_12:                             ;   in Loop: Header=BB247_8 Depth=1
	s_or_b64 exec, exec, s[20:21]
	v_add_u32_e32 v16, s10, v8
	v_cmp_gt_u64_e32 vcc, s[18:19], v[16:17]
	s_waitcnt vmcnt(0)
	ds_write_b64 v19, v[0:1]
	s_and_b64 s[22:23], vcc, s[6:7]
	v_mov_b32_e32 v0, 0
	v_mov_b32_e32 v1, 0
	s_and_saveexec_b64 s[20:21], s[22:23]
	s_cbranch_execz .LBB247_7
; %bb.13:                               ;   in Loop: Header=BB247_8 Depth=1
	v_mad_u64_u32 v[0:1], s[22:23], s8, v16, 0
	v_mov_b32_e32 v2, v1
	v_mad_u64_u32 v[2:3], s[22:23], s9, v16, v[2:3]
	v_mov_b32_e32 v1, v2
	v_lshl_add_u64 v[0:1], v[0:1], 3, v[14:15]
	global_load_dwordx2 v[0:1], v[0:1], off
	s_branch .LBB247_7
.LBB247_14:
	s_load_dwordx2 s[2:3], s[0:1], 0x60
	s_load_dwordx4 s[8:11], s[0:1], 0x50
	v_add_u32_e32 v10, s5, v9
	v_ashrrev_i32_e32 v1, 31, v10
	v_add_u32_e32 v0, s25, v11
	s_waitcnt lgkmcnt(0)
	s_mul_i32 s1, s3, s4
	s_mul_hi_u32 s3, s2, s4
	s_mul_i32 s0, s2, s4
	s_add_i32 s1, s3, s1
	s_lshl_b64 s[0:1], s[0:1], 3
	s_add_u32 s6, s8, s0
	s_addc_u32 s7, s9, s1
	v_cmp_neq_f32_e64 s[0:1], s12, 0
	s_xor_b64 s[4:5], s[16:17], -1
	v_mul_lo_u32 v1, s10, v1
	v_mul_lo_u32 v4, s11, v10
	v_mad_u64_u32 v[2:3], s[2:3], s10, v10, 0
	v_add3_u32 v3, v3, v1, v4
	s_or_b64 s[0:1], s[0:1], s[4:5]
	v_lshl_add_u64 v[4:5], v[2:3], 3, s[6:7]
	v_cmp_le_i32_e32 vcc, v10, v0
	v_cmp_gt_i32_e64 s[2:3], s24, v0
	v_cndmask_b32_e64 v2, 0, 1, s[0:1]
	s_and_b64 s[8:9], vcc, s[2:3]
	v_ashrrev_i32_e32 v1, 31, v0
	v_cmp_ne_u32_e64 s[0:1], 1, v2
	s_and_saveexec_b64 s[4:5], s[8:9]
	s_cbranch_execz .LBB247_18
; %bb.15:
	v_pk_mul_f32 v[6:7], v[32:33], s[14:15] op_sel:[0,1] op_sel_hi:[0,0]
	v_pk_fma_f32 v[2:3], v[30:31], s[14:15], v[6:7] op_sel_hi:[0,1,1] neg_lo:[0,0,1] neg_hi:[0,0,1]
	v_pk_fma_f32 v[8:9], v[30:31], s[14:15], v[6:7] op_sel_hi:[0,1,1]
	s_and_b64 vcc, exec, s[0:1]
	v_lshl_add_u64 v[6:7], v[0:1], 3, v[4:5]
	s_cbranch_vccnz .LBB247_17
; %bb.16:
	global_load_dwordx2 v[12:13], v[6:7], off
	s_mov_b32 s8, s13
	v_mov_b32_e32 v3, v9
	s_waitcnt vmcnt(0)
	v_pk_mul_f32 v[8:9], v[12:13], s[8:9] op_sel:[1,0] op_sel_hi:[0,0]
	v_pk_fma_f32 v[14:15], v[12:13], s[12:13], v[8:9] neg_lo:[0,0,1] neg_hi:[0,0,1]
	v_pk_fma_f32 v[8:9], v[12:13], s[12:13], v[8:9] op_sel_hi:[1,0,1]
	s_nop 0
	v_mov_b32_e32 v15, v9
	v_pk_add_f32 v[2:3], v[2:3], v[14:15]
	s_nop 0
	v_mov_b32_e32 v9, v3
.LBB247_17:
	v_mov_b32_e32 v3, v9
	global_store_dwordx2 v[6:7], v[2:3], off
.LBB247_18:
	s_or_b64 exec, exec, s[4:5]
	v_add_u32_e32 v2, 16, v0
	v_cmp_le_i32_e32 vcc, v10, v2
	v_cmp_gt_i32_e64 s[4:5], s24, v2
	s_and_b64 s[16:17], vcc, s[4:5]
	v_ashrrev_i32_e32 v3, 31, v2
	s_and_saveexec_b64 s[8:9], s[16:17]
	s_cbranch_execz .LBB247_22
; %bb.19:
	v_pk_mul_f32 v[8:9], v[28:29], s[14:15] op_sel:[0,1] op_sel_hi:[0,0]
	v_pk_fma_f32 v[6:7], v[26:27], s[14:15], v[8:9] op_sel_hi:[0,1,1] neg_lo:[0,0,1] neg_hi:[0,0,1]
	v_pk_fma_f32 v[8:9], v[26:27], s[14:15], v[8:9] op_sel_hi:[0,1,1]
	s_and_b64 vcc, exec, s[0:1]
	v_lshl_add_u64 v[4:5], v[2:3], 3, v[4:5]
	s_cbranch_vccnz .LBB247_21
; %bb.20:
	global_load_dwordx2 v[12:13], v[4:5], off
	s_mov_b32 s16, s13
	v_mov_b32_e32 v7, v9
	s_waitcnt vmcnt(0)
	v_pk_mul_f32 v[8:9], v[12:13], s[16:17] op_sel:[1,0] op_sel_hi:[0,0]
	v_pk_fma_f32 v[14:15], v[12:13], s[12:13], v[8:9] neg_lo:[0,0,1] neg_hi:[0,0,1]
	v_pk_fma_f32 v[8:9], v[12:13], s[12:13], v[8:9] op_sel_hi:[1,0,1]
	s_nop 0
	v_mov_b32_e32 v15, v9
	v_pk_add_f32 v[6:7], v[6:7], v[14:15]
	s_nop 0
	v_mov_b32_e32 v9, v7
.LBB247_21:
	v_mov_b32_e32 v7, v9
	global_store_dwordx2 v[4:5], v[6:7], off
.LBB247_22:
	s_or_b64 exec, exec, s[8:9]
	v_add_u32_e32 v10, 16, v10
	v_ashrrev_i32_e32 v4, 31, v10
	v_mul_lo_u32 v6, s10, v4
	v_mul_lo_u32 v7, s11, v10
	v_mad_u64_u32 v[4:5], s[8:9], s10, v10, 0
	v_add3_u32 v5, v5, v6, v7
	v_cmp_le_i32_e32 vcc, v10, v0
	v_lshl_add_u64 v[4:5], v[4:5], 3, s[6:7]
	s_and_b64 s[6:7], vcc, s[2:3]
	s_and_saveexec_b64 s[2:3], s[6:7]
	s_cbranch_execz .LBB247_26
; %bb.23:
	v_pk_mul_f32 v[8:9], v[24:25], s[14:15] op_sel:[0,1] op_sel_hi:[0,0]
	v_pk_fma_f32 v[6:7], v[22:23], s[14:15], v[8:9] op_sel_hi:[0,1,1] neg_lo:[0,0,1] neg_hi:[0,0,1]
	v_pk_fma_f32 v[8:9], v[22:23], s[14:15], v[8:9] op_sel_hi:[0,1,1]
	s_and_b64 vcc, exec, s[0:1]
	v_lshl_add_u64 v[0:1], v[0:1], 3, v[4:5]
	s_cbranch_vccnz .LBB247_25
; %bb.24:
	global_load_dwordx2 v[12:13], v[0:1], off
	s_mov_b32 s6, s13
	v_mov_b32_e32 v7, v9
	s_waitcnt vmcnt(0)
	v_pk_mul_f32 v[8:9], v[12:13], s[6:7] op_sel:[1,0] op_sel_hi:[0,0]
	v_pk_fma_f32 v[14:15], v[12:13], s[12:13], v[8:9] neg_lo:[0,0,1] neg_hi:[0,0,1]
	v_pk_fma_f32 v[8:9], v[12:13], s[12:13], v[8:9] op_sel_hi:[1,0,1]
	s_nop 0
	v_mov_b32_e32 v15, v9
	v_pk_add_f32 v[6:7], v[6:7], v[14:15]
	s_nop 0
	v_mov_b32_e32 v9, v7
.LBB247_25:
	v_mov_b32_e32 v7, v9
	global_store_dwordx2 v[0:1], v[6:7], off
.LBB247_26:
	s_or_b64 exec, exec, s[2:3]
	v_cmp_le_i32_e32 vcc, v10, v2
	s_and_b64 s[2:3], vcc, s[4:5]
	s_and_saveexec_b64 s[4:5], s[2:3]
	s_cbranch_execz .LBB247_30
; %bb.27:
	v_pk_mul_f32 v[6:7], v[20:21], s[14:15] op_sel:[0,1] op_sel_hi:[0,0]
	v_pk_fma_f32 v[0:1], v[18:19], s[14:15], v[6:7] op_sel_hi:[0,1,1] neg_lo:[0,0,1] neg_hi:[0,0,1]
	v_pk_fma_f32 v[6:7], v[18:19], s[14:15], v[6:7] op_sel_hi:[0,1,1]
	s_and_b64 vcc, exec, s[0:1]
	v_lshl_add_u64 v[2:3], v[2:3], 3, v[4:5]
	s_cbranch_vccnz .LBB247_29
; %bb.28:
	global_load_dwordx2 v[4:5], v[2:3], off
	s_mov_b32 s0, s13
	v_mov_b32_e32 v1, v7
	s_waitcnt vmcnt(0)
	v_pk_mul_f32 v[6:7], v[4:5], s[0:1] op_sel:[1,0] op_sel_hi:[0,0]
	v_pk_fma_f32 v[8:9], v[4:5], s[12:13], v[6:7] neg_lo:[0,0,1] neg_hi:[0,0,1]
	v_pk_fma_f32 v[4:5], v[4:5], s[12:13], v[6:7] op_sel_hi:[1,0,1]
	s_nop 0
	v_mov_b32_e32 v9, v5
	v_pk_add_f32 v[0:1], v[0:1], v[8:9]
	s_nop 0
	v_mov_b32_e32 v7, v1
.LBB247_29:
	v_mov_b32_e32 v1, v7
	global_store_dwordx2 v[2:3], v[0:1], off
.LBB247_30:
	s_endpgm
	.section	.rodata,"a",@progbits
	.p2align	6, 0x0
	.amdhsa_kernel _ZL29rocblas_internal_gemmt_kernelIlLi16ELi32ELi8ELc84ELc84ELc76ELb0ELb0E19rocblas_complex_numIfES1_PKS1_PS1_EviT_T9_T10_S5_lS7_S5_lS6_T11_S5_li
		.amdhsa_group_segment_fixed_size 4096
		.amdhsa_private_segment_fixed_size 0
		.amdhsa_kernarg_size 108
		.amdhsa_user_sgpr_count 2
		.amdhsa_user_sgpr_dispatch_ptr 0
		.amdhsa_user_sgpr_queue_ptr 0
		.amdhsa_user_sgpr_kernarg_segment_ptr 1
		.amdhsa_user_sgpr_dispatch_id 0
		.amdhsa_user_sgpr_kernarg_preload_length 0
		.amdhsa_user_sgpr_kernarg_preload_offset 0
		.amdhsa_user_sgpr_private_segment_size 0
		.amdhsa_uses_dynamic_stack 0
		.amdhsa_enable_private_segment 0
		.amdhsa_system_sgpr_workgroup_id_x 1
		.amdhsa_system_sgpr_workgroup_id_y 1
		.amdhsa_system_sgpr_workgroup_id_z 1
		.amdhsa_system_sgpr_workgroup_info 0
		.amdhsa_system_vgpr_workitem_id 1
		.amdhsa_next_free_vgpr 51
		.amdhsa_next_free_sgpr 44
		.amdhsa_accum_offset 52
		.amdhsa_reserve_vcc 1
		.amdhsa_float_round_mode_32 0
		.amdhsa_float_round_mode_16_64 0
		.amdhsa_float_denorm_mode_32 3
		.amdhsa_float_denorm_mode_16_64 3
		.amdhsa_dx10_clamp 1
		.amdhsa_ieee_mode 1
		.amdhsa_fp16_overflow 0
		.amdhsa_tg_split 0
		.amdhsa_exception_fp_ieee_invalid_op 0
		.amdhsa_exception_fp_denorm_src 0
		.amdhsa_exception_fp_ieee_div_zero 0
		.amdhsa_exception_fp_ieee_overflow 0
		.amdhsa_exception_fp_ieee_underflow 0
		.amdhsa_exception_fp_ieee_inexact 0
		.amdhsa_exception_int_div_zero 0
	.end_amdhsa_kernel
	.section	.text._ZL29rocblas_internal_gemmt_kernelIlLi16ELi32ELi8ELc84ELc84ELc76ELb0ELb0E19rocblas_complex_numIfES1_PKS1_PS1_EviT_T9_T10_S5_lS7_S5_lS6_T11_S5_li,"axG",@progbits,_ZL29rocblas_internal_gemmt_kernelIlLi16ELi32ELi8ELc84ELc84ELc76ELb0ELb0E19rocblas_complex_numIfES1_PKS1_PS1_EviT_T9_T10_S5_lS7_S5_lS6_T11_S5_li,comdat
.Lfunc_end247:
	.size	_ZL29rocblas_internal_gemmt_kernelIlLi16ELi32ELi8ELc84ELc84ELc76ELb0ELb0E19rocblas_complex_numIfES1_PKS1_PS1_EviT_T9_T10_S5_lS7_S5_lS6_T11_S5_li, .Lfunc_end247-_ZL29rocblas_internal_gemmt_kernelIlLi16ELi32ELi8ELc84ELc84ELc76ELb0ELb0E19rocblas_complex_numIfES1_PKS1_PS1_EviT_T9_T10_S5_lS7_S5_lS6_T11_S5_li
                                        ; -- End function
	.set _ZL29rocblas_internal_gemmt_kernelIlLi16ELi32ELi8ELc84ELc84ELc76ELb0ELb0E19rocblas_complex_numIfES1_PKS1_PS1_EviT_T9_T10_S5_lS7_S5_lS6_T11_S5_li.num_vgpr, 51
	.set _ZL29rocblas_internal_gemmt_kernelIlLi16ELi32ELi8ELc84ELc84ELc76ELb0ELb0E19rocblas_complex_numIfES1_PKS1_PS1_EviT_T9_T10_S5_lS7_S5_lS6_T11_S5_li.num_agpr, 0
	.set _ZL29rocblas_internal_gemmt_kernelIlLi16ELi32ELi8ELc84ELc84ELc76ELb0ELb0E19rocblas_complex_numIfES1_PKS1_PS1_EviT_T9_T10_S5_lS7_S5_lS6_T11_S5_li.numbered_sgpr, 44
	.set _ZL29rocblas_internal_gemmt_kernelIlLi16ELi32ELi8ELc84ELc84ELc76ELb0ELb0E19rocblas_complex_numIfES1_PKS1_PS1_EviT_T9_T10_S5_lS7_S5_lS6_T11_S5_li.num_named_barrier, 0
	.set _ZL29rocblas_internal_gemmt_kernelIlLi16ELi32ELi8ELc84ELc84ELc76ELb0ELb0E19rocblas_complex_numIfES1_PKS1_PS1_EviT_T9_T10_S5_lS7_S5_lS6_T11_S5_li.private_seg_size, 0
	.set _ZL29rocblas_internal_gemmt_kernelIlLi16ELi32ELi8ELc84ELc84ELc76ELb0ELb0E19rocblas_complex_numIfES1_PKS1_PS1_EviT_T9_T10_S5_lS7_S5_lS6_T11_S5_li.uses_vcc, 1
	.set _ZL29rocblas_internal_gemmt_kernelIlLi16ELi32ELi8ELc84ELc84ELc76ELb0ELb0E19rocblas_complex_numIfES1_PKS1_PS1_EviT_T9_T10_S5_lS7_S5_lS6_T11_S5_li.uses_flat_scratch, 0
	.set _ZL29rocblas_internal_gemmt_kernelIlLi16ELi32ELi8ELc84ELc84ELc76ELb0ELb0E19rocblas_complex_numIfES1_PKS1_PS1_EviT_T9_T10_S5_lS7_S5_lS6_T11_S5_li.has_dyn_sized_stack, 0
	.set _ZL29rocblas_internal_gemmt_kernelIlLi16ELi32ELi8ELc84ELc84ELc76ELb0ELb0E19rocblas_complex_numIfES1_PKS1_PS1_EviT_T9_T10_S5_lS7_S5_lS6_T11_S5_li.has_recursion, 0
	.set _ZL29rocblas_internal_gemmt_kernelIlLi16ELi32ELi8ELc84ELc84ELc76ELb0ELb0E19rocblas_complex_numIfES1_PKS1_PS1_EviT_T9_T10_S5_lS7_S5_lS6_T11_S5_li.has_indirect_call, 0
	.section	.AMDGPU.csdata,"",@progbits
; Kernel info:
; codeLenInByte = 2540
; TotalNumSgprs: 50
; NumVgprs: 51
; NumAgprs: 0
; TotalNumVgprs: 51
; ScratchSize: 0
; MemoryBound: 0
; FloatMode: 240
; IeeeMode: 1
; LDSByteSize: 4096 bytes/workgroup (compile time only)
; SGPRBlocks: 6
; VGPRBlocks: 6
; NumSGPRsForWavesPerEU: 50
; NumVGPRsForWavesPerEU: 51
; AccumOffset: 52
; Occupancy: 8
; WaveLimiterHint : 0
; COMPUTE_PGM_RSRC2:SCRATCH_EN: 0
; COMPUTE_PGM_RSRC2:USER_SGPR: 2
; COMPUTE_PGM_RSRC2:TRAP_HANDLER: 0
; COMPUTE_PGM_RSRC2:TGID_X_EN: 1
; COMPUTE_PGM_RSRC2:TGID_Y_EN: 1
; COMPUTE_PGM_RSRC2:TGID_Z_EN: 1
; COMPUTE_PGM_RSRC2:TIDIG_COMP_CNT: 1
; COMPUTE_PGM_RSRC3_GFX90A:ACCUM_OFFSET: 12
; COMPUTE_PGM_RSRC3_GFX90A:TG_SPLIT: 0
	.section	.text._ZL29rocblas_internal_gemmt_kernelIlLi16ELi32ELi8ELc84ELc67ELc76ELb0ELb1E19rocblas_complex_numIfES1_PKS1_PS1_EviT_T9_T10_S5_lS7_S5_lS6_T11_S5_li,"axG",@progbits,_ZL29rocblas_internal_gemmt_kernelIlLi16ELi32ELi8ELc84ELc67ELc76ELb0ELb1E19rocblas_complex_numIfES1_PKS1_PS1_EviT_T9_T10_S5_lS7_S5_lS6_T11_S5_li,comdat
	.globl	_ZL29rocblas_internal_gemmt_kernelIlLi16ELi32ELi8ELc84ELc67ELc76ELb0ELb1E19rocblas_complex_numIfES1_PKS1_PS1_EviT_T9_T10_S5_lS7_S5_lS6_T11_S5_li ; -- Begin function _ZL29rocblas_internal_gemmt_kernelIlLi16ELi32ELi8ELc84ELc67ELc76ELb0ELb1E19rocblas_complex_numIfES1_PKS1_PS1_EviT_T9_T10_S5_lS7_S5_lS6_T11_S5_li
	.p2align	8
	.type	_ZL29rocblas_internal_gemmt_kernelIlLi16ELi32ELi8ELc84ELc67ELc76ELb0ELb1E19rocblas_complex_numIfES1_PKS1_PS1_EviT_T9_T10_S5_lS7_S5_lS6_T11_S5_li,@function
_ZL29rocblas_internal_gemmt_kernelIlLi16ELi32ELi8ELc84ELc67ELc76ELb0ELb1E19rocblas_complex_numIfES1_PKS1_PS1_EviT_T9_T10_S5_lS7_S5_lS6_T11_S5_li: ; @_ZL29rocblas_internal_gemmt_kernelIlLi16ELi32ELi8ELc84ELc67ELc76ELb0ELb1E19rocblas_complex_numIfES1_PKS1_PS1_EviT_T9_T10_S5_lS7_S5_lS6_T11_S5_li
; %bb.0:
	s_load_dwordx2 s[6:7], s[0:1], 0x48
	s_load_dwordx2 s[12:13], s[0:1], 0x10
	s_waitcnt lgkmcnt(0)
	s_and_b32 s5, s7, 0x7fffffff
	s_cmp_eq_u32 s5, 0
	v_cmp_eq_f32_e64 s[8:9], s6, 1.0
	s_cselect_b64 s[14:15], -1, 0
	s_and_b64 s[8:9], s[8:9], s[14:15]
	s_and_b64 vcc, exec, s[8:9]
	s_cbranch_vccnz .LBB248_2
; %bb.1:
	s_mov_b64 s[8:9], -1
	s_load_dwordx2 s[16:17], s[0:1], 0x8
	s_cbranch_execz .LBB248_3
	s_branch .LBB248_4
.LBB248_2:
	s_mov_b64 s[8:9], 0
	s_load_dwordx2 s[16:17], s[0:1], 0x8
.LBB248_3:
	s_waitcnt lgkmcnt(0)
	s_cmp_lg_u64 s[16:17], 0
	v_cmp_neq_f32_e64 s[10:11], s12, 0
	v_cmp_neq_f32_e64 s[18:19], s13, 0
	s_cselect_b64 s[8:9], -1, 0
	s_or_b64 s[10:11], s[10:11], s[18:19]
	s_and_b64 s[8:9], s[8:9], s[10:11]
.LBB248_4:
	s_andn2_b64 vcc, exec, s[8:9]
	s_cbranch_vccnz .LBB248_32
; %bb.5:
	s_load_dword s24, s[0:1], 0x0
	s_lshl_b32 s25, s2, 5
	s_lshl_b32 s5, s3, 5
	v_cmp_eq_f32_e64 s[2:3], s12, 0
	v_cmp_eq_f32_e64 s[8:9], s13, 0
	s_and_b64 s[2:3], s[2:3], s[8:9]
	s_waitcnt lgkmcnt(0)
	v_cmp_lt_i64_e64 s[8:9], s[16:17], 1
	s_or_b64 s[2:3], s[2:3], s[8:9]
	v_and_b32_e32 v11, 0x3ff, v0
	v_bfe_u32 v9, v0, 10, 10
	v_mov_b32_e32 v30, 0
	s_and_b64 vcc, exec, s[2:3]
	v_mov_b32_e32 v32, 0
	v_mov_b32_e32 v26, 0
	v_mov_b32_e32 v28, 0
	v_mov_b32_e32 v22, 0
	v_mov_b32_e32 v24, 0
	v_mov_b32_e32 v18, 0
	v_mov_b32_e32 v20, 0
	s_cbranch_vccnz .LBB248_16
; %bb.6:
	s_load_dwordx8 s[36:43], s[0:1], 0x18
	s_load_dwordx4 s[8:11], s[0:1], 0x38
	v_lshl_add_u32 v1, v9, 4, v11
	v_lshrrev_b32_e32 v10, 5, v1
	v_lshrrev_b32_e32 v4, 3, v1
	v_and_b32_e32 v1, 31, v1
	s_waitcnt lgkmcnt(0)
	s_mul_i32 s2, s11, s4
	s_mul_hi_u32 s3, s10, s4
	s_add_i32 s3, s3, s2
	s_mul_i32 s2, s10, s4
	s_lshl_b64 s[2:3], s[2:3], 3
	s_add_u32 s10, s42, s2
	s_addc_u32 s11, s43, s3
	s_mul_i32 s2, s41, s4
	s_mul_hi_u32 s3, s40, s4
	s_add_i32 s3, s3, s2
	s_mul_i32 s2, s40, s4
	s_lshl_b64 s[2:3], s[2:3], 3
	v_or_b32_e32 v2, s25, v1
	s_add_u32 s18, s36, s2
	v_lshlrev_b32_e32 v1, 3, v1
	s_addc_u32 s19, s37, s3
	v_cmp_gt_i32_e64 s[2:3], s24, v2
	v_lshl_or_b32 v19, v10, 8, v1
	s_ashr_i32 s22, s25, 31
	v_mul_lo_u32 v1, s39, v2
	v_mad_u64_u32 v[2:3], s[20:21], s38, v2, 0
	v_and_b32_e32 v8, 7, v11
	s_mul_i32 s20, s38, s22
	v_add3_u32 v3, v3, s20, v1
	v_lshlrev_b32_e32 v1, 3, v8
	v_add_u32_e32 v0, s5, v4
	v_lshl_or_b32 v1, v4, 6, v1
	v_add_u32_e32 v21, 0x800, v1
	v_ashrrev_i32_e32 v1, 31, v0
	v_cmp_gt_i32_e32 vcc, s24, v0
	v_lshl_add_u64 v[14:15], v[0:1], 3, s[10:11]
	v_mov_b32_e32 v0, 0x800
	v_lshl_add_u64 v[12:13], v[2:3], 3, s[18:19]
	v_lshlrev_b32_e32 v23, 3, v11
	v_lshl_add_u32 v25, v9, 6, v0
	v_mov_b32_e32 v17, 0
	s_mov_b64 s[10:11], 0
	s_xor_b64 s[18:19], vcc, -1
	v_mov_b32_e32 v20, 0
	v_mov_b32_e32 v18, 0
	;; [unrolled: 1-line block ×8, first 2 shown]
	s_branch .LBB248_8
.LBB248_7:                              ;   in Loop: Header=BB248_8 Depth=1
	s_or_b64 exec, exec, s[20:21]
	ds_write_b32 v21, v0 offset:4
	s_waitcnt lgkmcnt(0)
	s_barrier
	ds_read2_b64 v[34:37], v23 offset1:16
	ds_read_b128 v[38:41], v25
	ds_read_b128 v[42:45], v25 offset:16
	ds_read_b128 v[4:7], v25 offset:32
	;; [unrolled: 1-line block ×3, first 2 shown]
	s_add_u32 s10, s10, 8
	s_waitcnt lgkmcnt(3)
	v_mul_f32_e32 v16, v39, v35
	v_mul_f32_e32 v27, v38, v35
	v_fma_f32 v16, v38, v34, -v16
	v_fmac_f32_e32 v27, v39, v34
	v_add_f32_e32 v16, v30, v16
	v_add_f32_e32 v50, v32, v27
	ds_read_b128 v[30:33], v25 offset:1024
	v_mul_f32_e32 v27, v39, v37
	v_mul_f32_e32 v29, v38, v37
	v_fma_f32 v27, v38, v36, -v27
	v_fmac_f32_e32 v29, v39, v36
	v_add_f32_e32 v38, v26, v27
	v_add_f32_e32 v39, v28, v29
	ds_read_b128 v[26:29], v25 offset:1040
	s_waitcnt lgkmcnt(1)
	v_mul_f32_e32 v46, v31, v35
	v_fma_f32 v46, v30, v34, -v46
	v_add_f32_e32 v22, v22, v46
	ds_read2_b64 v[46:49], v23 offset0:32 offset1:48
	v_mul_f32_e32 v35, v30, v35
	v_fmac_f32_e32 v35, v31, v34
	v_mul_f32_e32 v34, v31, v37
	v_fma_f32 v34, v30, v36, -v34
	v_mul_f32_e32 v30, v30, v37
	v_fmac_f32_e32 v30, v31, v36
	v_add_f32_e32 v20, v20, v30
	s_waitcnt lgkmcnt(0)
	v_mul_f32_e32 v30, v41, v47
	v_mul_f32_e32 v31, v40, v47
	v_fma_f32 v30, v40, v46, -v30
	v_fmac_f32_e32 v31, v41, v46
	v_add_f32_e32 v18, v18, v34
	v_add_f32_e32 v16, v16, v30
	;; [unrolled: 1-line block ×3, first 2 shown]
	v_mul_f32_e32 v31, v41, v49
	v_mul_f32_e32 v34, v40, v49
	v_fma_f32 v31, v40, v48, -v31
	v_fmac_f32_e32 v34, v41, v48
	v_add_f32_e32 v31, v38, v31
	v_add_f32_e32 v38, v39, v34
	v_mul_f32_e32 v34, v33, v47
	v_add_f32_e32 v24, v24, v35
	v_fma_f32 v34, v32, v46, -v34
	v_mul_f32_e32 v35, v32, v47
	v_fmac_f32_e32 v35, v33, v46
	v_add_f32_e32 v22, v22, v34
	v_mul_f32_e32 v34, v33, v49
	v_add_f32_e32 v24, v24, v35
	v_fma_f32 v39, v32, v48, -v34
	ds_read2_b64 v[34:37], v23 offset0:64 offset1:80
	v_mul_f32_e32 v32, v32, v49
	v_fmac_f32_e32 v32, v33, v48
	v_add_f32_e32 v18, v18, v39
	v_add_f32_e32 v20, v20, v32
	s_waitcnt lgkmcnt(0)
	v_mul_f32_e32 v33, v42, v35
	v_fmac_f32_e32 v33, v43, v34
	v_add_f32_e32 v39, v30, v33
	v_mul_f32_e32 v30, v43, v37
	v_mul_f32_e32 v32, v43, v35
	v_fma_f32 v30, v42, v36, -v30
	v_fma_f32 v32, v42, v34, -v32
	v_add_f32_e32 v40, v31, v30
	v_mul_f32_e32 v30, v27, v35
	v_add_f32_e32 v16, v16, v32
	v_mul_f32_e32 v32, v42, v37
	v_fma_f32 v30, v26, v34, -v30
	v_mul_f32_e32 v31, v26, v35
	v_fmac_f32_e32 v32, v43, v36
	v_fmac_f32_e32 v31, v27, v34
	v_add_f32_e32 v22, v22, v30
	v_mul_f32_e32 v30, v27, v37
	v_add_f32_e32 v38, v38, v32
	v_add_f32_e32 v24, v24, v31
	v_fma_f32 v34, v26, v36, -v30
	ds_read2_b64 v[30:33], v23 offset0:96 offset1:112
	v_mul_f32_e32 v26, v26, v37
	v_fmac_f32_e32 v26, v27, v36
	v_add_f32_e32 v20, v20, v26
	v_add_f32_e32 v18, v18, v34
	s_waitcnt lgkmcnt(0)
	v_mul_f32_e32 v26, v45, v31
	v_mul_f32_e32 v27, v44, v31
	v_fma_f32 v26, v44, v30, -v26
	v_fmac_f32_e32 v27, v45, v30
	v_add_f32_e32 v16, v16, v26
	v_add_f32_e32 v26, v39, v27
	v_mul_f32_e32 v27, v45, v33
	v_mul_f32_e32 v34, v44, v33
	v_fma_f32 v27, v44, v32, -v27
	v_fmac_f32_e32 v34, v45, v32
	v_add_f32_e32 v39, v40, v27
	v_add_f32_e32 v38, v38, v34
	v_mul_f32_e32 v27, v29, v31
	ds_read2_b64 v[34:37], v23 offset0:128 offset1:144
	v_fma_f32 v27, v28, v30, -v27
	v_add_f32_e32 v22, v22, v27
	v_mul_f32_e32 v27, v29, v33
	v_mul_f32_e32 v31, v28, v31
	v_fma_f32 v27, v28, v32, -v27
	v_mul_f32_e32 v28, v28, v33
	v_fmac_f32_e32 v28, v29, v32
	v_add_f32_e32 v20, v20, v28
	s_waitcnt lgkmcnt(0)
	v_mul_f32_e32 v28, v4, v35
	v_add_f32_e32 v18, v18, v27
	v_mul_f32_e32 v27, v5, v35
	v_fmac_f32_e32 v28, v5, v34
	v_fma_f32 v27, v4, v34, -v27
	v_add_f32_e32 v42, v26, v28
	v_mul_f32_e32 v26, v5, v37
	v_fmac_f32_e32 v31, v29, v30
	v_add_f32_e32 v16, v16, v27
	v_fma_f32 v30, v4, v36, -v26
	ds_read_b128 v[26:29], v25 offset:1056
	v_mul_f32_e32 v4, v4, v37
	v_fmac_f32_e32 v4, v5, v36
	v_add_f32_e32 v5, v39, v30
	v_add_f32_e32 v4, v38, v4
	ds_read_b128 v[38:41], v25 offset:1072
	s_waitcnt lgkmcnt(1)
	v_mul_f32_e32 v30, v27, v35
	v_add_f32_e32 v24, v24, v31
	v_fma_f32 v30, v26, v34, -v30
	v_mul_f32_e32 v31, v26, v35
	v_fmac_f32_e32 v31, v27, v34
	v_add_f32_e32 v22, v22, v30
	v_mul_f32_e32 v30, v27, v37
	v_add_f32_e32 v24, v24, v31
	v_fma_f32 v34, v26, v36, -v30
	ds_read2_b64 v[30:33], v23 offset0:160 offset1:176
	v_mul_f32_e32 v26, v26, v37
	v_fmac_f32_e32 v26, v27, v36
	v_add_f32_e32 v20, v20, v26
	v_add_f32_e32 v18, v18, v34
	s_waitcnt lgkmcnt(0)
	v_mul_f32_e32 v26, v7, v31
	v_mul_f32_e32 v27, v6, v31
	v_fma_f32 v26, v6, v30, -v26
	v_fmac_f32_e32 v27, v7, v30
	v_add_f32_e32 v16, v16, v26
	v_add_f32_e32 v26, v42, v27
	v_mul_f32_e32 v27, v7, v33
	v_fma_f32 v27, v6, v32, -v27
	v_mul_f32_e32 v6, v6, v33
	v_fmac_f32_e32 v6, v7, v32
	v_add_f32_e32 v34, v4, v6
	v_mul_f32_e32 v4, v29, v31
	v_add_f32_e32 v27, v5, v27
	v_fma_f32 v4, v28, v30, -v4
	v_mul_f32_e32 v5, v28, v31
	v_fmac_f32_e32 v5, v29, v30
	v_add_f32_e32 v22, v22, v4
	v_mul_f32_e32 v4, v29, v33
	v_add_f32_e32 v24, v24, v5
	v_fma_f32 v30, v28, v32, -v4
	ds_read2_b64 v[4:7], v23 offset0:192 offset1:208
	v_mul_f32_e32 v28, v28, v33
	v_fmac_f32_e32 v28, v29, v32
	v_add_f32_e32 v20, v20, v28
	v_add_f32_e32 v18, v18, v30
	s_waitcnt lgkmcnt(0)
	v_mul_f32_e32 v28, v1, v5
	v_fma_f32 v28, v0, v4, -v28
	v_add_f32_e32 v16, v16, v28
	v_mul_f32_e32 v28, v1, v7
	v_mul_f32_e32 v29, v0, v5
	v_fma_f32 v28, v0, v6, -v28
	v_mul_f32_e32 v0, v0, v7
	v_fmac_f32_e32 v0, v1, v6
	v_add_f32_e32 v0, v34, v0
	ds_read2_b64 v[34:37], v23 offset0:224 offset1:240
	v_fmac_f32_e32 v29, v1, v4
	v_add_f32_e32 v1, v27, v28
	v_mul_f32_e32 v27, v39, v5
	v_fma_f32 v27, v38, v4, -v27
	v_mul_f32_e32 v5, v38, v5
	v_fmac_f32_e32 v5, v39, v4
	v_add_f32_e32 v4, v22, v27
	v_mul_f32_e32 v22, v39, v7
	v_fma_f32 v22, v38, v6, -v22
	v_mul_f32_e32 v7, v38, v7
	v_fmac_f32_e32 v7, v39, v6
	v_add_f32_e32 v6, v18, v22
	s_waitcnt lgkmcnt(0)
	v_mul_f32_e32 v18, v3, v35
	v_fma_f32 v18, v2, v34, -v18
	v_add_f32_e32 v30, v16, v18
	v_mul_f32_e32 v16, v3, v37
	v_add_f32_e32 v7, v20, v7
	v_mul_f32_e32 v20, v2, v35
	v_fma_f32 v16, v2, v36, -v16
	v_mul_f32_e32 v2, v2, v37
	v_add_f32_e32 v26, v26, v29
	v_fmac_f32_e32 v20, v3, v34
	v_fmac_f32_e32 v2, v3, v36
	v_add_f32_e32 v32, v26, v20
	v_add_f32_e32 v26, v1, v16
	;; [unrolled: 1-line block ×3, first 2 shown]
	v_mul_f32_e32 v0, v41, v35
	v_mul_f32_e32 v1, v40, v35
	v_add_f32_e32 v5, v24, v5
	v_fma_f32 v0, v40, v34, -v0
	v_fmac_f32_e32 v1, v41, v34
	v_add_f32_e32 v22, v4, v0
	v_add_f32_e32 v24, v5, v1
	v_mul_f32_e32 v0, v41, v37
	v_mul_f32_e32 v1, v40, v37
	v_fma_f32 v0, v40, v36, -v0
	v_fmac_f32_e32 v1, v41, v36
	s_addc_u32 s11, s11, 0
	v_add_f32_e32 v18, v6, v0
	v_add_f32_e32 v20, v7, v1
	v_mov_b64_e32 v[0:1], s[10:11]
	v_cmp_gt_i64_e32 vcc, s[16:17], v[0:1]
	s_barrier
	s_cbranch_vccz .LBB248_16
.LBB248_8:                              ; =>This Inner Loop Header: Depth=1
	v_mov_b32_e32 v0, 0
	v_mov_b32_e32 v1, 0
	s_and_saveexec_b64 s[20:21], s[2:3]
	s_cbranch_execz .LBB248_12
; %bb.9:                                ;   in Loop: Header=BB248_8 Depth=1
	v_add_u32_e32 v16, s10, v10
	v_cmp_gt_u64_e32 vcc, s[16:17], v[16:17]
	v_mov_b32_e32 v1, 0
	v_mov_b32_e32 v0, 0
	s_and_saveexec_b64 s[22:23], vcc
	s_cbranch_execz .LBB248_11
; %bb.10:                               ;   in Loop: Header=BB248_8 Depth=1
	v_lshl_add_u64 v[0:1], v[16:17], 3, v[12:13]
	global_load_dwordx2 v[0:1], v[0:1], off
.LBB248_11:                             ;   in Loop: Header=BB248_8 Depth=1
	s_or_b64 exec, exec, s[22:23]
.LBB248_12:                             ;   in Loop: Header=BB248_8 Depth=1
	s_or_b64 exec, exec, s[20:21]
	v_add_u32_e32 v16, s10, v8
	v_cmp_le_u64_e32 vcc, s[16:17], v[16:17]
	s_or_b64 s[20:21], vcc, s[18:19]
	s_waitcnt vmcnt(0)
	ds_write_b64 v19, v[0:1]
	s_and_saveexec_b64 s[22:23], s[20:21]
	s_xor_b64 s[20:21], exec, s[22:23]
; %bb.13:                               ;   in Loop: Header=BB248_8 Depth=1
	ds_write_b32 v21, v17
; %bb.14:                               ;   in Loop: Header=BB248_8 Depth=1
	s_or_saveexec_b64 s[20:21], s[20:21]
	v_mov_b32_e32 v0, 0
	s_xor_b64 exec, exec, s[20:21]
	s_cbranch_execz .LBB248_7
; %bb.15:                               ;   in Loop: Header=BB248_8 Depth=1
	v_mad_u64_u32 v[0:1], s[22:23], s8, v16, 0
	v_mov_b32_e32 v2, v1
	v_mad_u64_u32 v[2:3], s[22:23], s9, v16, v[2:3]
	v_mov_b32_e32 v1, v2
	v_lshl_add_u64 v[0:1], v[0:1], 3, v[14:15]
	global_load_dwordx2 v[2:3], v[0:1], off
	s_waitcnt vmcnt(0)
	v_xor_b32_e32 v0, 0x80000000, v3
	ds_write_b32 v21, v2
	s_branch .LBB248_7
.LBB248_16:
	s_load_dwordx2 s[2:3], s[0:1], 0x60
	s_load_dwordx4 s[8:11], s[0:1], 0x50
	v_add_u32_e32 v10, s5, v9
	v_ashrrev_i32_e32 v1, 31, v10
	v_add_u32_e32 v0, s25, v11
	s_waitcnt lgkmcnt(0)
	s_mul_i32 s1, s3, s4
	s_mul_hi_u32 s3, s2, s4
	s_mul_i32 s0, s2, s4
	s_add_i32 s1, s3, s1
	s_lshl_b64 s[0:1], s[0:1], 3
	s_add_u32 s8, s8, s0
	s_addc_u32 s9, s9, s1
	v_cmp_neq_f32_e64 s[0:1], s6, 0
	s_xor_b64 s[4:5], s[14:15], -1
	v_mul_lo_u32 v1, s10, v1
	v_mul_lo_u32 v4, s11, v10
	v_mad_u64_u32 v[2:3], s[2:3], s10, v10, 0
	v_add3_u32 v3, v3, v1, v4
	s_or_b64 s[0:1], s[0:1], s[4:5]
	v_lshl_add_u64 v[4:5], v[2:3], 3, s[8:9]
	v_cmp_le_i32_e32 vcc, v10, v0
	v_cmp_gt_i32_e64 s[2:3], s24, v0
	v_cndmask_b32_e64 v2, 0, 1, s[0:1]
	s_and_b64 s[14:15], vcc, s[2:3]
	v_ashrrev_i32_e32 v1, 31, v0
	v_cmp_ne_u32_e64 s[0:1], 1, v2
	s_and_saveexec_b64 s[4:5], s[14:15]
	s_cbranch_execz .LBB248_20
; %bb.17:
	v_pk_mul_f32 v[6:7], v[32:33], s[12:13] op_sel:[0,1] op_sel_hi:[0,0]
	v_pk_fma_f32 v[2:3], v[30:31], s[12:13], v[6:7] op_sel_hi:[0,1,1] neg_lo:[0,0,1] neg_hi:[0,0,1]
	v_pk_fma_f32 v[8:9], v[30:31], s[12:13], v[6:7] op_sel_hi:[0,1,1]
	s_and_b64 vcc, exec, s[0:1]
	v_lshl_add_u64 v[6:7], v[0:1], 3, v[4:5]
	s_cbranch_vccnz .LBB248_19
; %bb.18:
	global_load_dwordx2 v[12:13], v[6:7], off
	s_mov_b32 s14, s7
	v_mov_b32_e32 v3, v9
	s_waitcnt vmcnt(0)
	v_pk_mul_f32 v[8:9], v[12:13], s[14:15] op_sel:[1,0] op_sel_hi:[0,0]
	v_pk_fma_f32 v[14:15], v[12:13], s[6:7], v[8:9] neg_lo:[0,0,1] neg_hi:[0,0,1]
	v_pk_fma_f32 v[8:9], v[12:13], s[6:7], v[8:9] op_sel_hi:[1,0,1]
	s_nop 0
	v_mov_b32_e32 v15, v9
	v_pk_add_f32 v[2:3], v[2:3], v[14:15]
	s_nop 0
	v_mov_b32_e32 v9, v3
.LBB248_19:
	v_mov_b32_e32 v3, v9
	global_store_dwordx2 v[6:7], v[2:3], off
.LBB248_20:
	s_or_b64 exec, exec, s[4:5]
	v_add_u32_e32 v2, 16, v0
	v_cmp_le_i32_e32 vcc, v10, v2
	v_cmp_gt_i32_e64 s[4:5], s24, v2
	s_and_b64 s[16:17], vcc, s[4:5]
	v_ashrrev_i32_e32 v3, 31, v2
	s_and_saveexec_b64 s[14:15], s[16:17]
	s_cbranch_execz .LBB248_24
; %bb.21:
	v_pk_mul_f32 v[8:9], v[28:29], s[12:13] op_sel:[0,1] op_sel_hi:[0,0]
	v_pk_fma_f32 v[6:7], v[26:27], s[12:13], v[8:9] op_sel_hi:[0,1,1] neg_lo:[0,0,1] neg_hi:[0,0,1]
	v_pk_fma_f32 v[8:9], v[26:27], s[12:13], v[8:9] op_sel_hi:[0,1,1]
	s_and_b64 vcc, exec, s[0:1]
	v_lshl_add_u64 v[4:5], v[2:3], 3, v[4:5]
	s_cbranch_vccnz .LBB248_23
; %bb.22:
	global_load_dwordx2 v[12:13], v[4:5], off
	s_mov_b32 s16, s7
	v_mov_b32_e32 v7, v9
	s_waitcnt vmcnt(0)
	v_pk_mul_f32 v[8:9], v[12:13], s[16:17] op_sel:[1,0] op_sel_hi:[0,0]
	v_pk_fma_f32 v[14:15], v[12:13], s[6:7], v[8:9] neg_lo:[0,0,1] neg_hi:[0,0,1]
	v_pk_fma_f32 v[8:9], v[12:13], s[6:7], v[8:9] op_sel_hi:[1,0,1]
	s_nop 0
	v_mov_b32_e32 v15, v9
	v_pk_add_f32 v[6:7], v[6:7], v[14:15]
	s_nop 0
	v_mov_b32_e32 v9, v7
.LBB248_23:
	v_mov_b32_e32 v7, v9
	global_store_dwordx2 v[4:5], v[6:7], off
.LBB248_24:
	s_or_b64 exec, exec, s[14:15]
	v_add_u32_e32 v10, 16, v10
	v_ashrrev_i32_e32 v4, 31, v10
	v_mul_lo_u32 v6, s10, v4
	v_mul_lo_u32 v7, s11, v10
	v_mad_u64_u32 v[4:5], s[10:11], s10, v10, 0
	v_add3_u32 v5, v5, v6, v7
	v_cmp_le_i32_e32 vcc, v10, v0
	v_lshl_add_u64 v[4:5], v[4:5], 3, s[8:9]
	s_and_b64 s[8:9], vcc, s[2:3]
	s_and_saveexec_b64 s[2:3], s[8:9]
	s_cbranch_execz .LBB248_28
; %bb.25:
	v_pk_mul_f32 v[8:9], v[24:25], s[12:13] op_sel:[0,1] op_sel_hi:[0,0]
	v_pk_fma_f32 v[6:7], v[22:23], s[12:13], v[8:9] op_sel_hi:[0,1,1] neg_lo:[0,0,1] neg_hi:[0,0,1]
	v_pk_fma_f32 v[8:9], v[22:23], s[12:13], v[8:9] op_sel_hi:[0,1,1]
	s_and_b64 vcc, exec, s[0:1]
	v_lshl_add_u64 v[0:1], v[0:1], 3, v[4:5]
	s_cbranch_vccnz .LBB248_27
; %bb.26:
	global_load_dwordx2 v[12:13], v[0:1], off
	s_mov_b32 s8, s7
	v_mov_b32_e32 v7, v9
	s_waitcnt vmcnt(0)
	v_pk_mul_f32 v[8:9], v[12:13], s[8:9] op_sel:[1,0] op_sel_hi:[0,0]
	v_pk_fma_f32 v[14:15], v[12:13], s[6:7], v[8:9] neg_lo:[0,0,1] neg_hi:[0,0,1]
	v_pk_fma_f32 v[8:9], v[12:13], s[6:7], v[8:9] op_sel_hi:[1,0,1]
	s_nop 0
	v_mov_b32_e32 v15, v9
	v_pk_add_f32 v[6:7], v[6:7], v[14:15]
	s_nop 0
	v_mov_b32_e32 v9, v7
.LBB248_27:
	v_mov_b32_e32 v7, v9
	global_store_dwordx2 v[0:1], v[6:7], off
.LBB248_28:
	s_or_b64 exec, exec, s[2:3]
	v_cmp_le_i32_e32 vcc, v10, v2
	s_and_b64 s[2:3], vcc, s[4:5]
	s_and_saveexec_b64 s[4:5], s[2:3]
	s_cbranch_execz .LBB248_32
; %bb.29:
	v_pk_mul_f32 v[6:7], v[20:21], s[12:13] op_sel:[0,1] op_sel_hi:[0,0]
	v_pk_fma_f32 v[0:1], v[18:19], s[12:13], v[6:7] op_sel_hi:[0,1,1] neg_lo:[0,0,1] neg_hi:[0,0,1]
	v_pk_fma_f32 v[6:7], v[18:19], s[12:13], v[6:7] op_sel_hi:[0,1,1]
	s_and_b64 vcc, exec, s[0:1]
	v_lshl_add_u64 v[2:3], v[2:3], 3, v[4:5]
	s_cbranch_vccnz .LBB248_31
; %bb.30:
	global_load_dwordx2 v[4:5], v[2:3], off
	s_mov_b32 s0, s7
	v_mov_b32_e32 v1, v7
	s_waitcnt vmcnt(0)
	v_pk_mul_f32 v[6:7], v[4:5], s[0:1] op_sel:[1,0] op_sel_hi:[0,0]
	v_pk_fma_f32 v[8:9], v[4:5], s[6:7], v[6:7] neg_lo:[0,0,1] neg_hi:[0,0,1]
	v_pk_fma_f32 v[4:5], v[4:5], s[6:7], v[6:7] op_sel_hi:[1,0,1]
	s_nop 0
	v_mov_b32_e32 v9, v5
	v_pk_add_f32 v[0:1], v[0:1], v[8:9]
	s_nop 0
	v_mov_b32_e32 v7, v1
.LBB248_31:
	v_mov_b32_e32 v1, v7
	global_store_dwordx2 v[2:3], v[0:1], off
.LBB248_32:
	s_endpgm
	.section	.rodata,"a",@progbits
	.p2align	6, 0x0
	.amdhsa_kernel _ZL29rocblas_internal_gemmt_kernelIlLi16ELi32ELi8ELc84ELc67ELc76ELb0ELb1E19rocblas_complex_numIfES1_PKS1_PS1_EviT_T9_T10_S5_lS7_S5_lS6_T11_S5_li
		.amdhsa_group_segment_fixed_size 4096
		.amdhsa_private_segment_fixed_size 0
		.amdhsa_kernarg_size 108
		.amdhsa_user_sgpr_count 2
		.amdhsa_user_sgpr_dispatch_ptr 0
		.amdhsa_user_sgpr_queue_ptr 0
		.amdhsa_user_sgpr_kernarg_segment_ptr 1
		.amdhsa_user_sgpr_dispatch_id 0
		.amdhsa_user_sgpr_kernarg_preload_length 0
		.amdhsa_user_sgpr_kernarg_preload_offset 0
		.amdhsa_user_sgpr_private_segment_size 0
		.amdhsa_uses_dynamic_stack 0
		.amdhsa_enable_private_segment 0
		.amdhsa_system_sgpr_workgroup_id_x 1
		.amdhsa_system_sgpr_workgroup_id_y 1
		.amdhsa_system_sgpr_workgroup_id_z 1
		.amdhsa_system_sgpr_workgroup_info 0
		.amdhsa_system_vgpr_workitem_id 1
		.amdhsa_next_free_vgpr 51
		.amdhsa_next_free_sgpr 44
		.amdhsa_accum_offset 52
		.amdhsa_reserve_vcc 1
		.amdhsa_float_round_mode_32 0
		.amdhsa_float_round_mode_16_64 0
		.amdhsa_float_denorm_mode_32 3
		.amdhsa_float_denorm_mode_16_64 3
		.amdhsa_dx10_clamp 1
		.amdhsa_ieee_mode 1
		.amdhsa_fp16_overflow 0
		.amdhsa_tg_split 0
		.amdhsa_exception_fp_ieee_invalid_op 0
		.amdhsa_exception_fp_denorm_src 0
		.amdhsa_exception_fp_ieee_div_zero 0
		.amdhsa_exception_fp_ieee_overflow 0
		.amdhsa_exception_fp_ieee_underflow 0
		.amdhsa_exception_fp_ieee_inexact 0
		.amdhsa_exception_int_div_zero 0
	.end_amdhsa_kernel
	.section	.text._ZL29rocblas_internal_gemmt_kernelIlLi16ELi32ELi8ELc84ELc67ELc76ELb0ELb1E19rocblas_complex_numIfES1_PKS1_PS1_EviT_T9_T10_S5_lS7_S5_lS6_T11_S5_li,"axG",@progbits,_ZL29rocblas_internal_gemmt_kernelIlLi16ELi32ELi8ELc84ELc67ELc76ELb0ELb1E19rocblas_complex_numIfES1_PKS1_PS1_EviT_T9_T10_S5_lS7_S5_lS6_T11_S5_li,comdat
.Lfunc_end248:
	.size	_ZL29rocblas_internal_gemmt_kernelIlLi16ELi32ELi8ELc84ELc67ELc76ELb0ELb1E19rocblas_complex_numIfES1_PKS1_PS1_EviT_T9_T10_S5_lS7_S5_lS6_T11_S5_li, .Lfunc_end248-_ZL29rocblas_internal_gemmt_kernelIlLi16ELi32ELi8ELc84ELc67ELc76ELb0ELb1E19rocblas_complex_numIfES1_PKS1_PS1_EviT_T9_T10_S5_lS7_S5_lS6_T11_S5_li
                                        ; -- End function
	.set _ZL29rocblas_internal_gemmt_kernelIlLi16ELi32ELi8ELc84ELc67ELc76ELb0ELb1E19rocblas_complex_numIfES1_PKS1_PS1_EviT_T9_T10_S5_lS7_S5_lS6_T11_S5_li.num_vgpr, 51
	.set _ZL29rocblas_internal_gemmt_kernelIlLi16ELi32ELi8ELc84ELc67ELc76ELb0ELb1E19rocblas_complex_numIfES1_PKS1_PS1_EviT_T9_T10_S5_lS7_S5_lS6_T11_S5_li.num_agpr, 0
	.set _ZL29rocblas_internal_gemmt_kernelIlLi16ELi32ELi8ELc84ELc67ELc76ELb0ELb1E19rocblas_complex_numIfES1_PKS1_PS1_EviT_T9_T10_S5_lS7_S5_lS6_T11_S5_li.numbered_sgpr, 44
	.set _ZL29rocblas_internal_gemmt_kernelIlLi16ELi32ELi8ELc84ELc67ELc76ELb0ELb1E19rocblas_complex_numIfES1_PKS1_PS1_EviT_T9_T10_S5_lS7_S5_lS6_T11_S5_li.num_named_barrier, 0
	.set _ZL29rocblas_internal_gemmt_kernelIlLi16ELi32ELi8ELc84ELc67ELc76ELb0ELb1E19rocblas_complex_numIfES1_PKS1_PS1_EviT_T9_T10_S5_lS7_S5_lS6_T11_S5_li.private_seg_size, 0
	.set _ZL29rocblas_internal_gemmt_kernelIlLi16ELi32ELi8ELc84ELc67ELc76ELb0ELb1E19rocblas_complex_numIfES1_PKS1_PS1_EviT_T9_T10_S5_lS7_S5_lS6_T11_S5_li.uses_vcc, 1
	.set _ZL29rocblas_internal_gemmt_kernelIlLi16ELi32ELi8ELc84ELc67ELc76ELb0ELb1E19rocblas_complex_numIfES1_PKS1_PS1_EviT_T9_T10_S5_lS7_S5_lS6_T11_S5_li.uses_flat_scratch, 0
	.set _ZL29rocblas_internal_gemmt_kernelIlLi16ELi32ELi8ELc84ELc67ELc76ELb0ELb1E19rocblas_complex_numIfES1_PKS1_PS1_EviT_T9_T10_S5_lS7_S5_lS6_T11_S5_li.has_dyn_sized_stack, 0
	.set _ZL29rocblas_internal_gemmt_kernelIlLi16ELi32ELi8ELc84ELc67ELc76ELb0ELb1E19rocblas_complex_numIfES1_PKS1_PS1_EviT_T9_T10_S5_lS7_S5_lS6_T11_S5_li.has_recursion, 0
	.set _ZL29rocblas_internal_gemmt_kernelIlLi16ELi32ELi8ELc84ELc67ELc76ELb0ELb1E19rocblas_complex_numIfES1_PKS1_PS1_EviT_T9_T10_S5_lS7_S5_lS6_T11_S5_li.has_indirect_call, 0
	.section	.AMDGPU.csdata,"",@progbits
; Kernel info:
; codeLenInByte = 2572
; TotalNumSgprs: 50
; NumVgprs: 51
; NumAgprs: 0
; TotalNumVgprs: 51
; ScratchSize: 0
; MemoryBound: 0
; FloatMode: 240
; IeeeMode: 1
; LDSByteSize: 4096 bytes/workgroup (compile time only)
; SGPRBlocks: 6
; VGPRBlocks: 6
; NumSGPRsForWavesPerEU: 50
; NumVGPRsForWavesPerEU: 51
; AccumOffset: 52
; Occupancy: 8
; WaveLimiterHint : 0
; COMPUTE_PGM_RSRC2:SCRATCH_EN: 0
; COMPUTE_PGM_RSRC2:USER_SGPR: 2
; COMPUTE_PGM_RSRC2:TRAP_HANDLER: 0
; COMPUTE_PGM_RSRC2:TGID_X_EN: 1
; COMPUTE_PGM_RSRC2:TGID_Y_EN: 1
; COMPUTE_PGM_RSRC2:TGID_Z_EN: 1
; COMPUTE_PGM_RSRC2:TIDIG_COMP_CNT: 1
; COMPUTE_PGM_RSRC3_GFX90A:ACCUM_OFFSET: 12
; COMPUTE_PGM_RSRC3_GFX90A:TG_SPLIT: 0
	.section	.text._ZL29rocblas_internal_gemmt_kernelIlLi16ELi32ELi8ELc67ELc78ELc76ELb1ELb0E19rocblas_complex_numIfES1_PKS1_PS1_EviT_T9_T10_S5_lS7_S5_lS6_T11_S5_li,"axG",@progbits,_ZL29rocblas_internal_gemmt_kernelIlLi16ELi32ELi8ELc67ELc78ELc76ELb1ELb0E19rocblas_complex_numIfES1_PKS1_PS1_EviT_T9_T10_S5_lS7_S5_lS6_T11_S5_li,comdat
	.globl	_ZL29rocblas_internal_gemmt_kernelIlLi16ELi32ELi8ELc67ELc78ELc76ELb1ELb0E19rocblas_complex_numIfES1_PKS1_PS1_EviT_T9_T10_S5_lS7_S5_lS6_T11_S5_li ; -- Begin function _ZL29rocblas_internal_gemmt_kernelIlLi16ELi32ELi8ELc67ELc78ELc76ELb1ELb0E19rocblas_complex_numIfES1_PKS1_PS1_EviT_T9_T10_S5_lS7_S5_lS6_T11_S5_li
	.p2align	8
	.type	_ZL29rocblas_internal_gemmt_kernelIlLi16ELi32ELi8ELc67ELc78ELc76ELb1ELb0E19rocblas_complex_numIfES1_PKS1_PS1_EviT_T9_T10_S5_lS7_S5_lS6_T11_S5_li,@function
_ZL29rocblas_internal_gemmt_kernelIlLi16ELi32ELi8ELc67ELc78ELc76ELb1ELb0E19rocblas_complex_numIfES1_PKS1_PS1_EviT_T9_T10_S5_lS7_S5_lS6_T11_S5_li: ; @_ZL29rocblas_internal_gemmt_kernelIlLi16ELi32ELi8ELc67ELc78ELc76ELb1ELb0E19rocblas_complex_numIfES1_PKS1_PS1_EviT_T9_T10_S5_lS7_S5_lS6_T11_S5_li
; %bb.0:
	s_load_dwordx2 s[12:13], s[0:1], 0x48
	s_load_dwordx2 s[14:15], s[0:1], 0x10
	s_waitcnt lgkmcnt(0)
	s_and_b32 s5, s13, 0x7fffffff
	s_cmp_eq_u32 s5, 0
	v_cmp_eq_f32_e64 s[6:7], s12, 1.0
	s_cselect_b64 s[16:17], -1, 0
	s_and_b64 s[6:7], s[6:7], s[16:17]
	s_and_b64 vcc, exec, s[6:7]
	s_cbranch_vccnz .LBB249_2
; %bb.1:
	s_mov_b64 s[6:7], -1
	s_load_dwordx2 s[8:9], s[0:1], 0x8
	s_cbranch_execz .LBB249_3
	s_branch .LBB249_4
.LBB249_2:
	s_mov_b64 s[6:7], 0
	s_load_dwordx2 s[8:9], s[0:1], 0x8
.LBB249_3:
	s_waitcnt lgkmcnt(0)
	s_cmp_lg_u64 s[8:9], 0
	v_cmp_neq_f32_e64 s[10:11], s14, 0
	v_cmp_neq_f32_e64 s[18:19], s15, 0
	s_cselect_b64 s[6:7], -1, 0
	s_or_b64 s[10:11], s[10:11], s[18:19]
	s_and_b64 s[6:7], s[6:7], s[10:11]
.LBB249_4:
	s_andn2_b64 vcc, exec, s[6:7]
	s_cbranch_vccnz .LBB249_32
; %bb.5:
	s_load_dword s26, s[0:1], 0x0
	s_lshl_b32 s27, s2, 5
	s_lshl_b32 s5, s3, 5
	v_cmp_eq_f32_e64 s[2:3], s14, 0
	v_cmp_eq_f32_e64 s[6:7], s15, 0
	s_and_b64 s[2:3], s[2:3], s[6:7]
	s_waitcnt lgkmcnt(0)
	v_cmp_lt_i64_e64 s[6:7], s[8:9], 1
	s_or_b64 s[2:3], s[2:3], s[6:7]
	v_and_b32_e32 v11, 0x3ff, v0
	v_bfe_u32 v9, v0, 10, 10
	v_mov_b32_e32 v32, 0
	s_and_b64 vcc, exec, s[2:3]
	v_mov_b32_e32 v34, 0
	v_mov_b32_e32 v28, 0
	v_mov_b32_e32 v30, 0
	v_mov_b32_e32 v24, 0
	v_mov_b32_e32 v26, 0
	v_mov_b32_e32 v20, 0
	v_mov_b32_e32 v22, 0
	s_cbranch_vccnz .LBB249_16
; %bb.6:
	s_load_dwordx8 s[36:43], s[0:1], 0x18
	s_load_dwordx4 s[20:23], s[0:1], 0x38
	v_lshl_add_u32 v0, v9, 4, v11
	v_lshrrev_b32_e32 v10, 5, v0
	v_lshrrev_b32_e32 v2, 3, v0
	v_and_b32_e32 v0, 31, v0
	s_waitcnt lgkmcnt(0)
	s_mul_i32 s2, s23, s4
	s_mul_hi_u32 s3, s22, s4
	s_add_i32 s3, s3, s2
	s_mul_i32 s2, s22, s4
	s_lshl_b64 s[2:3], s[2:3], 3
	s_add_u32 s18, s42, s2
	s_addc_u32 s19, s43, s3
	s_mul_i32 s2, s41, s4
	s_mul_hi_u32 s3, s40, s4
	s_add_i32 s3, s3, s2
	s_mul_i32 s2, s40, s4
	s_lshl_b64 s[2:3], s[2:3], 3
	v_or_b32_e32 v1, s27, v0
	s_add_u32 s6, s36, s2
	v_lshlrev_b32_e32 v0, 3, v0
	s_addc_u32 s7, s37, s3
	v_cmp_gt_i32_e64 s[2:3], s26, v1
	v_cmp_le_i32_e64 s[10:11], s26, v1
	v_lshl_or_b32 v21, v10, 8, v0
	s_ashr_i32 s24, s27, 31
	v_mul_lo_u32 v4, s39, v1
	v_mad_u64_u32 v[0:1], s[22:23], s38, v1, 0
	s_mul_i32 s22, s38, s24
	v_and_b32_e32 v8, 7, v11
	v_add3_u32 v1, v1, s22, v4
	v_lshl_add_u64 v[12:13], v[0:1], 3, s[6:7]
	v_lshlrev_b32_e32 v0, 3, v8
	v_add_u32_e32 v3, s5, v2
	v_lshl_or_b32 v0, v2, 6, v0
	v_add_u32_e32 v23, 0x800, v0
	v_ashrrev_i32_e32 v0, 31, v3
	v_mul_lo_u32 v2, s20, v0
	v_mul_lo_u32 v4, s21, v3
	v_mad_u64_u32 v[0:1], s[20:21], s20, v3, 0
	v_add3_u32 v1, v1, v2, v4
	v_lshl_add_u64 v[14:15], v[0:1], 3, s[18:19]
	v_mov_b32_e32 v0, 0x800
	v_cmp_gt_i32_e64 s[6:7], s26, v3
	v_lshlrev_b32_e32 v25, 3, v11
	v_lshl_add_u32 v27, v9, 6, v0
	v_mov_b32_e32 v17, 0
	s_mov_b64 s[18:19], 0
	v_mov_b32_e32 v22, 0
	v_mov_b32_e32 v20, 0
	;; [unrolled: 1-line block ×8, first 2 shown]
                                        ; implicit-def: $vgpr18_vgpr19
	s_branch .LBB249_8
.LBB249_7:                              ;   in Loop: Header=BB249_8 Depth=1
	s_or_b64 exec, exec, s[20:21]
	s_waitcnt vmcnt(0)
	ds_write_b64 v23, v[2:3]
	s_waitcnt lgkmcnt(0)
	s_barrier
	ds_read2_b64 v[36:39], v25 offset1:16
	ds_read_b128 v[40:43], v27
	ds_read_b128 v[44:47], v27 offset:16
	ds_read_b128 v[4:7], v27 offset:32
	;; [unrolled: 1-line block ×3, first 2 shown]
	s_add_u32 s18, s18, 8
	s_waitcnt lgkmcnt(3)
	v_mul_f32_e32 v16, v41, v37
	v_mul_f32_e32 v29, v40, v37
	v_fma_f32 v16, v40, v36, -v16
	v_fmac_f32_e32 v29, v41, v36
	v_add_f32_e32 v16, v32, v16
	v_add_f32_e32 v52, v34, v29
	ds_read_b128 v[32:35], v27 offset:1024
	v_mul_f32_e32 v29, v41, v39
	v_mul_f32_e32 v31, v40, v39
	v_fma_f32 v29, v40, v38, -v29
	v_fmac_f32_e32 v31, v41, v38
	v_add_f32_e32 v40, v28, v29
	v_add_f32_e32 v41, v30, v31
	ds_read_b128 v[28:31], v27 offset:1040
	s_waitcnt lgkmcnt(1)
	v_mul_f32_e32 v48, v33, v37
	v_fma_f32 v48, v32, v36, -v48
	v_add_f32_e32 v24, v24, v48
	ds_read2_b64 v[48:51], v25 offset0:32 offset1:48
	v_mul_f32_e32 v37, v32, v37
	v_fmac_f32_e32 v37, v33, v36
	v_mul_f32_e32 v36, v33, v39
	v_fma_f32 v36, v32, v38, -v36
	v_mul_f32_e32 v32, v32, v39
	v_fmac_f32_e32 v32, v33, v38
	v_add_f32_e32 v22, v22, v32
	s_waitcnt lgkmcnt(0)
	v_mul_f32_e32 v32, v43, v49
	v_mul_f32_e32 v33, v42, v49
	v_fma_f32 v32, v42, v48, -v32
	v_fmac_f32_e32 v33, v43, v48
	v_add_f32_e32 v20, v20, v36
	v_add_f32_e32 v16, v16, v32
	;; [unrolled: 1-line block ×3, first 2 shown]
	v_mul_f32_e32 v33, v43, v51
	v_mul_f32_e32 v36, v42, v51
	v_fma_f32 v33, v42, v50, -v33
	v_fmac_f32_e32 v36, v43, v50
	v_add_f32_e32 v33, v40, v33
	v_add_f32_e32 v40, v41, v36
	v_mul_f32_e32 v36, v35, v49
	v_add_f32_e32 v26, v26, v37
	v_fma_f32 v36, v34, v48, -v36
	v_mul_f32_e32 v37, v34, v49
	v_fmac_f32_e32 v37, v35, v48
	v_add_f32_e32 v24, v24, v36
	v_mul_f32_e32 v36, v35, v51
	v_add_f32_e32 v26, v26, v37
	v_fma_f32 v41, v34, v50, -v36
	ds_read2_b64 v[36:39], v25 offset0:64 offset1:80
	v_mul_f32_e32 v34, v34, v51
	v_fmac_f32_e32 v34, v35, v50
	v_add_f32_e32 v20, v20, v41
	v_add_f32_e32 v22, v22, v34
	s_waitcnt lgkmcnt(0)
	v_mul_f32_e32 v35, v44, v37
	v_fmac_f32_e32 v35, v45, v36
	v_add_f32_e32 v41, v32, v35
	v_mul_f32_e32 v32, v45, v39
	v_mul_f32_e32 v34, v45, v37
	v_fma_f32 v32, v44, v38, -v32
	v_fma_f32 v34, v44, v36, -v34
	v_add_f32_e32 v42, v33, v32
	v_mul_f32_e32 v32, v29, v37
	v_add_f32_e32 v16, v16, v34
	v_mul_f32_e32 v34, v44, v39
	v_fma_f32 v32, v28, v36, -v32
	v_mul_f32_e32 v33, v28, v37
	v_fmac_f32_e32 v34, v45, v38
	v_fmac_f32_e32 v33, v29, v36
	v_add_f32_e32 v24, v24, v32
	v_mul_f32_e32 v32, v29, v39
	v_add_f32_e32 v40, v40, v34
	v_add_f32_e32 v26, v26, v33
	v_fma_f32 v36, v28, v38, -v32
	ds_read2_b64 v[32:35], v25 offset0:96 offset1:112
	v_mul_f32_e32 v28, v28, v39
	v_fmac_f32_e32 v28, v29, v38
	v_add_f32_e32 v22, v22, v28
	v_add_f32_e32 v20, v20, v36
	s_waitcnt lgkmcnt(0)
	v_mul_f32_e32 v28, v47, v33
	v_mul_f32_e32 v29, v46, v33
	v_fma_f32 v28, v46, v32, -v28
	v_fmac_f32_e32 v29, v47, v32
	v_add_f32_e32 v16, v16, v28
	v_add_f32_e32 v28, v41, v29
	v_mul_f32_e32 v29, v47, v35
	v_mul_f32_e32 v36, v46, v35
	v_fma_f32 v29, v46, v34, -v29
	v_fmac_f32_e32 v36, v47, v34
	v_add_f32_e32 v41, v42, v29
	v_add_f32_e32 v40, v40, v36
	v_mul_f32_e32 v29, v31, v33
	ds_read2_b64 v[36:39], v25 offset0:128 offset1:144
	v_fma_f32 v29, v30, v32, -v29
	v_add_f32_e32 v24, v24, v29
	v_mul_f32_e32 v29, v31, v35
	v_mul_f32_e32 v33, v30, v33
	v_fma_f32 v29, v30, v34, -v29
	v_mul_f32_e32 v30, v30, v35
	v_fmac_f32_e32 v30, v31, v34
	v_add_f32_e32 v22, v22, v30
	s_waitcnt lgkmcnt(0)
	v_mul_f32_e32 v30, v4, v37
	v_add_f32_e32 v20, v20, v29
	v_mul_f32_e32 v29, v5, v37
	v_fmac_f32_e32 v30, v5, v36
	v_fma_f32 v29, v4, v36, -v29
	v_add_f32_e32 v44, v28, v30
	v_mul_f32_e32 v28, v5, v39
	v_fmac_f32_e32 v33, v31, v32
	v_add_f32_e32 v16, v16, v29
	v_fma_f32 v32, v4, v38, -v28
	ds_read_b128 v[28:31], v27 offset:1056
	v_mul_f32_e32 v4, v4, v39
	v_fmac_f32_e32 v4, v5, v38
	v_add_f32_e32 v5, v41, v32
	v_add_f32_e32 v4, v40, v4
	ds_read_b128 v[40:43], v27 offset:1072
	s_waitcnt lgkmcnt(1)
	v_mul_f32_e32 v32, v29, v37
	v_add_f32_e32 v26, v26, v33
	v_fma_f32 v32, v28, v36, -v32
	v_mul_f32_e32 v33, v28, v37
	v_fmac_f32_e32 v33, v29, v36
	v_add_f32_e32 v24, v24, v32
	v_mul_f32_e32 v32, v29, v39
	v_add_f32_e32 v26, v26, v33
	v_fma_f32 v36, v28, v38, -v32
	ds_read2_b64 v[32:35], v25 offset0:160 offset1:176
	v_mul_f32_e32 v28, v28, v39
	v_fmac_f32_e32 v28, v29, v38
	v_add_f32_e32 v22, v22, v28
	v_add_f32_e32 v20, v20, v36
	s_waitcnt lgkmcnt(0)
	v_mul_f32_e32 v28, v7, v33
	v_mul_f32_e32 v29, v6, v33
	v_fma_f32 v28, v6, v32, -v28
	v_fmac_f32_e32 v29, v7, v32
	v_add_f32_e32 v16, v16, v28
	v_add_f32_e32 v28, v44, v29
	v_mul_f32_e32 v29, v7, v35
	v_fma_f32 v29, v6, v34, -v29
	v_mul_f32_e32 v6, v6, v35
	v_fmac_f32_e32 v6, v7, v34
	v_add_f32_e32 v36, v4, v6
	v_mul_f32_e32 v4, v31, v33
	v_add_f32_e32 v29, v5, v29
	v_fma_f32 v4, v30, v32, -v4
	v_mul_f32_e32 v5, v30, v33
	v_fmac_f32_e32 v5, v31, v32
	v_add_f32_e32 v24, v24, v4
	v_mul_f32_e32 v4, v31, v35
	v_add_f32_e32 v26, v26, v5
	v_fma_f32 v32, v30, v34, -v4
	ds_read2_b64 v[4:7], v25 offset0:192 offset1:208
	v_mul_f32_e32 v30, v30, v35
	v_fmac_f32_e32 v30, v31, v34
	v_add_f32_e32 v22, v22, v30
	v_add_f32_e32 v20, v20, v32
	s_waitcnt lgkmcnt(0)
	v_mul_f32_e32 v30, v1, v5
	v_fma_f32 v30, v0, v4, -v30
	v_add_f32_e32 v16, v16, v30
	v_mul_f32_e32 v30, v1, v7
	v_mul_f32_e32 v31, v0, v5
	v_fma_f32 v30, v0, v6, -v30
	v_mul_f32_e32 v0, v0, v7
	v_fmac_f32_e32 v0, v1, v6
	v_add_f32_e32 v0, v36, v0
	ds_read2_b64 v[36:39], v25 offset0:224 offset1:240
	v_fmac_f32_e32 v31, v1, v4
	v_add_f32_e32 v1, v29, v30
	v_mul_f32_e32 v29, v41, v5
	v_fma_f32 v29, v40, v4, -v29
	v_mul_f32_e32 v5, v40, v5
	v_fmac_f32_e32 v5, v41, v4
	v_add_f32_e32 v4, v24, v29
	v_mul_f32_e32 v24, v41, v7
	v_fma_f32 v24, v40, v6, -v24
	v_mul_f32_e32 v7, v40, v7
	v_fmac_f32_e32 v7, v41, v6
	v_add_f32_e32 v6, v20, v24
	s_waitcnt lgkmcnt(0)
	v_mul_f32_e32 v20, v3, v37
	v_fma_f32 v20, v2, v36, -v20
	v_add_f32_e32 v32, v16, v20
	v_mul_f32_e32 v16, v3, v39
	v_add_f32_e32 v7, v22, v7
	v_mul_f32_e32 v22, v2, v37
	v_fma_f32 v16, v2, v38, -v16
	v_mul_f32_e32 v2, v2, v39
	v_add_f32_e32 v28, v28, v31
	v_fmac_f32_e32 v22, v3, v36
	v_fmac_f32_e32 v2, v3, v38
	v_add_f32_e32 v34, v28, v22
	v_add_f32_e32 v28, v1, v16
	;; [unrolled: 1-line block ×3, first 2 shown]
	v_mul_f32_e32 v0, v43, v37
	v_mul_f32_e32 v1, v42, v37
	v_add_f32_e32 v5, v26, v5
	v_fma_f32 v0, v42, v36, -v0
	v_fmac_f32_e32 v1, v43, v36
	v_add_f32_e32 v24, v4, v0
	v_add_f32_e32 v26, v5, v1
	v_mul_f32_e32 v0, v43, v39
	v_mul_f32_e32 v1, v42, v39
	v_fma_f32 v0, v42, v38, -v0
	v_fmac_f32_e32 v1, v43, v38
	s_addc_u32 s19, s19, 0
	v_add_f32_e32 v20, v6, v0
	v_add_f32_e32 v22, v7, v1
	v_mov_b64_e32 v[0:1], s[18:19]
	v_cmp_gt_i64_e32 vcc, s[8:9], v[0:1]
	s_barrier
	s_cbranch_vccz .LBB249_16
.LBB249_8:                              ; =>This Inner Loop Header: Depth=1
	s_mov_b64 s[24:25], s[10:11]
	s_mov_b64 s[20:21], 0
	s_and_saveexec_b64 s[22:23], s[2:3]
; %bb.9:                                ;   in Loop: Header=BB249_8 Depth=1
	v_add_u32_e32 v16, s18, v10
	v_cmp_le_u64_e32 vcc, s[8:9], v[16:17]
	s_andn2_b64 s[24:25], s[10:11], exec
	s_and_b64 s[28:29], vcc, exec
	s_mov_b64 s[20:21], exec
	s_or_b64 s[24:25], s[24:25], s[28:29]
	v_mov_b64_e32 v[18:19], v[16:17]
; %bb.10:                               ;   in Loop: Header=BB249_8 Depth=1
	s_or_b64 exec, exec, s[22:23]
	s_and_saveexec_b64 s[22:23], s[24:25]
	s_xor_b64 s[22:23], exec, s[22:23]
; %bb.11:                               ;   in Loop: Header=BB249_8 Depth=1
	ds_write_b32 v21, v17
	s_andn2_b64 s[20:21], s[20:21], exec
; %bb.12:                               ;   in Loop: Header=BB249_8 Depth=1
	s_or_b64 exec, exec, s[22:23]
	v_mov_b32_e32 v2, 0
	v_mov_b32_e32 v0, 0
	s_and_saveexec_b64 s[22:23], s[20:21]
	s_cbranch_execz .LBB249_14
; %bb.13:                               ;   in Loop: Header=BB249_8 Depth=1
	v_lshl_add_u64 v[0:1], v[18:19], 3, v[12:13]
	global_load_dwordx2 v[4:5], v[0:1], off
	s_waitcnt vmcnt(0)
	v_xor_b32_e32 v0, 0x80000000, v5
	ds_write_b32 v21, v4
.LBB249_14:                             ;   in Loop: Header=BB249_8 Depth=1
	s_or_b64 exec, exec, s[22:23]
	v_add_u32_e32 v16, s18, v8
	v_cmp_gt_u64_e32 vcc, s[8:9], v[16:17]
	s_and_b64 s[22:23], vcc, s[6:7]
	v_mov_b32_e32 v3, 0
	ds_write_b32 v21, v0 offset:4
	s_and_saveexec_b64 s[20:21], s[22:23]
	s_cbranch_execz .LBB249_7
; %bb.15:                               ;   in Loop: Header=BB249_8 Depth=1
	v_lshl_add_u64 v[0:1], v[16:17], 3, v[14:15]
	global_load_dwordx2 v[2:3], v[0:1], off
	s_branch .LBB249_7
.LBB249_16:
	s_load_dwordx2 s[2:3], s[0:1], 0x60
	s_load_dwordx4 s[8:11], s[0:1], 0x50
	v_add_u32_e32 v10, s5, v9
	v_ashrrev_i32_e32 v1, 31, v10
	v_add_u32_e32 v0, s27, v11
	s_waitcnt lgkmcnt(0)
	s_mul_i32 s1, s3, s4
	s_mul_hi_u32 s3, s2, s4
	s_mul_i32 s0, s2, s4
	s_add_i32 s1, s3, s1
	s_lshl_b64 s[0:1], s[0:1], 3
	s_add_u32 s6, s8, s0
	s_addc_u32 s7, s9, s1
	v_cmp_neq_f32_e64 s[0:1], s12, 0
	s_xor_b64 s[4:5], s[16:17], -1
	v_mul_lo_u32 v1, s10, v1
	v_mul_lo_u32 v4, s11, v10
	v_mad_u64_u32 v[2:3], s[2:3], s10, v10, 0
	v_add3_u32 v3, v3, v1, v4
	s_or_b64 s[0:1], s[0:1], s[4:5]
	v_lshl_add_u64 v[4:5], v[2:3], 3, s[6:7]
	v_cmp_le_i32_e32 vcc, v10, v0
	v_cmp_gt_i32_e64 s[2:3], s26, v0
	v_cndmask_b32_e64 v2, 0, 1, s[0:1]
	s_and_b64 s[8:9], vcc, s[2:3]
	v_ashrrev_i32_e32 v1, 31, v0
	v_cmp_ne_u32_e64 s[0:1], 1, v2
	s_and_saveexec_b64 s[4:5], s[8:9]
	s_cbranch_execz .LBB249_20
; %bb.17:
	v_pk_mul_f32 v[6:7], v[34:35], s[14:15] op_sel:[0,1] op_sel_hi:[0,0]
	v_pk_fma_f32 v[2:3], v[32:33], s[14:15], v[6:7] op_sel_hi:[0,1,1] neg_lo:[0,0,1] neg_hi:[0,0,1]
	v_pk_fma_f32 v[8:9], v[32:33], s[14:15], v[6:7] op_sel_hi:[0,1,1]
	s_and_b64 vcc, exec, s[0:1]
	v_lshl_add_u64 v[6:7], v[0:1], 3, v[4:5]
	s_cbranch_vccnz .LBB249_19
; %bb.18:
	global_load_dwordx2 v[12:13], v[6:7], off
	s_mov_b32 s8, s13
	v_mov_b32_e32 v3, v9
	s_waitcnt vmcnt(0)
	v_pk_mul_f32 v[8:9], v[12:13], s[8:9] op_sel:[1,0] op_sel_hi:[0,0]
	v_pk_fma_f32 v[14:15], v[12:13], s[12:13], v[8:9] neg_lo:[0,0,1] neg_hi:[0,0,1]
	v_pk_fma_f32 v[8:9], v[12:13], s[12:13], v[8:9] op_sel_hi:[1,0,1]
	s_nop 0
	v_mov_b32_e32 v15, v9
	v_pk_add_f32 v[2:3], v[2:3], v[14:15]
	s_nop 0
	v_mov_b32_e32 v9, v3
.LBB249_19:
	v_mov_b32_e32 v3, v9
	global_store_dwordx2 v[6:7], v[2:3], off
.LBB249_20:
	s_or_b64 exec, exec, s[4:5]
	v_add_u32_e32 v2, 16, v0
	v_cmp_le_i32_e32 vcc, v10, v2
	v_cmp_gt_i32_e64 s[4:5], s26, v2
	s_and_b64 s[16:17], vcc, s[4:5]
	v_ashrrev_i32_e32 v3, 31, v2
	s_and_saveexec_b64 s[8:9], s[16:17]
	s_cbranch_execz .LBB249_24
; %bb.21:
	v_pk_mul_f32 v[8:9], v[30:31], s[14:15] op_sel:[0,1] op_sel_hi:[0,0]
	v_pk_fma_f32 v[6:7], v[28:29], s[14:15], v[8:9] op_sel_hi:[0,1,1] neg_lo:[0,0,1] neg_hi:[0,0,1]
	v_pk_fma_f32 v[8:9], v[28:29], s[14:15], v[8:9] op_sel_hi:[0,1,1]
	s_and_b64 vcc, exec, s[0:1]
	v_lshl_add_u64 v[4:5], v[2:3], 3, v[4:5]
	s_cbranch_vccnz .LBB249_23
; %bb.22:
	global_load_dwordx2 v[12:13], v[4:5], off
	s_mov_b32 s16, s13
	v_mov_b32_e32 v7, v9
	s_waitcnt vmcnt(0)
	v_pk_mul_f32 v[8:9], v[12:13], s[16:17] op_sel:[1,0] op_sel_hi:[0,0]
	v_pk_fma_f32 v[14:15], v[12:13], s[12:13], v[8:9] neg_lo:[0,0,1] neg_hi:[0,0,1]
	v_pk_fma_f32 v[8:9], v[12:13], s[12:13], v[8:9] op_sel_hi:[1,0,1]
	s_nop 0
	v_mov_b32_e32 v15, v9
	v_pk_add_f32 v[6:7], v[6:7], v[14:15]
	s_nop 0
	v_mov_b32_e32 v9, v7
.LBB249_23:
	v_mov_b32_e32 v7, v9
	global_store_dwordx2 v[4:5], v[6:7], off
.LBB249_24:
	s_or_b64 exec, exec, s[8:9]
	v_add_u32_e32 v10, 16, v10
	v_ashrrev_i32_e32 v4, 31, v10
	v_mul_lo_u32 v6, s10, v4
	v_mul_lo_u32 v7, s11, v10
	v_mad_u64_u32 v[4:5], s[8:9], s10, v10, 0
	v_add3_u32 v5, v5, v6, v7
	v_cmp_le_i32_e32 vcc, v10, v0
	v_lshl_add_u64 v[4:5], v[4:5], 3, s[6:7]
	s_and_b64 s[6:7], vcc, s[2:3]
	s_and_saveexec_b64 s[2:3], s[6:7]
	s_cbranch_execz .LBB249_28
; %bb.25:
	v_pk_mul_f32 v[8:9], v[26:27], s[14:15] op_sel:[0,1] op_sel_hi:[0,0]
	v_pk_fma_f32 v[6:7], v[24:25], s[14:15], v[8:9] op_sel_hi:[0,1,1] neg_lo:[0,0,1] neg_hi:[0,0,1]
	v_pk_fma_f32 v[8:9], v[24:25], s[14:15], v[8:9] op_sel_hi:[0,1,1]
	s_and_b64 vcc, exec, s[0:1]
	v_lshl_add_u64 v[0:1], v[0:1], 3, v[4:5]
	s_cbranch_vccnz .LBB249_27
; %bb.26:
	global_load_dwordx2 v[12:13], v[0:1], off
	s_mov_b32 s6, s13
	v_mov_b32_e32 v7, v9
	s_waitcnt vmcnt(0)
	v_pk_mul_f32 v[8:9], v[12:13], s[6:7] op_sel:[1,0] op_sel_hi:[0,0]
	v_pk_fma_f32 v[14:15], v[12:13], s[12:13], v[8:9] neg_lo:[0,0,1] neg_hi:[0,0,1]
	v_pk_fma_f32 v[8:9], v[12:13], s[12:13], v[8:9] op_sel_hi:[1,0,1]
	s_nop 0
	v_mov_b32_e32 v15, v9
	v_pk_add_f32 v[6:7], v[6:7], v[14:15]
	s_nop 0
	v_mov_b32_e32 v9, v7
.LBB249_27:
	v_mov_b32_e32 v7, v9
	global_store_dwordx2 v[0:1], v[6:7], off
.LBB249_28:
	s_or_b64 exec, exec, s[2:3]
	v_cmp_le_i32_e32 vcc, v10, v2
	s_and_b64 s[2:3], vcc, s[4:5]
	s_and_saveexec_b64 s[4:5], s[2:3]
	s_cbranch_execz .LBB249_32
; %bb.29:
	v_pk_mul_f32 v[6:7], v[22:23], s[14:15] op_sel:[0,1] op_sel_hi:[0,0]
	v_pk_fma_f32 v[0:1], v[20:21], s[14:15], v[6:7] op_sel_hi:[0,1,1] neg_lo:[0,0,1] neg_hi:[0,0,1]
	v_pk_fma_f32 v[6:7], v[20:21], s[14:15], v[6:7] op_sel_hi:[0,1,1]
	s_and_b64 vcc, exec, s[0:1]
	v_lshl_add_u64 v[2:3], v[2:3], 3, v[4:5]
	s_cbranch_vccnz .LBB249_31
; %bb.30:
	global_load_dwordx2 v[4:5], v[2:3], off
	s_mov_b32 s0, s13
	v_mov_b32_e32 v1, v7
	s_waitcnt vmcnt(0)
	v_pk_mul_f32 v[6:7], v[4:5], s[0:1] op_sel:[1,0] op_sel_hi:[0,0]
	v_pk_fma_f32 v[8:9], v[4:5], s[12:13], v[6:7] neg_lo:[0,0,1] neg_hi:[0,0,1]
	v_pk_fma_f32 v[4:5], v[4:5], s[12:13], v[6:7] op_sel_hi:[1,0,1]
	s_nop 0
	v_mov_b32_e32 v9, v5
	v_pk_add_f32 v[0:1], v[0:1], v[8:9]
	s_nop 0
	v_mov_b32_e32 v7, v1
.LBB249_31:
	v_mov_b32_e32 v1, v7
	global_store_dwordx2 v[2:3], v[0:1], off
.LBB249_32:
	s_endpgm
	.section	.rodata,"a",@progbits
	.p2align	6, 0x0
	.amdhsa_kernel _ZL29rocblas_internal_gemmt_kernelIlLi16ELi32ELi8ELc67ELc78ELc76ELb1ELb0E19rocblas_complex_numIfES1_PKS1_PS1_EviT_T9_T10_S5_lS7_S5_lS6_T11_S5_li
		.amdhsa_group_segment_fixed_size 4096
		.amdhsa_private_segment_fixed_size 0
		.amdhsa_kernarg_size 108
		.amdhsa_user_sgpr_count 2
		.amdhsa_user_sgpr_dispatch_ptr 0
		.amdhsa_user_sgpr_queue_ptr 0
		.amdhsa_user_sgpr_kernarg_segment_ptr 1
		.amdhsa_user_sgpr_dispatch_id 0
		.amdhsa_user_sgpr_kernarg_preload_length 0
		.amdhsa_user_sgpr_kernarg_preload_offset 0
		.amdhsa_user_sgpr_private_segment_size 0
		.amdhsa_uses_dynamic_stack 0
		.amdhsa_enable_private_segment 0
		.amdhsa_system_sgpr_workgroup_id_x 1
		.amdhsa_system_sgpr_workgroup_id_y 1
		.amdhsa_system_sgpr_workgroup_id_z 1
		.amdhsa_system_sgpr_workgroup_info 0
		.amdhsa_system_vgpr_workitem_id 1
		.amdhsa_next_free_vgpr 53
		.amdhsa_next_free_sgpr 44
		.amdhsa_accum_offset 56
		.amdhsa_reserve_vcc 1
		.amdhsa_float_round_mode_32 0
		.amdhsa_float_round_mode_16_64 0
		.amdhsa_float_denorm_mode_32 3
		.amdhsa_float_denorm_mode_16_64 3
		.amdhsa_dx10_clamp 1
		.amdhsa_ieee_mode 1
		.amdhsa_fp16_overflow 0
		.amdhsa_tg_split 0
		.amdhsa_exception_fp_ieee_invalid_op 0
		.amdhsa_exception_fp_denorm_src 0
		.amdhsa_exception_fp_ieee_div_zero 0
		.amdhsa_exception_fp_ieee_overflow 0
		.amdhsa_exception_fp_ieee_underflow 0
		.amdhsa_exception_fp_ieee_inexact 0
		.amdhsa_exception_int_div_zero 0
	.end_amdhsa_kernel
	.section	.text._ZL29rocblas_internal_gemmt_kernelIlLi16ELi32ELi8ELc67ELc78ELc76ELb1ELb0E19rocblas_complex_numIfES1_PKS1_PS1_EviT_T9_T10_S5_lS7_S5_lS6_T11_S5_li,"axG",@progbits,_ZL29rocblas_internal_gemmt_kernelIlLi16ELi32ELi8ELc67ELc78ELc76ELb1ELb0E19rocblas_complex_numIfES1_PKS1_PS1_EviT_T9_T10_S5_lS7_S5_lS6_T11_S5_li,comdat
.Lfunc_end249:
	.size	_ZL29rocblas_internal_gemmt_kernelIlLi16ELi32ELi8ELc67ELc78ELc76ELb1ELb0E19rocblas_complex_numIfES1_PKS1_PS1_EviT_T9_T10_S5_lS7_S5_lS6_T11_S5_li, .Lfunc_end249-_ZL29rocblas_internal_gemmt_kernelIlLi16ELi32ELi8ELc67ELc78ELc76ELb1ELb0E19rocblas_complex_numIfES1_PKS1_PS1_EviT_T9_T10_S5_lS7_S5_lS6_T11_S5_li
                                        ; -- End function
	.set _ZL29rocblas_internal_gemmt_kernelIlLi16ELi32ELi8ELc67ELc78ELc76ELb1ELb0E19rocblas_complex_numIfES1_PKS1_PS1_EviT_T9_T10_S5_lS7_S5_lS6_T11_S5_li.num_vgpr, 53
	.set _ZL29rocblas_internal_gemmt_kernelIlLi16ELi32ELi8ELc67ELc78ELc76ELb1ELb0E19rocblas_complex_numIfES1_PKS1_PS1_EviT_T9_T10_S5_lS7_S5_lS6_T11_S5_li.num_agpr, 0
	.set _ZL29rocblas_internal_gemmt_kernelIlLi16ELi32ELi8ELc67ELc78ELc76ELb1ELb0E19rocblas_complex_numIfES1_PKS1_PS1_EviT_T9_T10_S5_lS7_S5_lS6_T11_S5_li.numbered_sgpr, 44
	.set _ZL29rocblas_internal_gemmt_kernelIlLi16ELi32ELi8ELc67ELc78ELc76ELb1ELb0E19rocblas_complex_numIfES1_PKS1_PS1_EviT_T9_T10_S5_lS7_S5_lS6_T11_S5_li.num_named_barrier, 0
	.set _ZL29rocblas_internal_gemmt_kernelIlLi16ELi32ELi8ELc67ELc78ELc76ELb1ELb0E19rocblas_complex_numIfES1_PKS1_PS1_EviT_T9_T10_S5_lS7_S5_lS6_T11_S5_li.private_seg_size, 0
	.set _ZL29rocblas_internal_gemmt_kernelIlLi16ELi32ELi8ELc67ELc78ELc76ELb1ELb0E19rocblas_complex_numIfES1_PKS1_PS1_EviT_T9_T10_S5_lS7_S5_lS6_T11_S5_li.uses_vcc, 1
	.set _ZL29rocblas_internal_gemmt_kernelIlLi16ELi32ELi8ELc67ELc78ELc76ELb1ELb0E19rocblas_complex_numIfES1_PKS1_PS1_EviT_T9_T10_S5_lS7_S5_lS6_T11_S5_li.uses_flat_scratch, 0
	.set _ZL29rocblas_internal_gemmt_kernelIlLi16ELi32ELi8ELc67ELc78ELc76ELb1ELb0E19rocblas_complex_numIfES1_PKS1_PS1_EviT_T9_T10_S5_lS7_S5_lS6_T11_S5_li.has_dyn_sized_stack, 0
	.set _ZL29rocblas_internal_gemmt_kernelIlLi16ELi32ELi8ELc67ELc78ELc76ELb1ELb0E19rocblas_complex_numIfES1_PKS1_PS1_EviT_T9_T10_S5_lS7_S5_lS6_T11_S5_li.has_recursion, 0
	.set _ZL29rocblas_internal_gemmt_kernelIlLi16ELi32ELi8ELc67ELc78ELc76ELb1ELb0E19rocblas_complex_numIfES1_PKS1_PS1_EviT_T9_T10_S5_lS7_S5_lS6_T11_S5_li.has_indirect_call, 0
	.section	.AMDGPU.csdata,"",@progbits
; Kernel info:
; codeLenInByte = 2608
; TotalNumSgprs: 50
; NumVgprs: 53
; NumAgprs: 0
; TotalNumVgprs: 53
; ScratchSize: 0
; MemoryBound: 0
; FloatMode: 240
; IeeeMode: 1
; LDSByteSize: 4096 bytes/workgroup (compile time only)
; SGPRBlocks: 6
; VGPRBlocks: 6
; NumSGPRsForWavesPerEU: 50
; NumVGPRsForWavesPerEU: 53
; AccumOffset: 56
; Occupancy: 8
; WaveLimiterHint : 0
; COMPUTE_PGM_RSRC2:SCRATCH_EN: 0
; COMPUTE_PGM_RSRC2:USER_SGPR: 2
; COMPUTE_PGM_RSRC2:TRAP_HANDLER: 0
; COMPUTE_PGM_RSRC2:TGID_X_EN: 1
; COMPUTE_PGM_RSRC2:TGID_Y_EN: 1
; COMPUTE_PGM_RSRC2:TGID_Z_EN: 1
; COMPUTE_PGM_RSRC2:TIDIG_COMP_CNT: 1
; COMPUTE_PGM_RSRC3_GFX90A:ACCUM_OFFSET: 13
; COMPUTE_PGM_RSRC3_GFX90A:TG_SPLIT: 0
	.section	.text._ZL29rocblas_internal_gemmt_kernelIlLi16ELi32ELi8ELc67ELc84ELc76ELb1ELb0E19rocblas_complex_numIfES1_PKS1_PS1_EviT_T9_T10_S5_lS7_S5_lS6_T11_S5_li,"axG",@progbits,_ZL29rocblas_internal_gemmt_kernelIlLi16ELi32ELi8ELc67ELc84ELc76ELb1ELb0E19rocblas_complex_numIfES1_PKS1_PS1_EviT_T9_T10_S5_lS7_S5_lS6_T11_S5_li,comdat
	.globl	_ZL29rocblas_internal_gemmt_kernelIlLi16ELi32ELi8ELc67ELc84ELc76ELb1ELb0E19rocblas_complex_numIfES1_PKS1_PS1_EviT_T9_T10_S5_lS7_S5_lS6_T11_S5_li ; -- Begin function _ZL29rocblas_internal_gemmt_kernelIlLi16ELi32ELi8ELc67ELc84ELc76ELb1ELb0E19rocblas_complex_numIfES1_PKS1_PS1_EviT_T9_T10_S5_lS7_S5_lS6_T11_S5_li
	.p2align	8
	.type	_ZL29rocblas_internal_gemmt_kernelIlLi16ELi32ELi8ELc67ELc84ELc76ELb1ELb0E19rocblas_complex_numIfES1_PKS1_PS1_EviT_T9_T10_S5_lS7_S5_lS6_T11_S5_li,@function
_ZL29rocblas_internal_gemmt_kernelIlLi16ELi32ELi8ELc67ELc84ELc76ELb1ELb0E19rocblas_complex_numIfES1_PKS1_PS1_EviT_T9_T10_S5_lS7_S5_lS6_T11_S5_li: ; @_ZL29rocblas_internal_gemmt_kernelIlLi16ELi32ELi8ELc67ELc84ELc76ELb1ELb0E19rocblas_complex_numIfES1_PKS1_PS1_EviT_T9_T10_S5_lS7_S5_lS6_T11_S5_li
; %bb.0:
	s_load_dwordx2 s[12:13], s[0:1], 0x48
	s_load_dwordx2 s[14:15], s[0:1], 0x10
	s_waitcnt lgkmcnt(0)
	s_and_b32 s5, s13, 0x7fffffff
	s_cmp_eq_u32 s5, 0
	v_cmp_eq_f32_e64 s[6:7], s12, 1.0
	s_cselect_b64 s[16:17], -1, 0
	s_and_b64 s[6:7], s[6:7], s[16:17]
	s_and_b64 vcc, exec, s[6:7]
	s_cbranch_vccnz .LBB250_2
; %bb.1:
	s_mov_b64 s[6:7], -1
	s_load_dwordx2 s[18:19], s[0:1], 0x8
	s_cbranch_execz .LBB250_3
	s_branch .LBB250_4
.LBB250_2:
	s_mov_b64 s[6:7], 0
	s_load_dwordx2 s[18:19], s[0:1], 0x8
.LBB250_3:
	s_waitcnt lgkmcnt(0)
	s_cmp_lg_u64 s[18:19], 0
	v_cmp_neq_f32_e64 s[8:9], s14, 0
	v_cmp_neq_f32_e64 s[10:11], s15, 0
	s_cselect_b64 s[6:7], -1, 0
	s_or_b64 s[8:9], s[8:9], s[10:11]
	s_and_b64 s[6:7], s[6:7], s[8:9]
.LBB250_4:
	s_andn2_b64 vcc, exec, s[6:7]
	s_cbranch_vccnz .LBB250_32
; %bb.5:
	s_load_dword s28, s[0:1], 0x0
	s_lshl_b32 s29, s2, 5
	s_lshl_b32 s5, s3, 5
	v_cmp_eq_f32_e64 s[2:3], s14, 0
	v_cmp_eq_f32_e64 s[6:7], s15, 0
	s_and_b64 s[2:3], s[2:3], s[6:7]
	s_waitcnt lgkmcnt(0)
	v_cmp_lt_i64_e64 s[6:7], s[18:19], 1
	s_or_b64 s[2:3], s[2:3], s[6:7]
	v_and_b32_e32 v11, 0x3ff, v0
	v_bfe_u32 v9, v0, 10, 10
	v_mov_b32_e32 v32, 0
	s_and_b64 vcc, exec, s[2:3]
	v_mov_b32_e32 v34, 0
	v_mov_b32_e32 v28, 0
	;; [unrolled: 1-line block ×7, first 2 shown]
	s_cbranch_vccnz .LBB250_16
; %bb.6:
	s_load_dwordx8 s[20:27], s[0:1], 0x18
	s_load_dwordx4 s[8:11], s[0:1], 0x38
	v_lshl_add_u32 v1, v9, 4, v11
	v_lshrrev_b32_e32 v10, 5, v1
	v_lshrrev_b32_e32 v4, 3, v1
	v_and_b32_e32 v1, 31, v1
	s_waitcnt lgkmcnt(0)
	s_mul_i32 s2, s11, s4
	s_mul_hi_u32 s3, s10, s4
	s_add_i32 s3, s3, s2
	s_mul_i32 s2, s10, s4
	s_lshl_b64 s[2:3], s[2:3], 3
	s_add_u32 s26, s26, s2
	s_addc_u32 s27, s27, s3
	s_mul_i32 s2, s25, s4
	s_mul_hi_u32 s3, s24, s4
	s_add_i32 s3, s3, s2
	s_mul_i32 s2, s24, s4
	s_lshl_b64 s[2:3], s[2:3], 3
	v_or_b32_e32 v2, s29, v1
	s_add_u32 s6, s20, s2
	v_lshlrev_b32_e32 v1, 3, v1
	s_addc_u32 s7, s21, s3
	v_cmp_gt_i32_e64 s[2:3], s28, v2
	v_cmp_le_i32_e64 s[10:11], s28, v2
	v_lshl_or_b32 v21, v10, 8, v1
	s_ashr_i32 s24, s29, 31
	v_mul_lo_u32 v1, s23, v2
	v_mad_u64_u32 v[2:3], s[20:21], s22, v2, 0
	v_and_b32_e32 v8, 7, v11
	s_mul_i32 s20, s22, s24
	v_add3_u32 v3, v3, s20, v1
	v_lshlrev_b32_e32 v1, 3, v8
	v_add_u32_e32 v0, s5, v4
	v_lshl_or_b32 v1, v4, 6, v1
	v_add_u32_e32 v23, 0x800, v1
	v_ashrrev_i32_e32 v1, 31, v0
	v_lshl_add_u64 v[12:13], v[2:3], 3, s[6:7]
	v_cmp_gt_i32_e64 s[6:7], s28, v0
	v_lshl_add_u64 v[14:15], v[0:1], 3, s[26:27]
	v_mov_b32_e32 v0, 0x800
	v_lshlrev_b32_e32 v25, 3, v11
	v_lshl_add_u32 v27, v9, 6, v0
	v_mov_b32_e32 v17, 0
	s_mov_b64 s[20:21], 0
	v_mov_b32_e32 v22, 0
	v_mov_b32_e32 v20, 0
	;; [unrolled: 1-line block ×8, first 2 shown]
                                        ; implicit-def: $vgpr18_vgpr19
	s_branch .LBB250_8
.LBB250_7:                              ;   in Loop: Header=BB250_8 Depth=1
	s_or_b64 exec, exec, s[22:23]
	s_waitcnt vmcnt(0)
	ds_write_b64 v23, v[2:3]
	s_waitcnt lgkmcnt(0)
	s_barrier
	ds_read2_b64 v[36:39], v25 offset1:16
	ds_read_b128 v[40:43], v27
	ds_read_b128 v[44:47], v27 offset:16
	ds_read_b128 v[4:7], v27 offset:32
	;; [unrolled: 1-line block ×3, first 2 shown]
	s_add_u32 s20, s20, 8
	s_waitcnt lgkmcnt(3)
	v_mul_f32_e32 v16, v41, v37
	v_mul_f32_e32 v29, v40, v37
	v_fma_f32 v16, v40, v36, -v16
	v_fmac_f32_e32 v29, v41, v36
	v_add_f32_e32 v16, v32, v16
	v_add_f32_e32 v52, v34, v29
	ds_read_b128 v[32:35], v27 offset:1024
	v_mul_f32_e32 v29, v41, v39
	v_mul_f32_e32 v31, v40, v39
	v_fma_f32 v29, v40, v38, -v29
	v_fmac_f32_e32 v31, v41, v38
	v_add_f32_e32 v40, v28, v29
	v_add_f32_e32 v41, v30, v31
	ds_read_b128 v[28:31], v27 offset:1040
	s_waitcnt lgkmcnt(1)
	v_mul_f32_e32 v48, v33, v37
	v_fma_f32 v48, v32, v36, -v48
	v_add_f32_e32 v24, v24, v48
	ds_read2_b64 v[48:51], v25 offset0:32 offset1:48
	v_mul_f32_e32 v37, v32, v37
	v_fmac_f32_e32 v37, v33, v36
	v_mul_f32_e32 v36, v33, v39
	v_fma_f32 v36, v32, v38, -v36
	v_mul_f32_e32 v32, v32, v39
	v_fmac_f32_e32 v32, v33, v38
	v_add_f32_e32 v22, v22, v32
	s_waitcnt lgkmcnt(0)
	v_mul_f32_e32 v32, v43, v49
	v_mul_f32_e32 v33, v42, v49
	v_fma_f32 v32, v42, v48, -v32
	v_fmac_f32_e32 v33, v43, v48
	v_add_f32_e32 v20, v20, v36
	v_add_f32_e32 v16, v16, v32
	;; [unrolled: 1-line block ×3, first 2 shown]
	v_mul_f32_e32 v33, v43, v51
	v_mul_f32_e32 v36, v42, v51
	v_fma_f32 v33, v42, v50, -v33
	v_fmac_f32_e32 v36, v43, v50
	v_add_f32_e32 v33, v40, v33
	v_add_f32_e32 v40, v41, v36
	v_mul_f32_e32 v36, v35, v49
	v_add_f32_e32 v26, v26, v37
	v_fma_f32 v36, v34, v48, -v36
	v_mul_f32_e32 v37, v34, v49
	v_fmac_f32_e32 v37, v35, v48
	v_add_f32_e32 v24, v24, v36
	v_mul_f32_e32 v36, v35, v51
	v_add_f32_e32 v26, v26, v37
	v_fma_f32 v41, v34, v50, -v36
	ds_read2_b64 v[36:39], v25 offset0:64 offset1:80
	v_mul_f32_e32 v34, v34, v51
	v_fmac_f32_e32 v34, v35, v50
	v_add_f32_e32 v20, v20, v41
	v_add_f32_e32 v22, v22, v34
	s_waitcnt lgkmcnt(0)
	v_mul_f32_e32 v35, v44, v37
	v_fmac_f32_e32 v35, v45, v36
	v_add_f32_e32 v41, v32, v35
	v_mul_f32_e32 v32, v45, v39
	v_mul_f32_e32 v34, v45, v37
	v_fma_f32 v32, v44, v38, -v32
	v_fma_f32 v34, v44, v36, -v34
	v_add_f32_e32 v42, v33, v32
	v_mul_f32_e32 v32, v29, v37
	v_add_f32_e32 v16, v16, v34
	v_mul_f32_e32 v34, v44, v39
	v_fma_f32 v32, v28, v36, -v32
	v_mul_f32_e32 v33, v28, v37
	v_fmac_f32_e32 v34, v45, v38
	v_fmac_f32_e32 v33, v29, v36
	v_add_f32_e32 v24, v24, v32
	v_mul_f32_e32 v32, v29, v39
	v_add_f32_e32 v40, v40, v34
	v_add_f32_e32 v26, v26, v33
	v_fma_f32 v36, v28, v38, -v32
	ds_read2_b64 v[32:35], v25 offset0:96 offset1:112
	v_mul_f32_e32 v28, v28, v39
	v_fmac_f32_e32 v28, v29, v38
	v_add_f32_e32 v22, v22, v28
	v_add_f32_e32 v20, v20, v36
	s_waitcnt lgkmcnt(0)
	v_mul_f32_e32 v28, v47, v33
	v_mul_f32_e32 v29, v46, v33
	v_fma_f32 v28, v46, v32, -v28
	v_fmac_f32_e32 v29, v47, v32
	v_add_f32_e32 v16, v16, v28
	v_add_f32_e32 v28, v41, v29
	v_mul_f32_e32 v29, v47, v35
	v_mul_f32_e32 v36, v46, v35
	v_fma_f32 v29, v46, v34, -v29
	v_fmac_f32_e32 v36, v47, v34
	v_add_f32_e32 v41, v42, v29
	v_add_f32_e32 v40, v40, v36
	v_mul_f32_e32 v29, v31, v33
	ds_read2_b64 v[36:39], v25 offset0:128 offset1:144
	v_fma_f32 v29, v30, v32, -v29
	v_add_f32_e32 v24, v24, v29
	v_mul_f32_e32 v29, v31, v35
	v_mul_f32_e32 v33, v30, v33
	v_fma_f32 v29, v30, v34, -v29
	v_mul_f32_e32 v30, v30, v35
	v_fmac_f32_e32 v30, v31, v34
	v_add_f32_e32 v22, v22, v30
	s_waitcnt lgkmcnt(0)
	v_mul_f32_e32 v30, v4, v37
	v_add_f32_e32 v20, v20, v29
	v_mul_f32_e32 v29, v5, v37
	v_fmac_f32_e32 v30, v5, v36
	v_fma_f32 v29, v4, v36, -v29
	v_add_f32_e32 v44, v28, v30
	v_mul_f32_e32 v28, v5, v39
	v_fmac_f32_e32 v33, v31, v32
	v_add_f32_e32 v16, v16, v29
	v_fma_f32 v32, v4, v38, -v28
	ds_read_b128 v[28:31], v27 offset:1056
	v_mul_f32_e32 v4, v4, v39
	v_fmac_f32_e32 v4, v5, v38
	v_add_f32_e32 v5, v41, v32
	v_add_f32_e32 v4, v40, v4
	ds_read_b128 v[40:43], v27 offset:1072
	s_waitcnt lgkmcnt(1)
	v_mul_f32_e32 v32, v29, v37
	v_add_f32_e32 v26, v26, v33
	v_fma_f32 v32, v28, v36, -v32
	v_mul_f32_e32 v33, v28, v37
	v_fmac_f32_e32 v33, v29, v36
	v_add_f32_e32 v24, v24, v32
	v_mul_f32_e32 v32, v29, v39
	v_add_f32_e32 v26, v26, v33
	v_fma_f32 v36, v28, v38, -v32
	ds_read2_b64 v[32:35], v25 offset0:160 offset1:176
	v_mul_f32_e32 v28, v28, v39
	v_fmac_f32_e32 v28, v29, v38
	v_add_f32_e32 v22, v22, v28
	v_add_f32_e32 v20, v20, v36
	s_waitcnt lgkmcnt(0)
	v_mul_f32_e32 v28, v7, v33
	v_mul_f32_e32 v29, v6, v33
	v_fma_f32 v28, v6, v32, -v28
	v_fmac_f32_e32 v29, v7, v32
	v_add_f32_e32 v16, v16, v28
	v_add_f32_e32 v28, v44, v29
	v_mul_f32_e32 v29, v7, v35
	v_fma_f32 v29, v6, v34, -v29
	v_mul_f32_e32 v6, v6, v35
	v_fmac_f32_e32 v6, v7, v34
	v_add_f32_e32 v36, v4, v6
	v_mul_f32_e32 v4, v31, v33
	v_add_f32_e32 v29, v5, v29
	v_fma_f32 v4, v30, v32, -v4
	v_mul_f32_e32 v5, v30, v33
	v_fmac_f32_e32 v5, v31, v32
	v_add_f32_e32 v24, v24, v4
	v_mul_f32_e32 v4, v31, v35
	v_add_f32_e32 v26, v26, v5
	v_fma_f32 v32, v30, v34, -v4
	ds_read2_b64 v[4:7], v25 offset0:192 offset1:208
	v_mul_f32_e32 v30, v30, v35
	v_fmac_f32_e32 v30, v31, v34
	v_add_f32_e32 v22, v22, v30
	v_add_f32_e32 v20, v20, v32
	s_waitcnt lgkmcnt(0)
	v_mul_f32_e32 v30, v1, v5
	v_fma_f32 v30, v0, v4, -v30
	v_add_f32_e32 v16, v16, v30
	v_mul_f32_e32 v30, v1, v7
	v_mul_f32_e32 v31, v0, v5
	v_fma_f32 v30, v0, v6, -v30
	v_mul_f32_e32 v0, v0, v7
	v_fmac_f32_e32 v0, v1, v6
	v_add_f32_e32 v0, v36, v0
	ds_read2_b64 v[36:39], v25 offset0:224 offset1:240
	v_fmac_f32_e32 v31, v1, v4
	v_add_f32_e32 v1, v29, v30
	v_mul_f32_e32 v29, v41, v5
	v_fma_f32 v29, v40, v4, -v29
	v_mul_f32_e32 v5, v40, v5
	v_fmac_f32_e32 v5, v41, v4
	v_add_f32_e32 v4, v24, v29
	v_mul_f32_e32 v24, v41, v7
	v_fma_f32 v24, v40, v6, -v24
	v_mul_f32_e32 v7, v40, v7
	v_fmac_f32_e32 v7, v41, v6
	v_add_f32_e32 v6, v20, v24
	s_waitcnt lgkmcnt(0)
	v_mul_f32_e32 v20, v3, v37
	v_fma_f32 v20, v2, v36, -v20
	v_add_f32_e32 v32, v16, v20
	v_mul_f32_e32 v16, v3, v39
	v_add_f32_e32 v7, v22, v7
	v_mul_f32_e32 v22, v2, v37
	v_fma_f32 v16, v2, v38, -v16
	v_mul_f32_e32 v2, v2, v39
	v_add_f32_e32 v28, v28, v31
	v_fmac_f32_e32 v22, v3, v36
	v_fmac_f32_e32 v2, v3, v38
	v_add_f32_e32 v34, v28, v22
	v_add_f32_e32 v28, v1, v16
	;; [unrolled: 1-line block ×3, first 2 shown]
	v_mul_f32_e32 v0, v43, v37
	v_mul_f32_e32 v1, v42, v37
	v_add_f32_e32 v5, v26, v5
	v_fma_f32 v0, v42, v36, -v0
	v_fmac_f32_e32 v1, v43, v36
	v_add_f32_e32 v24, v4, v0
	v_add_f32_e32 v26, v5, v1
	v_mul_f32_e32 v0, v43, v39
	v_mul_f32_e32 v1, v42, v39
	v_fma_f32 v0, v42, v38, -v0
	v_fmac_f32_e32 v1, v43, v38
	s_addc_u32 s21, s21, 0
	v_add_f32_e32 v20, v6, v0
	v_add_f32_e32 v22, v7, v1
	v_mov_b64_e32 v[0:1], s[20:21]
	v_cmp_gt_i64_e32 vcc, s[18:19], v[0:1]
	s_barrier
	s_cbranch_vccz .LBB250_16
.LBB250_8:                              ; =>This Inner Loop Header: Depth=1
	s_mov_b64 s[26:27], s[10:11]
	s_mov_b64 s[22:23], 0
	s_and_saveexec_b64 s[24:25], s[2:3]
; %bb.9:                                ;   in Loop: Header=BB250_8 Depth=1
	v_add_u32_e32 v16, s20, v10
	v_cmp_le_u64_e32 vcc, s[18:19], v[16:17]
	s_andn2_b64 s[26:27], s[10:11], exec
	s_and_b64 s[30:31], vcc, exec
	s_mov_b64 s[22:23], exec
	s_or_b64 s[26:27], s[26:27], s[30:31]
	v_mov_b64_e32 v[18:19], v[16:17]
; %bb.10:                               ;   in Loop: Header=BB250_8 Depth=1
	s_or_b64 exec, exec, s[24:25]
	s_and_saveexec_b64 s[24:25], s[26:27]
	s_xor_b64 s[24:25], exec, s[24:25]
; %bb.11:                               ;   in Loop: Header=BB250_8 Depth=1
	ds_write_b32 v21, v17
	s_andn2_b64 s[22:23], s[22:23], exec
; %bb.12:                               ;   in Loop: Header=BB250_8 Depth=1
	s_or_b64 exec, exec, s[24:25]
	v_mov_b32_e32 v2, 0
	v_mov_b32_e32 v0, 0
	s_and_saveexec_b64 s[24:25], s[22:23]
	s_cbranch_execz .LBB250_14
; %bb.13:                               ;   in Loop: Header=BB250_8 Depth=1
	v_lshl_add_u64 v[0:1], v[18:19], 3, v[12:13]
	global_load_dwordx2 v[4:5], v[0:1], off
	s_waitcnt vmcnt(0)
	v_xor_b32_e32 v0, 0x80000000, v5
	ds_write_b32 v21, v4
.LBB250_14:                             ;   in Loop: Header=BB250_8 Depth=1
	s_or_b64 exec, exec, s[24:25]
	v_add_u32_e32 v16, s20, v8
	v_cmp_gt_u64_e32 vcc, s[18:19], v[16:17]
	s_and_b64 s[24:25], vcc, s[6:7]
	v_mov_b32_e32 v3, 0
	ds_write_b32 v21, v0 offset:4
	s_and_saveexec_b64 s[22:23], s[24:25]
	s_cbranch_execz .LBB250_7
; %bb.15:                               ;   in Loop: Header=BB250_8 Depth=1
	v_mad_u64_u32 v[0:1], s[24:25], s8, v16, 0
	v_mov_b32_e32 v2, v1
	v_mad_u64_u32 v[2:3], s[24:25], s9, v16, v[2:3]
	v_mov_b32_e32 v1, v2
	v_lshl_add_u64 v[0:1], v[0:1], 3, v[14:15]
	global_load_dwordx2 v[2:3], v[0:1], off
	s_branch .LBB250_7
.LBB250_16:
	s_load_dwordx2 s[2:3], s[0:1], 0x60
	s_load_dwordx4 s[8:11], s[0:1], 0x50
	v_add_u32_e32 v10, s5, v9
	v_ashrrev_i32_e32 v1, 31, v10
	v_add_u32_e32 v0, s29, v11
	s_waitcnt lgkmcnt(0)
	s_mul_i32 s1, s3, s4
	s_mul_hi_u32 s3, s2, s4
	s_mul_i32 s0, s2, s4
	s_add_i32 s1, s3, s1
	s_lshl_b64 s[0:1], s[0:1], 3
	s_add_u32 s6, s8, s0
	s_addc_u32 s7, s9, s1
	v_cmp_neq_f32_e64 s[0:1], s12, 0
	s_xor_b64 s[4:5], s[16:17], -1
	v_mul_lo_u32 v1, s10, v1
	v_mul_lo_u32 v4, s11, v10
	v_mad_u64_u32 v[2:3], s[2:3], s10, v10, 0
	v_add3_u32 v3, v3, v1, v4
	s_or_b64 s[0:1], s[0:1], s[4:5]
	v_lshl_add_u64 v[4:5], v[2:3], 3, s[6:7]
	v_cmp_le_i32_e32 vcc, v10, v0
	v_cmp_gt_i32_e64 s[2:3], s28, v0
	v_cndmask_b32_e64 v2, 0, 1, s[0:1]
	s_and_b64 s[8:9], vcc, s[2:3]
	v_ashrrev_i32_e32 v1, 31, v0
	v_cmp_ne_u32_e64 s[0:1], 1, v2
	s_and_saveexec_b64 s[4:5], s[8:9]
	s_cbranch_execz .LBB250_20
; %bb.17:
	v_pk_mul_f32 v[6:7], v[34:35], s[14:15] op_sel:[0,1] op_sel_hi:[0,0]
	v_pk_fma_f32 v[2:3], v[32:33], s[14:15], v[6:7] op_sel_hi:[0,1,1] neg_lo:[0,0,1] neg_hi:[0,0,1]
	v_pk_fma_f32 v[8:9], v[32:33], s[14:15], v[6:7] op_sel_hi:[0,1,1]
	s_and_b64 vcc, exec, s[0:1]
	v_lshl_add_u64 v[6:7], v[0:1], 3, v[4:5]
	s_cbranch_vccnz .LBB250_19
; %bb.18:
	global_load_dwordx2 v[12:13], v[6:7], off
	s_mov_b32 s8, s13
	v_mov_b32_e32 v3, v9
	s_waitcnt vmcnt(0)
	v_pk_mul_f32 v[8:9], v[12:13], s[8:9] op_sel:[1,0] op_sel_hi:[0,0]
	v_pk_fma_f32 v[14:15], v[12:13], s[12:13], v[8:9] neg_lo:[0,0,1] neg_hi:[0,0,1]
	v_pk_fma_f32 v[8:9], v[12:13], s[12:13], v[8:9] op_sel_hi:[1,0,1]
	s_nop 0
	v_mov_b32_e32 v15, v9
	v_pk_add_f32 v[2:3], v[2:3], v[14:15]
	s_nop 0
	v_mov_b32_e32 v9, v3
.LBB250_19:
	v_mov_b32_e32 v3, v9
	global_store_dwordx2 v[6:7], v[2:3], off
.LBB250_20:
	s_or_b64 exec, exec, s[4:5]
	v_add_u32_e32 v2, 16, v0
	v_cmp_le_i32_e32 vcc, v10, v2
	v_cmp_gt_i32_e64 s[4:5], s28, v2
	s_and_b64 s[16:17], vcc, s[4:5]
	v_ashrrev_i32_e32 v3, 31, v2
	s_and_saveexec_b64 s[8:9], s[16:17]
	s_cbranch_execz .LBB250_24
; %bb.21:
	v_pk_mul_f32 v[8:9], v[30:31], s[14:15] op_sel:[0,1] op_sel_hi:[0,0]
	v_pk_fma_f32 v[6:7], v[28:29], s[14:15], v[8:9] op_sel_hi:[0,1,1] neg_lo:[0,0,1] neg_hi:[0,0,1]
	v_pk_fma_f32 v[8:9], v[28:29], s[14:15], v[8:9] op_sel_hi:[0,1,1]
	s_and_b64 vcc, exec, s[0:1]
	v_lshl_add_u64 v[4:5], v[2:3], 3, v[4:5]
	s_cbranch_vccnz .LBB250_23
; %bb.22:
	global_load_dwordx2 v[12:13], v[4:5], off
	s_mov_b32 s16, s13
	v_mov_b32_e32 v7, v9
	s_waitcnt vmcnt(0)
	v_pk_mul_f32 v[8:9], v[12:13], s[16:17] op_sel:[1,0] op_sel_hi:[0,0]
	v_pk_fma_f32 v[14:15], v[12:13], s[12:13], v[8:9] neg_lo:[0,0,1] neg_hi:[0,0,1]
	v_pk_fma_f32 v[8:9], v[12:13], s[12:13], v[8:9] op_sel_hi:[1,0,1]
	s_nop 0
	v_mov_b32_e32 v15, v9
	v_pk_add_f32 v[6:7], v[6:7], v[14:15]
	s_nop 0
	v_mov_b32_e32 v9, v7
.LBB250_23:
	v_mov_b32_e32 v7, v9
	global_store_dwordx2 v[4:5], v[6:7], off
.LBB250_24:
	s_or_b64 exec, exec, s[8:9]
	v_add_u32_e32 v10, 16, v10
	v_ashrrev_i32_e32 v4, 31, v10
	v_mul_lo_u32 v6, s10, v4
	v_mul_lo_u32 v7, s11, v10
	v_mad_u64_u32 v[4:5], s[8:9], s10, v10, 0
	v_add3_u32 v5, v5, v6, v7
	v_cmp_le_i32_e32 vcc, v10, v0
	v_lshl_add_u64 v[4:5], v[4:5], 3, s[6:7]
	s_and_b64 s[6:7], vcc, s[2:3]
	s_and_saveexec_b64 s[2:3], s[6:7]
	s_cbranch_execz .LBB250_28
; %bb.25:
	v_pk_mul_f32 v[8:9], v[26:27], s[14:15] op_sel:[0,1] op_sel_hi:[0,0]
	v_pk_fma_f32 v[6:7], v[24:25], s[14:15], v[8:9] op_sel_hi:[0,1,1] neg_lo:[0,0,1] neg_hi:[0,0,1]
	v_pk_fma_f32 v[8:9], v[24:25], s[14:15], v[8:9] op_sel_hi:[0,1,1]
	s_and_b64 vcc, exec, s[0:1]
	v_lshl_add_u64 v[0:1], v[0:1], 3, v[4:5]
	s_cbranch_vccnz .LBB250_27
; %bb.26:
	global_load_dwordx2 v[12:13], v[0:1], off
	s_mov_b32 s6, s13
	v_mov_b32_e32 v7, v9
	s_waitcnt vmcnt(0)
	v_pk_mul_f32 v[8:9], v[12:13], s[6:7] op_sel:[1,0] op_sel_hi:[0,0]
	v_pk_fma_f32 v[14:15], v[12:13], s[12:13], v[8:9] neg_lo:[0,0,1] neg_hi:[0,0,1]
	v_pk_fma_f32 v[8:9], v[12:13], s[12:13], v[8:9] op_sel_hi:[1,0,1]
	s_nop 0
	v_mov_b32_e32 v15, v9
	v_pk_add_f32 v[6:7], v[6:7], v[14:15]
	s_nop 0
	v_mov_b32_e32 v9, v7
.LBB250_27:
	v_mov_b32_e32 v7, v9
	global_store_dwordx2 v[0:1], v[6:7], off
.LBB250_28:
	s_or_b64 exec, exec, s[2:3]
	v_cmp_le_i32_e32 vcc, v10, v2
	s_and_b64 s[2:3], vcc, s[4:5]
	s_and_saveexec_b64 s[4:5], s[2:3]
	s_cbranch_execz .LBB250_32
; %bb.29:
	v_pk_mul_f32 v[6:7], v[22:23], s[14:15] op_sel:[0,1] op_sel_hi:[0,0]
	v_pk_fma_f32 v[0:1], v[20:21], s[14:15], v[6:7] op_sel_hi:[0,1,1] neg_lo:[0,0,1] neg_hi:[0,0,1]
	v_pk_fma_f32 v[6:7], v[20:21], s[14:15], v[6:7] op_sel_hi:[0,1,1]
	s_and_b64 vcc, exec, s[0:1]
	v_lshl_add_u64 v[2:3], v[2:3], 3, v[4:5]
	s_cbranch_vccnz .LBB250_31
; %bb.30:
	global_load_dwordx2 v[4:5], v[2:3], off
	s_mov_b32 s0, s13
	v_mov_b32_e32 v1, v7
	s_waitcnt vmcnt(0)
	v_pk_mul_f32 v[6:7], v[4:5], s[0:1] op_sel:[1,0] op_sel_hi:[0,0]
	v_pk_fma_f32 v[8:9], v[4:5], s[12:13], v[6:7] neg_lo:[0,0,1] neg_hi:[0,0,1]
	v_pk_fma_f32 v[4:5], v[4:5], s[12:13], v[6:7] op_sel_hi:[1,0,1]
	s_nop 0
	v_mov_b32_e32 v9, v5
	v_pk_add_f32 v[0:1], v[0:1], v[8:9]
	s_nop 0
	v_mov_b32_e32 v7, v1
.LBB250_31:
	v_mov_b32_e32 v1, v7
	global_store_dwordx2 v[2:3], v[0:1], off
.LBB250_32:
	s_endpgm
	.section	.rodata,"a",@progbits
	.p2align	6, 0x0
	.amdhsa_kernel _ZL29rocblas_internal_gemmt_kernelIlLi16ELi32ELi8ELc67ELc84ELc76ELb1ELb0E19rocblas_complex_numIfES1_PKS1_PS1_EviT_T9_T10_S5_lS7_S5_lS6_T11_S5_li
		.amdhsa_group_segment_fixed_size 4096
		.amdhsa_private_segment_fixed_size 0
		.amdhsa_kernarg_size 108
		.amdhsa_user_sgpr_count 2
		.amdhsa_user_sgpr_dispatch_ptr 0
		.amdhsa_user_sgpr_queue_ptr 0
		.amdhsa_user_sgpr_kernarg_segment_ptr 1
		.amdhsa_user_sgpr_dispatch_id 0
		.amdhsa_user_sgpr_kernarg_preload_length 0
		.amdhsa_user_sgpr_kernarg_preload_offset 0
		.amdhsa_user_sgpr_private_segment_size 0
		.amdhsa_uses_dynamic_stack 0
		.amdhsa_enable_private_segment 0
		.amdhsa_system_sgpr_workgroup_id_x 1
		.amdhsa_system_sgpr_workgroup_id_y 1
		.amdhsa_system_sgpr_workgroup_id_z 1
		.amdhsa_system_sgpr_workgroup_info 0
		.amdhsa_system_vgpr_workitem_id 1
		.amdhsa_next_free_vgpr 53
		.amdhsa_next_free_sgpr 32
		.amdhsa_accum_offset 56
		.amdhsa_reserve_vcc 1
		.amdhsa_float_round_mode_32 0
		.amdhsa_float_round_mode_16_64 0
		.amdhsa_float_denorm_mode_32 3
		.amdhsa_float_denorm_mode_16_64 3
		.amdhsa_dx10_clamp 1
		.amdhsa_ieee_mode 1
		.amdhsa_fp16_overflow 0
		.amdhsa_tg_split 0
		.amdhsa_exception_fp_ieee_invalid_op 0
		.amdhsa_exception_fp_denorm_src 0
		.amdhsa_exception_fp_ieee_div_zero 0
		.amdhsa_exception_fp_ieee_overflow 0
		.amdhsa_exception_fp_ieee_underflow 0
		.amdhsa_exception_fp_ieee_inexact 0
		.amdhsa_exception_int_div_zero 0
	.end_amdhsa_kernel
	.section	.text._ZL29rocblas_internal_gemmt_kernelIlLi16ELi32ELi8ELc67ELc84ELc76ELb1ELb0E19rocblas_complex_numIfES1_PKS1_PS1_EviT_T9_T10_S5_lS7_S5_lS6_T11_S5_li,"axG",@progbits,_ZL29rocblas_internal_gemmt_kernelIlLi16ELi32ELi8ELc67ELc84ELc76ELb1ELb0E19rocblas_complex_numIfES1_PKS1_PS1_EviT_T9_T10_S5_lS7_S5_lS6_T11_S5_li,comdat
.Lfunc_end250:
	.size	_ZL29rocblas_internal_gemmt_kernelIlLi16ELi32ELi8ELc67ELc84ELc76ELb1ELb0E19rocblas_complex_numIfES1_PKS1_PS1_EviT_T9_T10_S5_lS7_S5_lS6_T11_S5_li, .Lfunc_end250-_ZL29rocblas_internal_gemmt_kernelIlLi16ELi32ELi8ELc67ELc84ELc76ELb1ELb0E19rocblas_complex_numIfES1_PKS1_PS1_EviT_T9_T10_S5_lS7_S5_lS6_T11_S5_li
                                        ; -- End function
	.set _ZL29rocblas_internal_gemmt_kernelIlLi16ELi32ELi8ELc67ELc84ELc76ELb1ELb0E19rocblas_complex_numIfES1_PKS1_PS1_EviT_T9_T10_S5_lS7_S5_lS6_T11_S5_li.num_vgpr, 53
	.set _ZL29rocblas_internal_gemmt_kernelIlLi16ELi32ELi8ELc67ELc84ELc76ELb1ELb0E19rocblas_complex_numIfES1_PKS1_PS1_EviT_T9_T10_S5_lS7_S5_lS6_T11_S5_li.num_agpr, 0
	.set _ZL29rocblas_internal_gemmt_kernelIlLi16ELi32ELi8ELc67ELc84ELc76ELb1ELb0E19rocblas_complex_numIfES1_PKS1_PS1_EviT_T9_T10_S5_lS7_S5_lS6_T11_S5_li.numbered_sgpr, 32
	.set _ZL29rocblas_internal_gemmt_kernelIlLi16ELi32ELi8ELc67ELc84ELc76ELb1ELb0E19rocblas_complex_numIfES1_PKS1_PS1_EviT_T9_T10_S5_lS7_S5_lS6_T11_S5_li.num_named_barrier, 0
	.set _ZL29rocblas_internal_gemmt_kernelIlLi16ELi32ELi8ELc67ELc84ELc76ELb1ELb0E19rocblas_complex_numIfES1_PKS1_PS1_EviT_T9_T10_S5_lS7_S5_lS6_T11_S5_li.private_seg_size, 0
	.set _ZL29rocblas_internal_gemmt_kernelIlLi16ELi32ELi8ELc67ELc84ELc76ELb1ELb0E19rocblas_complex_numIfES1_PKS1_PS1_EviT_T9_T10_S5_lS7_S5_lS6_T11_S5_li.uses_vcc, 1
	.set _ZL29rocblas_internal_gemmt_kernelIlLi16ELi32ELi8ELc67ELc84ELc76ELb1ELb0E19rocblas_complex_numIfES1_PKS1_PS1_EviT_T9_T10_S5_lS7_S5_lS6_T11_S5_li.uses_flat_scratch, 0
	.set _ZL29rocblas_internal_gemmt_kernelIlLi16ELi32ELi8ELc67ELc84ELc76ELb1ELb0E19rocblas_complex_numIfES1_PKS1_PS1_EviT_T9_T10_S5_lS7_S5_lS6_T11_S5_li.has_dyn_sized_stack, 0
	.set _ZL29rocblas_internal_gemmt_kernelIlLi16ELi32ELi8ELc67ELc84ELc76ELb1ELb0E19rocblas_complex_numIfES1_PKS1_PS1_EviT_T9_T10_S5_lS7_S5_lS6_T11_S5_li.has_recursion, 0
	.set _ZL29rocblas_internal_gemmt_kernelIlLi16ELi32ELi8ELc67ELc84ELc76ELb1ELb0E19rocblas_complex_numIfES1_PKS1_PS1_EviT_T9_T10_S5_lS7_S5_lS6_T11_S5_li.has_indirect_call, 0
	.section	.AMDGPU.csdata,"",@progbits
; Kernel info:
; codeLenInByte = 2600
; TotalNumSgprs: 38
; NumVgprs: 53
; NumAgprs: 0
; TotalNumVgprs: 53
; ScratchSize: 0
; MemoryBound: 0
; FloatMode: 240
; IeeeMode: 1
; LDSByteSize: 4096 bytes/workgroup (compile time only)
; SGPRBlocks: 4
; VGPRBlocks: 6
; NumSGPRsForWavesPerEU: 38
; NumVGPRsForWavesPerEU: 53
; AccumOffset: 56
; Occupancy: 8
; WaveLimiterHint : 0
; COMPUTE_PGM_RSRC2:SCRATCH_EN: 0
; COMPUTE_PGM_RSRC2:USER_SGPR: 2
; COMPUTE_PGM_RSRC2:TRAP_HANDLER: 0
; COMPUTE_PGM_RSRC2:TGID_X_EN: 1
; COMPUTE_PGM_RSRC2:TGID_Y_EN: 1
; COMPUTE_PGM_RSRC2:TGID_Z_EN: 1
; COMPUTE_PGM_RSRC2:TIDIG_COMP_CNT: 1
; COMPUTE_PGM_RSRC3_GFX90A:ACCUM_OFFSET: 13
; COMPUTE_PGM_RSRC3_GFX90A:TG_SPLIT: 0
	.section	.text._ZL29rocblas_internal_gemmt_kernelIlLi16ELi32ELi8ELc67ELc67ELc76ELb1ELb1E19rocblas_complex_numIfES1_PKS1_PS1_EviT_T9_T10_S5_lS7_S5_lS6_T11_S5_li,"axG",@progbits,_ZL29rocblas_internal_gemmt_kernelIlLi16ELi32ELi8ELc67ELc67ELc76ELb1ELb1E19rocblas_complex_numIfES1_PKS1_PS1_EviT_T9_T10_S5_lS7_S5_lS6_T11_S5_li,comdat
	.globl	_ZL29rocblas_internal_gemmt_kernelIlLi16ELi32ELi8ELc67ELc67ELc76ELb1ELb1E19rocblas_complex_numIfES1_PKS1_PS1_EviT_T9_T10_S5_lS7_S5_lS6_T11_S5_li ; -- Begin function _ZL29rocblas_internal_gemmt_kernelIlLi16ELi32ELi8ELc67ELc67ELc76ELb1ELb1E19rocblas_complex_numIfES1_PKS1_PS1_EviT_T9_T10_S5_lS7_S5_lS6_T11_S5_li
	.p2align	8
	.type	_ZL29rocblas_internal_gemmt_kernelIlLi16ELi32ELi8ELc67ELc67ELc76ELb1ELb1E19rocblas_complex_numIfES1_PKS1_PS1_EviT_T9_T10_S5_lS7_S5_lS6_T11_S5_li,@function
_ZL29rocblas_internal_gemmt_kernelIlLi16ELi32ELi8ELc67ELc67ELc76ELb1ELb1E19rocblas_complex_numIfES1_PKS1_PS1_EviT_T9_T10_S5_lS7_S5_lS6_T11_S5_li: ; @_ZL29rocblas_internal_gemmt_kernelIlLi16ELi32ELi8ELc67ELc67ELc76ELb1ELb1E19rocblas_complex_numIfES1_PKS1_PS1_EviT_T9_T10_S5_lS7_S5_lS6_T11_S5_li
; %bb.0:
	s_load_dwordx2 s[6:7], s[0:1], 0x48
	s_load_dwordx2 s[12:13], s[0:1], 0x10
	s_waitcnt lgkmcnt(0)
	s_and_b32 s5, s7, 0x7fffffff
	s_cmp_eq_u32 s5, 0
	v_cmp_eq_f32_e64 s[8:9], s6, 1.0
	s_cselect_b64 s[14:15], -1, 0
	s_and_b64 s[8:9], s[8:9], s[14:15]
	s_and_b64 vcc, exec, s[8:9]
	s_cbranch_vccnz .LBB251_2
; %bb.1:
	s_mov_b64 s[8:9], -1
	s_load_dwordx2 s[16:17], s[0:1], 0x8
	s_cbranch_execz .LBB251_3
	s_branch .LBB251_4
.LBB251_2:
	s_mov_b64 s[8:9], 0
	s_load_dwordx2 s[16:17], s[0:1], 0x8
.LBB251_3:
	s_waitcnt lgkmcnt(0)
	s_cmp_lg_u64 s[16:17], 0
	v_cmp_neq_f32_e64 s[10:11], s12, 0
	v_cmp_neq_f32_e64 s[18:19], s13, 0
	s_cselect_b64 s[8:9], -1, 0
	s_or_b64 s[10:11], s[10:11], s[18:19]
	s_and_b64 s[8:9], s[8:9], s[10:11]
.LBB251_4:
	s_andn2_b64 vcc, exec, s[8:9]
	s_cbranch_vccnz .LBB251_34
; %bb.5:
	s_load_dword s28, s[0:1], 0x0
	s_lshl_b32 s29, s2, 5
	s_lshl_b32 s5, s3, 5
	v_cmp_eq_f32_e64 s[2:3], s12, 0
	v_cmp_eq_f32_e64 s[8:9], s13, 0
	s_and_b64 s[2:3], s[2:3], s[8:9]
	s_waitcnt lgkmcnt(0)
	v_cmp_lt_i64_e64 s[8:9], s[16:17], 1
	s_or_b64 s[2:3], s[2:3], s[8:9]
	v_and_b32_e32 v11, 0x3ff, v0
	v_bfe_u32 v9, v0, 10, 10
	v_mov_b32_e32 v32, 0
	s_and_b64 vcc, exec, s[2:3]
	v_mov_b32_e32 v34, 0
	v_mov_b32_e32 v28, 0
	;; [unrolled: 1-line block ×7, first 2 shown]
	s_cbranch_vccnz .LBB251_18
; %bb.6:
	s_load_dwordx8 s[20:27], s[0:1], 0x18
	s_load_dwordx4 s[8:11], s[0:1], 0x38
	v_lshl_add_u32 v1, v9, 4, v11
	v_lshrrev_b32_e32 v10, 5, v1
	v_lshrrev_b32_e32 v4, 3, v1
	v_and_b32_e32 v1, 31, v1
	s_waitcnt lgkmcnt(0)
	s_mul_i32 s2, s11, s4
	s_mul_hi_u32 s3, s10, s4
	s_add_i32 s3, s3, s2
	s_mul_i32 s2, s10, s4
	s_lshl_b64 s[2:3], s[2:3], 3
	s_add_u32 s18, s26, s2
	s_addc_u32 s19, s27, s3
	s_mul_i32 s2, s25, s4
	s_mul_hi_u32 s3, s24, s4
	s_add_i32 s3, s3, s2
	s_mul_i32 s2, s24, s4
	s_lshl_b64 s[2:3], s[2:3], 3
	s_add_u32 s20, s20, s2
	v_or_b32_e32 v2, s29, v1
	s_addc_u32 s21, s21, s3
	v_lshlrev_b32_e32 v1, 3, v1
	s_ashr_i32 s26, s29, 31
	v_and_b32_e32 v8, 7, v11
	v_cmp_gt_i32_e64 s[2:3], s28, v2
	v_cmp_le_i32_e64 s[10:11], s28, v2
	v_lshl_or_b32 v21, v10, 8, v1
	v_mul_lo_u32 v1, s23, v2
	v_mad_u64_u32 v[2:3], s[24:25], s22, v2, 0
	s_mul_i32 s22, s22, s26
	v_add3_u32 v3, v3, s22, v1
	v_lshlrev_b32_e32 v1, 3, v8
	v_add_u32_e32 v0, s5, v4
	v_lshl_or_b32 v1, v4, 6, v1
	v_add_u32_e32 v23, 0x800, v1
	v_ashrrev_i32_e32 v1, 31, v0
	v_cmp_gt_i32_e32 vcc, s28, v0
	v_lshl_add_u64 v[14:15], v[0:1], 3, s[18:19]
	v_mov_b32_e32 v0, 0x800
	v_lshl_add_u64 v[12:13], v[2:3], 3, s[20:21]
	v_lshlrev_b32_e32 v25, 3, v11
	v_lshl_add_u32 v27, v9, 6, v0
	v_mov_b32_e32 v17, 0
	s_mov_b64 s[18:19], 0
	s_xor_b64 s[20:21], vcc, -1
	v_mov_b32_e32 v22, 0
	v_mov_b32_e32 v20, 0
	;; [unrolled: 1-line block ×8, first 2 shown]
                                        ; implicit-def: $vgpr18_vgpr19
	s_branch .LBB251_8
.LBB251_7:                              ;   in Loop: Header=BB251_8 Depth=1
	s_or_b64 exec, exec, s[22:23]
	ds_write_b32 v23, v0 offset:4
	s_waitcnt lgkmcnt(0)
	s_barrier
	ds_read2_b64 v[36:39], v25 offset1:16
	ds_read_b128 v[40:43], v27
	ds_read_b128 v[44:47], v27 offset:16
	ds_read_b128 v[4:7], v27 offset:32
	;; [unrolled: 1-line block ×3, first 2 shown]
	s_add_u32 s18, s18, 8
	s_waitcnt lgkmcnt(3)
	v_mul_f32_e32 v16, v41, v37
	v_mul_f32_e32 v29, v40, v37
	v_fma_f32 v16, v40, v36, -v16
	v_fmac_f32_e32 v29, v41, v36
	v_add_f32_e32 v16, v32, v16
	v_add_f32_e32 v52, v34, v29
	ds_read_b128 v[32:35], v27 offset:1024
	v_mul_f32_e32 v29, v41, v39
	v_mul_f32_e32 v31, v40, v39
	v_fma_f32 v29, v40, v38, -v29
	v_fmac_f32_e32 v31, v41, v38
	v_add_f32_e32 v40, v28, v29
	v_add_f32_e32 v41, v30, v31
	ds_read_b128 v[28:31], v27 offset:1040
	s_waitcnt lgkmcnt(1)
	v_mul_f32_e32 v48, v33, v37
	v_fma_f32 v48, v32, v36, -v48
	v_add_f32_e32 v24, v24, v48
	ds_read2_b64 v[48:51], v25 offset0:32 offset1:48
	v_mul_f32_e32 v37, v32, v37
	v_fmac_f32_e32 v37, v33, v36
	v_mul_f32_e32 v36, v33, v39
	v_fma_f32 v36, v32, v38, -v36
	v_mul_f32_e32 v32, v32, v39
	v_fmac_f32_e32 v32, v33, v38
	v_add_f32_e32 v22, v22, v32
	s_waitcnt lgkmcnt(0)
	v_mul_f32_e32 v32, v43, v49
	v_mul_f32_e32 v33, v42, v49
	v_fma_f32 v32, v42, v48, -v32
	v_fmac_f32_e32 v33, v43, v48
	v_add_f32_e32 v20, v20, v36
	v_add_f32_e32 v16, v16, v32
	v_add_f32_e32 v32, v52, v33
	v_mul_f32_e32 v33, v43, v51
	v_mul_f32_e32 v36, v42, v51
	v_fma_f32 v33, v42, v50, -v33
	v_fmac_f32_e32 v36, v43, v50
	v_add_f32_e32 v33, v40, v33
	v_add_f32_e32 v40, v41, v36
	v_mul_f32_e32 v36, v35, v49
	v_add_f32_e32 v26, v26, v37
	v_fma_f32 v36, v34, v48, -v36
	v_mul_f32_e32 v37, v34, v49
	v_fmac_f32_e32 v37, v35, v48
	v_add_f32_e32 v24, v24, v36
	v_mul_f32_e32 v36, v35, v51
	v_add_f32_e32 v26, v26, v37
	v_fma_f32 v41, v34, v50, -v36
	ds_read2_b64 v[36:39], v25 offset0:64 offset1:80
	v_mul_f32_e32 v34, v34, v51
	v_fmac_f32_e32 v34, v35, v50
	v_add_f32_e32 v20, v20, v41
	v_add_f32_e32 v22, v22, v34
	s_waitcnt lgkmcnt(0)
	v_mul_f32_e32 v35, v44, v37
	v_fmac_f32_e32 v35, v45, v36
	v_add_f32_e32 v41, v32, v35
	v_mul_f32_e32 v32, v45, v39
	v_mul_f32_e32 v34, v45, v37
	v_fma_f32 v32, v44, v38, -v32
	v_fma_f32 v34, v44, v36, -v34
	v_add_f32_e32 v42, v33, v32
	v_mul_f32_e32 v32, v29, v37
	v_add_f32_e32 v16, v16, v34
	v_mul_f32_e32 v34, v44, v39
	v_fma_f32 v32, v28, v36, -v32
	v_mul_f32_e32 v33, v28, v37
	v_fmac_f32_e32 v34, v45, v38
	v_fmac_f32_e32 v33, v29, v36
	v_add_f32_e32 v24, v24, v32
	v_mul_f32_e32 v32, v29, v39
	v_add_f32_e32 v40, v40, v34
	v_add_f32_e32 v26, v26, v33
	v_fma_f32 v36, v28, v38, -v32
	ds_read2_b64 v[32:35], v25 offset0:96 offset1:112
	v_mul_f32_e32 v28, v28, v39
	v_fmac_f32_e32 v28, v29, v38
	v_add_f32_e32 v22, v22, v28
	v_add_f32_e32 v20, v20, v36
	s_waitcnt lgkmcnt(0)
	v_mul_f32_e32 v28, v47, v33
	v_mul_f32_e32 v29, v46, v33
	v_fma_f32 v28, v46, v32, -v28
	v_fmac_f32_e32 v29, v47, v32
	v_add_f32_e32 v16, v16, v28
	v_add_f32_e32 v28, v41, v29
	v_mul_f32_e32 v29, v47, v35
	v_mul_f32_e32 v36, v46, v35
	v_fma_f32 v29, v46, v34, -v29
	v_fmac_f32_e32 v36, v47, v34
	v_add_f32_e32 v41, v42, v29
	v_add_f32_e32 v40, v40, v36
	v_mul_f32_e32 v29, v31, v33
	ds_read2_b64 v[36:39], v25 offset0:128 offset1:144
	v_fma_f32 v29, v30, v32, -v29
	v_add_f32_e32 v24, v24, v29
	v_mul_f32_e32 v29, v31, v35
	v_mul_f32_e32 v33, v30, v33
	v_fma_f32 v29, v30, v34, -v29
	v_mul_f32_e32 v30, v30, v35
	v_fmac_f32_e32 v30, v31, v34
	v_add_f32_e32 v22, v22, v30
	s_waitcnt lgkmcnt(0)
	v_mul_f32_e32 v30, v4, v37
	v_add_f32_e32 v20, v20, v29
	v_mul_f32_e32 v29, v5, v37
	v_fmac_f32_e32 v30, v5, v36
	v_fma_f32 v29, v4, v36, -v29
	v_add_f32_e32 v44, v28, v30
	v_mul_f32_e32 v28, v5, v39
	v_fmac_f32_e32 v33, v31, v32
	v_add_f32_e32 v16, v16, v29
	v_fma_f32 v32, v4, v38, -v28
	ds_read_b128 v[28:31], v27 offset:1056
	v_mul_f32_e32 v4, v4, v39
	v_fmac_f32_e32 v4, v5, v38
	v_add_f32_e32 v5, v41, v32
	v_add_f32_e32 v4, v40, v4
	ds_read_b128 v[40:43], v27 offset:1072
	s_waitcnt lgkmcnt(1)
	v_mul_f32_e32 v32, v29, v37
	v_add_f32_e32 v26, v26, v33
	v_fma_f32 v32, v28, v36, -v32
	v_mul_f32_e32 v33, v28, v37
	v_fmac_f32_e32 v33, v29, v36
	v_add_f32_e32 v24, v24, v32
	v_mul_f32_e32 v32, v29, v39
	v_add_f32_e32 v26, v26, v33
	v_fma_f32 v36, v28, v38, -v32
	ds_read2_b64 v[32:35], v25 offset0:160 offset1:176
	v_mul_f32_e32 v28, v28, v39
	v_fmac_f32_e32 v28, v29, v38
	v_add_f32_e32 v22, v22, v28
	v_add_f32_e32 v20, v20, v36
	s_waitcnt lgkmcnt(0)
	v_mul_f32_e32 v28, v7, v33
	v_mul_f32_e32 v29, v6, v33
	v_fma_f32 v28, v6, v32, -v28
	v_fmac_f32_e32 v29, v7, v32
	v_add_f32_e32 v16, v16, v28
	v_add_f32_e32 v28, v44, v29
	v_mul_f32_e32 v29, v7, v35
	v_fma_f32 v29, v6, v34, -v29
	v_mul_f32_e32 v6, v6, v35
	v_fmac_f32_e32 v6, v7, v34
	v_add_f32_e32 v36, v4, v6
	v_mul_f32_e32 v4, v31, v33
	v_add_f32_e32 v29, v5, v29
	v_fma_f32 v4, v30, v32, -v4
	v_mul_f32_e32 v5, v30, v33
	v_fmac_f32_e32 v5, v31, v32
	v_add_f32_e32 v24, v24, v4
	v_mul_f32_e32 v4, v31, v35
	v_add_f32_e32 v26, v26, v5
	v_fma_f32 v32, v30, v34, -v4
	ds_read2_b64 v[4:7], v25 offset0:192 offset1:208
	v_mul_f32_e32 v30, v30, v35
	v_fmac_f32_e32 v30, v31, v34
	v_add_f32_e32 v22, v22, v30
	v_add_f32_e32 v20, v20, v32
	s_waitcnt lgkmcnt(0)
	v_mul_f32_e32 v30, v1, v5
	v_fma_f32 v30, v0, v4, -v30
	v_add_f32_e32 v16, v16, v30
	v_mul_f32_e32 v30, v1, v7
	v_mul_f32_e32 v31, v0, v5
	v_fma_f32 v30, v0, v6, -v30
	v_mul_f32_e32 v0, v0, v7
	v_fmac_f32_e32 v0, v1, v6
	v_add_f32_e32 v0, v36, v0
	ds_read2_b64 v[36:39], v25 offset0:224 offset1:240
	v_fmac_f32_e32 v31, v1, v4
	v_add_f32_e32 v1, v29, v30
	v_mul_f32_e32 v29, v41, v5
	v_fma_f32 v29, v40, v4, -v29
	v_mul_f32_e32 v5, v40, v5
	v_fmac_f32_e32 v5, v41, v4
	v_add_f32_e32 v4, v24, v29
	v_mul_f32_e32 v24, v41, v7
	v_fma_f32 v24, v40, v6, -v24
	v_mul_f32_e32 v7, v40, v7
	v_fmac_f32_e32 v7, v41, v6
	v_add_f32_e32 v6, v20, v24
	s_waitcnt lgkmcnt(0)
	v_mul_f32_e32 v20, v3, v37
	v_fma_f32 v20, v2, v36, -v20
	v_add_f32_e32 v32, v16, v20
	v_mul_f32_e32 v16, v3, v39
	v_add_f32_e32 v7, v22, v7
	v_mul_f32_e32 v22, v2, v37
	v_fma_f32 v16, v2, v38, -v16
	v_mul_f32_e32 v2, v2, v39
	v_add_f32_e32 v28, v28, v31
	v_fmac_f32_e32 v22, v3, v36
	v_fmac_f32_e32 v2, v3, v38
	v_add_f32_e32 v34, v28, v22
	v_add_f32_e32 v28, v1, v16
	;; [unrolled: 1-line block ×3, first 2 shown]
	v_mul_f32_e32 v0, v43, v37
	v_mul_f32_e32 v1, v42, v37
	v_add_f32_e32 v5, v26, v5
	v_fma_f32 v0, v42, v36, -v0
	v_fmac_f32_e32 v1, v43, v36
	v_add_f32_e32 v24, v4, v0
	v_add_f32_e32 v26, v5, v1
	v_mul_f32_e32 v0, v43, v39
	v_mul_f32_e32 v1, v42, v39
	v_fma_f32 v0, v42, v38, -v0
	v_fmac_f32_e32 v1, v43, v38
	s_addc_u32 s19, s19, 0
	v_add_f32_e32 v20, v6, v0
	v_add_f32_e32 v22, v7, v1
	v_mov_b64_e32 v[0:1], s[18:19]
	v_cmp_gt_i64_e32 vcc, s[16:17], v[0:1]
	s_barrier
	s_cbranch_vccz .LBB251_18
.LBB251_8:                              ; =>This Inner Loop Header: Depth=1
	s_mov_b64 s[26:27], s[10:11]
	s_mov_b64 s[22:23], 0
	s_and_saveexec_b64 s[24:25], s[2:3]
	s_cbranch_execnz .LBB251_16
; %bb.9:                                ;   in Loop: Header=BB251_8 Depth=1
	s_or_b64 exec, exec, s[24:25]
	s_and_saveexec_b64 s[24:25], s[26:27]
	s_xor_b64 s[24:25], exec, s[24:25]
	s_cbranch_execnz .LBB251_17
.LBB251_10:                             ;   in Loop: Header=BB251_8 Depth=1
	s_or_b64 exec, exec, s[24:25]
	v_mov_b32_e32 v0, 0
	s_and_saveexec_b64 s[24:25], s[22:23]
	s_cbranch_execz .LBB251_12
.LBB251_11:                             ;   in Loop: Header=BB251_8 Depth=1
	v_lshl_add_u64 v[0:1], v[18:19], 3, v[12:13]
	global_load_dwordx2 v[2:3], v[0:1], off
	s_waitcnt vmcnt(0)
	v_xor_b32_e32 v0, 0x80000000, v3
	ds_write_b32 v21, v2
.LBB251_12:                             ;   in Loop: Header=BB251_8 Depth=1
	s_or_b64 exec, exec, s[24:25]
	v_add_u32_e32 v16, s18, v8
	v_cmp_le_u64_e32 vcc, s[16:17], v[16:17]
	s_or_b64 s[22:23], vcc, s[20:21]
	ds_write_b32 v21, v0 offset:4
	s_and_saveexec_b64 s[24:25], s[22:23]
	s_xor_b64 s[22:23], exec, s[24:25]
; %bb.13:                               ;   in Loop: Header=BB251_8 Depth=1
	ds_write_b32 v23, v17
; %bb.14:                               ;   in Loop: Header=BB251_8 Depth=1
	s_or_saveexec_b64 s[22:23], s[22:23]
	v_mov_b32_e32 v0, 0
	s_xor_b64 exec, exec, s[22:23]
	s_cbranch_execz .LBB251_7
; %bb.15:                               ;   in Loop: Header=BB251_8 Depth=1
	v_mad_u64_u32 v[0:1], s[24:25], s8, v16, 0
	v_mov_b32_e32 v2, v1
	v_mad_u64_u32 v[2:3], s[24:25], s9, v16, v[2:3]
	v_mov_b32_e32 v1, v2
	v_lshl_add_u64 v[0:1], v[0:1], 3, v[14:15]
	global_load_dwordx2 v[2:3], v[0:1], off
	s_waitcnt vmcnt(0)
	v_xor_b32_e32 v0, 0x80000000, v3
	ds_write_b32 v23, v2
	s_branch .LBB251_7
.LBB251_16:                             ;   in Loop: Header=BB251_8 Depth=1
	v_add_u32_e32 v16, s18, v10
	v_cmp_le_u64_e32 vcc, s[16:17], v[16:17]
	s_andn2_b64 s[26:27], s[10:11], exec
	s_and_b64 s[30:31], vcc, exec
	s_mov_b64 s[22:23], exec
	s_or_b64 s[26:27], s[26:27], s[30:31]
	v_mov_b64_e32 v[18:19], v[16:17]
	s_or_b64 exec, exec, s[24:25]
	s_and_saveexec_b64 s[24:25], s[26:27]
	s_xor_b64 s[24:25], exec, s[24:25]
	s_cbranch_execz .LBB251_10
.LBB251_17:                             ;   in Loop: Header=BB251_8 Depth=1
	ds_write_b32 v21, v17
	s_andn2_b64 s[22:23], s[22:23], exec
	s_or_b64 exec, exec, s[24:25]
	v_mov_b32_e32 v0, 0
	s_and_saveexec_b64 s[24:25], s[22:23]
	s_cbranch_execnz .LBB251_11
	s_branch .LBB251_12
.LBB251_18:
	s_load_dwordx2 s[2:3], s[0:1], 0x60
	s_load_dwordx4 s[8:11], s[0:1], 0x50
	v_add_u32_e32 v10, s5, v9
	v_ashrrev_i32_e32 v1, 31, v10
	v_add_u32_e32 v0, s29, v11
	s_waitcnt lgkmcnt(0)
	s_mul_i32 s1, s3, s4
	s_mul_hi_u32 s3, s2, s4
	s_mul_i32 s0, s2, s4
	s_add_i32 s1, s3, s1
	s_lshl_b64 s[0:1], s[0:1], 3
	s_add_u32 s8, s8, s0
	s_addc_u32 s9, s9, s1
	v_cmp_neq_f32_e64 s[0:1], s6, 0
	s_xor_b64 s[4:5], s[14:15], -1
	v_mul_lo_u32 v1, s10, v1
	v_mul_lo_u32 v4, s11, v10
	v_mad_u64_u32 v[2:3], s[2:3], s10, v10, 0
	v_add3_u32 v3, v3, v1, v4
	s_or_b64 s[0:1], s[0:1], s[4:5]
	v_lshl_add_u64 v[4:5], v[2:3], 3, s[8:9]
	v_cmp_le_i32_e32 vcc, v10, v0
	v_cmp_gt_i32_e64 s[2:3], s28, v0
	v_cndmask_b32_e64 v2, 0, 1, s[0:1]
	s_and_b64 s[14:15], vcc, s[2:3]
	v_ashrrev_i32_e32 v1, 31, v0
	v_cmp_ne_u32_e64 s[0:1], 1, v2
	s_and_saveexec_b64 s[4:5], s[14:15]
	s_cbranch_execz .LBB251_22
; %bb.19:
	v_pk_mul_f32 v[6:7], v[34:35], s[12:13] op_sel:[0,1] op_sel_hi:[0,0]
	v_pk_fma_f32 v[2:3], v[32:33], s[12:13], v[6:7] op_sel_hi:[0,1,1] neg_lo:[0,0,1] neg_hi:[0,0,1]
	v_pk_fma_f32 v[8:9], v[32:33], s[12:13], v[6:7] op_sel_hi:[0,1,1]
	s_and_b64 vcc, exec, s[0:1]
	v_lshl_add_u64 v[6:7], v[0:1], 3, v[4:5]
	s_cbranch_vccnz .LBB251_21
; %bb.20:
	global_load_dwordx2 v[12:13], v[6:7], off
	s_mov_b32 s14, s7
	v_mov_b32_e32 v3, v9
	s_waitcnt vmcnt(0)
	v_pk_mul_f32 v[8:9], v[12:13], s[14:15] op_sel:[1,0] op_sel_hi:[0,0]
	v_pk_fma_f32 v[14:15], v[12:13], s[6:7], v[8:9] neg_lo:[0,0,1] neg_hi:[0,0,1]
	v_pk_fma_f32 v[8:9], v[12:13], s[6:7], v[8:9] op_sel_hi:[1,0,1]
	s_nop 0
	v_mov_b32_e32 v15, v9
	v_pk_add_f32 v[2:3], v[2:3], v[14:15]
	s_nop 0
	v_mov_b32_e32 v9, v3
.LBB251_21:
	v_mov_b32_e32 v3, v9
	global_store_dwordx2 v[6:7], v[2:3], off
.LBB251_22:
	s_or_b64 exec, exec, s[4:5]
	v_add_u32_e32 v2, 16, v0
	v_cmp_le_i32_e32 vcc, v10, v2
	v_cmp_gt_i32_e64 s[4:5], s28, v2
	s_and_b64 s[16:17], vcc, s[4:5]
	v_ashrrev_i32_e32 v3, 31, v2
	s_and_saveexec_b64 s[14:15], s[16:17]
	s_cbranch_execz .LBB251_26
; %bb.23:
	v_pk_mul_f32 v[8:9], v[30:31], s[12:13] op_sel:[0,1] op_sel_hi:[0,0]
	v_pk_fma_f32 v[6:7], v[28:29], s[12:13], v[8:9] op_sel_hi:[0,1,1] neg_lo:[0,0,1] neg_hi:[0,0,1]
	v_pk_fma_f32 v[8:9], v[28:29], s[12:13], v[8:9] op_sel_hi:[0,1,1]
	s_and_b64 vcc, exec, s[0:1]
	v_lshl_add_u64 v[4:5], v[2:3], 3, v[4:5]
	s_cbranch_vccnz .LBB251_25
; %bb.24:
	global_load_dwordx2 v[12:13], v[4:5], off
	s_mov_b32 s16, s7
	v_mov_b32_e32 v7, v9
	s_waitcnt vmcnt(0)
	v_pk_mul_f32 v[8:9], v[12:13], s[16:17] op_sel:[1,0] op_sel_hi:[0,0]
	v_pk_fma_f32 v[14:15], v[12:13], s[6:7], v[8:9] neg_lo:[0,0,1] neg_hi:[0,0,1]
	v_pk_fma_f32 v[8:9], v[12:13], s[6:7], v[8:9] op_sel_hi:[1,0,1]
	s_nop 0
	v_mov_b32_e32 v15, v9
	v_pk_add_f32 v[6:7], v[6:7], v[14:15]
	s_nop 0
	v_mov_b32_e32 v9, v7
.LBB251_25:
	v_mov_b32_e32 v7, v9
	global_store_dwordx2 v[4:5], v[6:7], off
.LBB251_26:
	s_or_b64 exec, exec, s[14:15]
	v_add_u32_e32 v10, 16, v10
	v_ashrrev_i32_e32 v4, 31, v10
	v_mul_lo_u32 v6, s10, v4
	v_mul_lo_u32 v7, s11, v10
	v_mad_u64_u32 v[4:5], s[10:11], s10, v10, 0
	v_add3_u32 v5, v5, v6, v7
	v_cmp_le_i32_e32 vcc, v10, v0
	v_lshl_add_u64 v[4:5], v[4:5], 3, s[8:9]
	s_and_b64 s[8:9], vcc, s[2:3]
	s_and_saveexec_b64 s[2:3], s[8:9]
	s_cbranch_execz .LBB251_30
; %bb.27:
	v_pk_mul_f32 v[8:9], v[26:27], s[12:13] op_sel:[0,1] op_sel_hi:[0,0]
	v_pk_fma_f32 v[6:7], v[24:25], s[12:13], v[8:9] op_sel_hi:[0,1,1] neg_lo:[0,0,1] neg_hi:[0,0,1]
	v_pk_fma_f32 v[8:9], v[24:25], s[12:13], v[8:9] op_sel_hi:[0,1,1]
	s_and_b64 vcc, exec, s[0:1]
	v_lshl_add_u64 v[0:1], v[0:1], 3, v[4:5]
	s_cbranch_vccnz .LBB251_29
; %bb.28:
	global_load_dwordx2 v[12:13], v[0:1], off
	s_mov_b32 s8, s7
	v_mov_b32_e32 v7, v9
	s_waitcnt vmcnt(0)
	v_pk_mul_f32 v[8:9], v[12:13], s[8:9] op_sel:[1,0] op_sel_hi:[0,0]
	v_pk_fma_f32 v[14:15], v[12:13], s[6:7], v[8:9] neg_lo:[0,0,1] neg_hi:[0,0,1]
	v_pk_fma_f32 v[8:9], v[12:13], s[6:7], v[8:9] op_sel_hi:[1,0,1]
	s_nop 0
	v_mov_b32_e32 v15, v9
	v_pk_add_f32 v[6:7], v[6:7], v[14:15]
	s_nop 0
	v_mov_b32_e32 v9, v7
.LBB251_29:
	v_mov_b32_e32 v7, v9
	global_store_dwordx2 v[0:1], v[6:7], off
.LBB251_30:
	s_or_b64 exec, exec, s[2:3]
	v_cmp_le_i32_e32 vcc, v10, v2
	s_and_b64 s[2:3], vcc, s[4:5]
	s_and_saveexec_b64 s[4:5], s[2:3]
	s_cbranch_execz .LBB251_34
; %bb.31:
	v_pk_mul_f32 v[6:7], v[22:23], s[12:13] op_sel:[0,1] op_sel_hi:[0,0]
	v_pk_fma_f32 v[0:1], v[20:21], s[12:13], v[6:7] op_sel_hi:[0,1,1] neg_lo:[0,0,1] neg_hi:[0,0,1]
	v_pk_fma_f32 v[6:7], v[20:21], s[12:13], v[6:7] op_sel_hi:[0,1,1]
	s_and_b64 vcc, exec, s[0:1]
	v_lshl_add_u64 v[2:3], v[2:3], 3, v[4:5]
	s_cbranch_vccnz .LBB251_33
; %bb.32:
	global_load_dwordx2 v[4:5], v[2:3], off
	s_mov_b32 s0, s7
	v_mov_b32_e32 v1, v7
	s_waitcnt vmcnt(0)
	v_pk_mul_f32 v[6:7], v[4:5], s[0:1] op_sel:[1,0] op_sel_hi:[0,0]
	v_pk_fma_f32 v[8:9], v[4:5], s[6:7], v[6:7] neg_lo:[0,0,1] neg_hi:[0,0,1]
	v_pk_fma_f32 v[4:5], v[4:5], s[6:7], v[6:7] op_sel_hi:[1,0,1]
	s_nop 0
	v_mov_b32_e32 v9, v5
	v_pk_add_f32 v[0:1], v[0:1], v[8:9]
	s_nop 0
	v_mov_b32_e32 v7, v1
.LBB251_33:
	v_mov_b32_e32 v1, v7
	global_store_dwordx2 v[2:3], v[0:1], off
.LBB251_34:
	s_endpgm
	.section	.rodata,"a",@progbits
	.p2align	6, 0x0
	.amdhsa_kernel _ZL29rocblas_internal_gemmt_kernelIlLi16ELi32ELi8ELc67ELc67ELc76ELb1ELb1E19rocblas_complex_numIfES1_PKS1_PS1_EviT_T9_T10_S5_lS7_S5_lS6_T11_S5_li
		.amdhsa_group_segment_fixed_size 4096
		.amdhsa_private_segment_fixed_size 0
		.amdhsa_kernarg_size 108
		.amdhsa_user_sgpr_count 2
		.amdhsa_user_sgpr_dispatch_ptr 0
		.amdhsa_user_sgpr_queue_ptr 0
		.amdhsa_user_sgpr_kernarg_segment_ptr 1
		.amdhsa_user_sgpr_dispatch_id 0
		.amdhsa_user_sgpr_kernarg_preload_length 0
		.amdhsa_user_sgpr_kernarg_preload_offset 0
		.amdhsa_user_sgpr_private_segment_size 0
		.amdhsa_uses_dynamic_stack 0
		.amdhsa_enable_private_segment 0
		.amdhsa_system_sgpr_workgroup_id_x 1
		.amdhsa_system_sgpr_workgroup_id_y 1
		.amdhsa_system_sgpr_workgroup_id_z 1
		.amdhsa_system_sgpr_workgroup_info 0
		.amdhsa_system_vgpr_workitem_id 1
		.amdhsa_next_free_vgpr 53
		.amdhsa_next_free_sgpr 32
		.amdhsa_accum_offset 56
		.amdhsa_reserve_vcc 1
		.amdhsa_float_round_mode_32 0
		.amdhsa_float_round_mode_16_64 0
		.amdhsa_float_denorm_mode_32 3
		.amdhsa_float_denorm_mode_16_64 3
		.amdhsa_dx10_clamp 1
		.amdhsa_ieee_mode 1
		.amdhsa_fp16_overflow 0
		.amdhsa_tg_split 0
		.amdhsa_exception_fp_ieee_invalid_op 0
		.amdhsa_exception_fp_denorm_src 0
		.amdhsa_exception_fp_ieee_div_zero 0
		.amdhsa_exception_fp_ieee_overflow 0
		.amdhsa_exception_fp_ieee_underflow 0
		.amdhsa_exception_fp_ieee_inexact 0
		.amdhsa_exception_int_div_zero 0
	.end_amdhsa_kernel
	.section	.text._ZL29rocblas_internal_gemmt_kernelIlLi16ELi32ELi8ELc67ELc67ELc76ELb1ELb1E19rocblas_complex_numIfES1_PKS1_PS1_EviT_T9_T10_S5_lS7_S5_lS6_T11_S5_li,"axG",@progbits,_ZL29rocblas_internal_gemmt_kernelIlLi16ELi32ELi8ELc67ELc67ELc76ELb1ELb1E19rocblas_complex_numIfES1_PKS1_PS1_EviT_T9_T10_S5_lS7_S5_lS6_T11_S5_li,comdat
.Lfunc_end251:
	.size	_ZL29rocblas_internal_gemmt_kernelIlLi16ELi32ELi8ELc67ELc67ELc76ELb1ELb1E19rocblas_complex_numIfES1_PKS1_PS1_EviT_T9_T10_S5_lS7_S5_lS6_T11_S5_li, .Lfunc_end251-_ZL29rocblas_internal_gemmt_kernelIlLi16ELi32ELi8ELc67ELc67ELc76ELb1ELb1E19rocblas_complex_numIfES1_PKS1_PS1_EviT_T9_T10_S5_lS7_S5_lS6_T11_S5_li
                                        ; -- End function
	.set _ZL29rocblas_internal_gemmt_kernelIlLi16ELi32ELi8ELc67ELc67ELc76ELb1ELb1E19rocblas_complex_numIfES1_PKS1_PS1_EviT_T9_T10_S5_lS7_S5_lS6_T11_S5_li.num_vgpr, 53
	.set _ZL29rocblas_internal_gemmt_kernelIlLi16ELi32ELi8ELc67ELc67ELc76ELb1ELb1E19rocblas_complex_numIfES1_PKS1_PS1_EviT_T9_T10_S5_lS7_S5_lS6_T11_S5_li.num_agpr, 0
	.set _ZL29rocblas_internal_gemmt_kernelIlLi16ELi32ELi8ELc67ELc67ELc76ELb1ELb1E19rocblas_complex_numIfES1_PKS1_PS1_EviT_T9_T10_S5_lS7_S5_lS6_T11_S5_li.numbered_sgpr, 32
	.set _ZL29rocblas_internal_gemmt_kernelIlLi16ELi32ELi8ELc67ELc67ELc76ELb1ELb1E19rocblas_complex_numIfES1_PKS1_PS1_EviT_T9_T10_S5_lS7_S5_lS6_T11_S5_li.num_named_barrier, 0
	.set _ZL29rocblas_internal_gemmt_kernelIlLi16ELi32ELi8ELc67ELc67ELc76ELb1ELb1E19rocblas_complex_numIfES1_PKS1_PS1_EviT_T9_T10_S5_lS7_S5_lS6_T11_S5_li.private_seg_size, 0
	.set _ZL29rocblas_internal_gemmt_kernelIlLi16ELi32ELi8ELc67ELc67ELc76ELb1ELb1E19rocblas_complex_numIfES1_PKS1_PS1_EviT_T9_T10_S5_lS7_S5_lS6_T11_S5_li.uses_vcc, 1
	.set _ZL29rocblas_internal_gemmt_kernelIlLi16ELi32ELi8ELc67ELc67ELc76ELb1ELb1E19rocblas_complex_numIfES1_PKS1_PS1_EviT_T9_T10_S5_lS7_S5_lS6_T11_S5_li.uses_flat_scratch, 0
	.set _ZL29rocblas_internal_gemmt_kernelIlLi16ELi32ELi8ELc67ELc67ELc76ELb1ELb1E19rocblas_complex_numIfES1_PKS1_PS1_EviT_T9_T10_S5_lS7_S5_lS6_T11_S5_li.has_dyn_sized_stack, 0
	.set _ZL29rocblas_internal_gemmt_kernelIlLi16ELi32ELi8ELc67ELc67ELc76ELb1ELb1E19rocblas_complex_numIfES1_PKS1_PS1_EviT_T9_T10_S5_lS7_S5_lS6_T11_S5_li.has_recursion, 0
	.set _ZL29rocblas_internal_gemmt_kernelIlLi16ELi32ELi8ELc67ELc67ELc76ELb1ELb1E19rocblas_complex_numIfES1_PKS1_PS1_EviT_T9_T10_S5_lS7_S5_lS6_T11_S5_li.has_indirect_call, 0
	.section	.AMDGPU.csdata,"",@progbits
; Kernel info:
; codeLenInByte = 2676
; TotalNumSgprs: 38
; NumVgprs: 53
; NumAgprs: 0
; TotalNumVgprs: 53
; ScratchSize: 0
; MemoryBound: 0
; FloatMode: 240
; IeeeMode: 1
; LDSByteSize: 4096 bytes/workgroup (compile time only)
; SGPRBlocks: 4
; VGPRBlocks: 6
; NumSGPRsForWavesPerEU: 38
; NumVGPRsForWavesPerEU: 53
; AccumOffset: 56
; Occupancy: 8
; WaveLimiterHint : 0
; COMPUTE_PGM_RSRC2:SCRATCH_EN: 0
; COMPUTE_PGM_RSRC2:USER_SGPR: 2
; COMPUTE_PGM_RSRC2:TRAP_HANDLER: 0
; COMPUTE_PGM_RSRC2:TGID_X_EN: 1
; COMPUTE_PGM_RSRC2:TGID_Y_EN: 1
; COMPUTE_PGM_RSRC2:TGID_Z_EN: 1
; COMPUTE_PGM_RSRC2:TIDIG_COMP_CNT: 1
; COMPUTE_PGM_RSRC3_GFX90A:ACCUM_OFFSET: 13
; COMPUTE_PGM_RSRC3_GFX90A:TG_SPLIT: 0
	.section	.text._ZL29rocblas_internal_gemmt_kernelIlLi16ELi32ELi8ELc78ELc78ELc85ELb0ELb0E19rocblas_complex_numIdEPKS1_S3_PS1_EviT_T9_T10_S5_lS7_S5_lS6_T11_S5_li,"axG",@progbits,_ZL29rocblas_internal_gemmt_kernelIlLi16ELi32ELi8ELc78ELc78ELc85ELb0ELb0E19rocblas_complex_numIdEPKS1_S3_PS1_EviT_T9_T10_S5_lS7_S5_lS6_T11_S5_li,comdat
	.globl	_ZL29rocblas_internal_gemmt_kernelIlLi16ELi32ELi8ELc78ELc78ELc85ELb0ELb0E19rocblas_complex_numIdEPKS1_S3_PS1_EviT_T9_T10_S5_lS7_S5_lS6_T11_S5_li ; -- Begin function _ZL29rocblas_internal_gemmt_kernelIlLi16ELi32ELi8ELc78ELc78ELc85ELb0ELb0E19rocblas_complex_numIdEPKS1_S3_PS1_EviT_T9_T10_S5_lS7_S5_lS6_T11_S5_li
	.p2align	8
	.type	_ZL29rocblas_internal_gemmt_kernelIlLi16ELi32ELi8ELc78ELc78ELc85ELb0ELb0E19rocblas_complex_numIdEPKS1_S3_PS1_EviT_T9_T10_S5_lS7_S5_lS6_T11_S5_li,@function
_ZL29rocblas_internal_gemmt_kernelIlLi16ELi32ELi8ELc78ELc78ELc85ELb0ELb0E19rocblas_complex_numIdEPKS1_S3_PS1_EviT_T9_T10_S5_lS7_S5_lS6_T11_S5_li: ; @_ZL29rocblas_internal_gemmt_kernelIlLi16ELi32ELi8ELc78ELc78ELc85ELb0ELb0E19rocblas_complex_numIdEPKS1_S3_PS1_EviT_T9_T10_S5_lS7_S5_lS6_T11_S5_li
; %bb.0:
	s_load_dwordx8 s[24:31], s[0:1], 0x48
	s_load_dwordx16 s[8:23], s[0:1], 0x8
	s_waitcnt lgkmcnt(0)
	s_load_dwordx4 s[36:39], s[24:25], 0x0
	s_load_dwordx4 s[40:43], s[10:11], 0x0
	s_mov_b64 s[24:25], 0
	s_waitcnt lgkmcnt(0)
	v_cmp_eq_f64_e64 s[10:11], s[36:37], 1.0
	v_cmp_eq_f64_e64 s[6:7], s[38:39], 0
	s_and_b64 s[10:11], s[10:11], s[6:7]
	s_andn2_b64 vcc, exec, s[10:11]
	s_mov_b64 s[10:11], -1
	s_cbranch_vccnz .LBB252_4
; %bb.1:
	s_cmp_lg_u64 s[8:9], 0
	s_cbranch_scc0 .LBB252_3
; %bb.2:
	v_cmp_neq_f64_e64 s[10:11], s[40:41], 0
	v_cmp_neq_f64_e64 s[24:25], s[42:43], 0
	s_or_b64 s[24:25], s[10:11], s[24:25]
.LBB252_3:
	s_mov_b64 s[10:11], s[24:25]
.LBB252_4:
	s_and_b64 vcc, exec, s[10:11]
	s_cbranch_vccz .LBB252_34
; %bb.5:
	s_load_dword s24, s[0:1], 0x0
	s_lshl_b32 s25, s2, 5
	s_lshl_b32 s33, s3, 5
	v_cmp_eq_f64_e64 s[0:1], s[40:41], 0
	v_cmp_eq_f64_e64 s[2:3], s[42:43], 0
	s_and_b64 s[0:1], s[0:1], s[2:3]
	v_cmp_lt_i64_e64 s[2:3], s[8:9], 1
	s_or_b64 s[0:1], s[0:1], s[2:3]
	v_and_b32_e32 v1, 0x3ff, v0
	v_bfe_u32 v3, v0, 10, 10
	v_mov_b64_e32 v[24:25], 0
	s_and_b64 vcc, exec, s[0:1]
	v_mov_b64_e32 v[26:27], 0
	v_mov_b64_e32 v[16:17], 0
	;; [unrolled: 1-line block ×7, first 2 shown]
	s_cbranch_vccnz .LBB252_18
; %bb.6:
	s_mul_i32 s0, s23, s4
	s_mul_hi_u32 s1, s22, s4
	s_add_i32 s1, s1, s0
	s_mul_i32 s0, s22, s4
	s_lshl_b64 s[0:1], s[0:1], 4
	s_add_u32 s10, s18, s0
	s_addc_u32 s11, s19, s1
	s_mul_i32 s0, s17, s4
	s_mul_hi_u32 s1, s16, s4
	v_lshl_add_u32 v4, v3, 4, v1
	v_and_b32_e32 v0, 7, v1
	s_add_i32 s1, s1, s0
	s_mul_i32 s0, s16, s4
	v_lshrrev_b32_e32 v6, 3, v4
	v_and_b32_e32 v5, 31, v4
	s_lshl_b64 s[0:1], s[0:1], 4
	v_lshlrev_b32_e32 v8, 4, v0
	v_lshrrev_b32_e32 v2, 5, v4
	v_add_u32_e32 v7, s33, v6
	v_or_b32_e32 v4, s25, v5
	s_add_u32 s12, s12, s0
	v_lshlrev_b32_e32 v5, 4, v5
	v_lshl_or_b32 v6, v6, 7, v8
	s_addc_u32 s13, s13, s1
	v_lshl_or_b32 v28, v2, 9, v5
	v_ashrrev_i32_e32 v5, 31, v4
	v_add_u32_e32 v29, 0x1000, v6
	v_ashrrev_i32_e32 v6, 31, v7
	s_waitcnt lgkmcnt(0)
	v_cmp_gt_i32_e64 s[0:1], s24, v4
	v_cmp_le_i32_e64 s[2:3], s24, v4
	v_lshl_add_u64 v[4:5], v[4:5], 4, s[12:13]
	v_cmp_gt_i32_e32 vcc, s24, v7
	v_mul_lo_u32 v8, s20, v6
	v_mul_lo_u32 v9, s21, v7
	v_mad_u64_u32 v[6:7], s[12:13], s20, v7, 0
	v_add3_u32 v7, v7, v8, v9
	v_mov_b32_e32 v8, 0x1000
	v_mov_b32_e32 v9, 0
	v_lshl_add_u64 v[6:7], v[6:7], 4, s[10:11]
	v_lshlrev_b32_e32 v30, 4, v1
	v_lshl_add_u32 v31, v3, 7, v8
	v_mov_b64_e32 v[12:13], 0
	s_mov_b64 s[10:11], 0
	s_xor_b64 s[12:13], vcc, -1
	v_mov_b32_e32 v32, v9
	v_mov_b32_e32 v33, v9
	;; [unrolled: 1-line block ×4, first 2 shown]
	v_mov_b64_e32 v[14:15], 0
	v_mov_b64_e32 v[22:23], 0
	;; [unrolled: 1-line block ×7, first 2 shown]
                                        ; implicit-def: $vgpr10_vgpr11
	s_branch .LBB252_8
.LBB252_7:                              ;   in Loop: Header=BB252_8 Depth=1
	s_or_b64 exec, exec, s[16:17]
	s_waitcnt lgkmcnt(0)
	s_barrier
	ds_read_b128 v[36:39], v31
	ds_read_b128 v[40:43], v31 offset:16
	ds_read_b128 v[44:47], v31 offset:32
	;; [unrolled: 1-line block ×3, first 2 shown]
	ds_read_b128 v[52:55], v30
	s_add_u32 s10, s10, 8
	s_addc_u32 s11, s11, 0
	s_waitcnt lgkmcnt(0)
	v_mul_f64 v[56:57], v[38:39], v[54:55]
	v_mul_f64 v[58:59], v[36:37], v[54:55]
	v_fma_f64 v[56:57], v[36:37], v[52:53], -v[56:57]
	v_fmac_f64_e32 v[58:59], v[38:39], v[52:53]
	v_add_f64 v[56:57], v[24:25], v[56:57]
	v_add_f64 v[58:59], v[58:59], v[26:27]
	ds_read_b128 v[24:27], v30 offset:256
	s_waitcnt lgkmcnt(0)
	v_mul_f64 v[60:61], v[38:39], v[26:27]
	v_fma_f64 v[60:61], v[36:37], v[24:25], -v[60:61]
	v_mul_f64 v[36:37], v[36:37], v[26:27]
	v_fmac_f64_e32 v[36:37], v[38:39], v[24:25]
	v_add_f64 v[38:39], v[16:17], v[60:61]
	v_add_f64 v[36:37], v[36:37], v[18:19]
	ds_read_b128 v[16:19], v31 offset:2048
	s_waitcnt lgkmcnt(0)
	v_mul_f64 v[60:61], v[18:19], v[54:55]
	v_fma_f64 v[60:61], v[16:17], v[52:53], -v[60:61]
	v_mul_f64 v[54:55], v[16:17], v[54:55]
	v_fmac_f64_e32 v[54:55], v[18:19], v[52:53]
	v_add_f64 v[52:53], v[20:21], v[60:61]
	v_mul_f64 v[20:21], v[18:19], v[26:27]
	v_fma_f64 v[20:21], v[16:17], v[24:25], -v[20:21]
	v_mul_f64 v[16:17], v[16:17], v[26:27]
	v_fmac_f64_e32 v[16:17], v[18:19], v[24:25]
	v_add_f64 v[24:25], v[14:15], v[20:21]
	v_add_f64 v[26:27], v[16:17], v[12:13]
	ds_read_b128 v[12:15], v30 offset:512
	v_add_f64 v[54:55], v[54:55], v[22:23]
	s_waitcnt lgkmcnt(0)
	v_mul_f64 v[16:17], v[42:43], v[14:15]
	v_mul_f64 v[18:19], v[40:41], v[14:15]
	v_fma_f64 v[16:17], v[40:41], v[12:13], -v[16:17]
	v_fmac_f64_e32 v[18:19], v[42:43], v[12:13]
	v_add_f64 v[56:57], v[56:57], v[16:17]
	v_add_f64 v[58:59], v[18:19], v[58:59]
	ds_read_b128 v[16:19], v30 offset:768
	s_waitcnt lgkmcnt(0)
	v_mul_f64 v[20:21], v[42:43], v[18:19]
	v_mul_f64 v[22:23], v[40:41], v[18:19]
	v_fma_f64 v[20:21], v[40:41], v[16:17], -v[20:21]
	v_fmac_f64_e32 v[22:23], v[42:43], v[16:17]
	v_add_f64 v[38:39], v[38:39], v[20:21]
	v_add_f64 v[36:37], v[22:23], v[36:37]
	ds_read_b128 v[20:23], v31 offset:2064
	s_waitcnt lgkmcnt(0)
	v_mul_f64 v[40:41], v[22:23], v[14:15]
	v_mul_f64 v[14:15], v[20:21], v[14:15]
	v_fmac_f64_e32 v[14:15], v[22:23], v[12:13]
	v_fma_f64 v[40:41], v[20:21], v[12:13], -v[40:41]
	v_add_f64 v[42:43], v[14:15], v[54:55]
	v_mul_f64 v[12:13], v[22:23], v[18:19]
	v_mul_f64 v[14:15], v[20:21], v[18:19]
	v_fma_f64 v[12:13], v[20:21], v[16:17], -v[12:13]
	v_fmac_f64_e32 v[14:15], v[22:23], v[16:17]
	v_add_f64 v[24:25], v[24:25], v[12:13]
	v_add_f64 v[26:27], v[14:15], v[26:27]
	ds_read_b128 v[12:15], v30 offset:1024
	v_add_f64 v[40:41], v[52:53], v[40:41]
	s_waitcnt lgkmcnt(0)
	v_mul_f64 v[16:17], v[46:47], v[14:15]
	v_mul_f64 v[18:19], v[44:45], v[14:15]
	v_fma_f64 v[16:17], v[44:45], v[12:13], -v[16:17]
	v_fmac_f64_e32 v[18:19], v[46:47], v[12:13]
	v_add_f64 v[52:53], v[56:57], v[16:17]
	v_add_f64 v[54:55], v[18:19], v[58:59]
	ds_read_b128 v[16:19], v30 offset:1280
	s_waitcnt lgkmcnt(0)
	v_mul_f64 v[20:21], v[46:47], v[18:19]
	v_mul_f64 v[22:23], v[44:45], v[18:19]
	v_fma_f64 v[20:21], v[44:45], v[16:17], -v[20:21]
	v_fmac_f64_e32 v[22:23], v[46:47], v[16:17]
	v_add_f64 v[38:39], v[38:39], v[20:21]
	v_add_f64 v[36:37], v[22:23], v[36:37]
	ds_read_b128 v[20:23], v31 offset:2080
	s_waitcnt lgkmcnt(0)
	v_mul_f64 v[44:45], v[22:23], v[14:15]
	v_mul_f64 v[14:15], v[20:21], v[14:15]
	v_fmac_f64_e32 v[14:15], v[22:23], v[12:13]
	v_fma_f64 v[44:45], v[20:21], v[12:13], -v[44:45]
	v_add_f64 v[42:43], v[14:15], v[42:43]
	v_mul_f64 v[12:13], v[22:23], v[18:19]
	v_mul_f64 v[14:15], v[20:21], v[18:19]
	v_fma_f64 v[12:13], v[20:21], v[16:17], -v[12:13]
	;; [unrolled: 30-line block ×3, first 2 shown]
	v_fmac_f64_e32 v[14:15], v[22:23], v[16:17]
	v_add_f64 v[24:25], v[24:25], v[12:13]
	v_add_f64 v[26:27], v[14:15], v[26:27]
	ds_read_b128 v[12:15], v31 offset:64
	ds_read_b128 v[16:19], v30 offset:2048
	v_add_f64 v[40:41], v[40:41], v[48:49]
	s_waitcnt lgkmcnt(0)
	v_mul_f64 v[20:21], v[14:15], v[18:19]
	v_mul_f64 v[22:23], v[12:13], v[18:19]
	v_fma_f64 v[20:21], v[12:13], v[16:17], -v[20:21]
	v_fmac_f64_e32 v[22:23], v[14:15], v[16:17]
	v_add_f64 v[44:45], v[44:45], v[20:21]
	v_add_f64 v[46:47], v[22:23], v[46:47]
	ds_read_b128 v[20:23], v30 offset:2304
	s_waitcnt lgkmcnt(0)
	v_mul_f64 v[48:49], v[14:15], v[22:23]
	v_fma_f64 v[48:49], v[12:13], v[20:21], -v[48:49]
	v_mul_f64 v[12:13], v[12:13], v[22:23]
	v_fmac_f64_e32 v[12:13], v[14:15], v[20:21]
	v_add_f64 v[36:37], v[12:13], v[36:37]
	ds_read_b128 v[12:15], v31 offset:2112
	v_add_f64 v[38:39], v[38:39], v[48:49]
	s_waitcnt lgkmcnt(0)
	v_mul_f64 v[48:49], v[14:15], v[18:19]
	v_mul_f64 v[18:19], v[12:13], v[18:19]
	v_fma_f64 v[48:49], v[12:13], v[16:17], -v[48:49]
	v_fmac_f64_e32 v[18:19], v[14:15], v[16:17]
	v_mul_f64 v[16:17], v[14:15], v[22:23]
	v_fma_f64 v[16:17], v[12:13], v[20:21], -v[16:17]
	v_mul_f64 v[12:13], v[12:13], v[22:23]
	v_fmac_f64_e32 v[12:13], v[14:15], v[20:21]
	v_add_f64 v[42:43], v[18:19], v[42:43]
	v_add_f64 v[24:25], v[24:25], v[16:17]
	v_add_f64 v[26:27], v[12:13], v[26:27]
	ds_read_b128 v[12:15], v31 offset:80
	ds_read_b128 v[16:19], v30 offset:2560
	v_add_f64 v[40:41], v[40:41], v[48:49]
	s_waitcnt lgkmcnt(0)
	v_mul_f64 v[20:21], v[14:15], v[18:19]
	v_mul_f64 v[22:23], v[12:13], v[18:19]
	v_fma_f64 v[20:21], v[12:13], v[16:17], -v[20:21]
	v_fmac_f64_e32 v[22:23], v[14:15], v[16:17]
	v_add_f64 v[44:45], v[44:45], v[20:21]
	v_add_f64 v[46:47], v[22:23], v[46:47]
	ds_read_b128 v[20:23], v30 offset:2816
	s_waitcnt lgkmcnt(0)
	v_mul_f64 v[48:49], v[14:15], v[22:23]
	v_fma_f64 v[48:49], v[12:13], v[20:21], -v[48:49]
	v_mul_f64 v[12:13], v[12:13], v[22:23]
	v_fmac_f64_e32 v[12:13], v[14:15], v[20:21]
	v_add_f64 v[36:37], v[12:13], v[36:37]
	ds_read_b128 v[12:15], v31 offset:2128
	v_add_f64 v[38:39], v[38:39], v[48:49]
	s_waitcnt lgkmcnt(0)
	v_mul_f64 v[48:49], v[14:15], v[18:19]
	v_mul_f64 v[18:19], v[12:13], v[18:19]
	v_fma_f64 v[48:49], v[12:13], v[16:17], -v[48:49]
	v_fmac_f64_e32 v[18:19], v[14:15], v[16:17]
	v_mul_f64 v[16:17], v[14:15], v[22:23]
	v_fma_f64 v[16:17], v[12:13], v[20:21], -v[16:17]
	v_mul_f64 v[12:13], v[12:13], v[22:23]
	v_fmac_f64_e32 v[12:13], v[14:15], v[20:21]
	v_add_f64 v[42:43], v[18:19], v[42:43]
	;; [unrolled: 31-line block ×3, first 2 shown]
	ds_read_b128 v[12:15], v31 offset:112
	ds_read_b128 v[20:23], v30 offset:3584
	v_add_f64 v[40:41], v[40:41], v[36:37]
	ds_read_b128 v[36:39], v30 offset:3840
	v_add_f64 v[52:53], v[24:25], v[16:17]
	v_add_f64 v[42:43], v[18:19], v[42:43]
	s_waitcnt lgkmcnt(1)
	v_mul_f64 v[16:17], v[14:15], v[22:23]
	v_fma_f64 v[16:17], v[12:13], v[20:21], -v[16:17]
	v_add_f64 v[24:25], v[44:45], v[16:17]
	s_waitcnt lgkmcnt(0)
	v_mul_f64 v[16:17], v[14:15], v[38:39]
	v_mul_f64 v[18:19], v[12:13], v[22:23]
	v_fma_f64 v[16:17], v[12:13], v[36:37], -v[16:17]
	v_mul_f64 v[12:13], v[12:13], v[38:39]
	v_fmac_f64_e32 v[18:19], v[14:15], v[20:21]
	v_fmac_f64_e32 v[12:13], v[14:15], v[36:37]
	v_add_f64 v[26:27], v[18:19], v[46:47]
	v_add_f64 v[18:19], v[12:13], v[50:51]
	ds_read_b128 v[12:15], v31 offset:2160
	v_add_f64 v[16:17], v[48:49], v[16:17]
	s_waitcnt lgkmcnt(0)
	s_barrier
	v_mul_f64 v[44:45], v[14:15], v[22:23]
	v_fma_f64 v[44:45], v[12:13], v[20:21], -v[44:45]
	v_mul_f64 v[22:23], v[12:13], v[22:23]
	v_fmac_f64_e32 v[22:23], v[14:15], v[20:21]
	v_add_f64 v[20:21], v[40:41], v[44:45]
	v_mul_f64 v[40:41], v[14:15], v[38:39]
	v_fma_f64 v[40:41], v[12:13], v[36:37], -v[40:41]
	v_mul_f64 v[12:13], v[12:13], v[38:39]
	v_fmac_f64_e32 v[12:13], v[14:15], v[36:37]
	v_mov_b64_e32 v[36:37], s[10:11]
	v_cmp_gt_i64_e32 vcc, s[8:9], v[36:37]
	v_add_f64 v[22:23], v[22:23], v[42:43]
	v_add_f64 v[14:15], v[52:53], v[40:41]
	;; [unrolled: 1-line block ×3, first 2 shown]
	s_cbranch_vccz .LBB252_18
.LBB252_8:                              ; =>This Inner Loop Header: Depth=1
	s_mov_b64 s[20:21], s[2:3]
	s_mov_b64 s[16:17], 0
	s_and_saveexec_b64 s[18:19], s[0:1]
	s_cbranch_execnz .LBB252_16
; %bb.9:                                ;   in Loop: Header=BB252_8 Depth=1
	s_or_b64 exec, exec, s[18:19]
	s_and_saveexec_b64 s[18:19], s[20:21]
	s_xor_b64 s[18:19], exec, s[18:19]
	s_cbranch_execnz .LBB252_17
.LBB252_10:                             ;   in Loop: Header=BB252_8 Depth=1
	s_or_b64 exec, exec, s[18:19]
	s_and_saveexec_b64 s[18:19], s[16:17]
	s_cbranch_execz .LBB252_12
.LBB252_11:                             ;   in Loop: Header=BB252_8 Depth=1
	v_mul_lo_u32 v8, s15, v10
	v_mul_lo_u32 v38, s14, v11
	v_mad_u64_u32 v[36:37], s[16:17], s14, v10, 0
	v_add3_u32 v37, v37, v38, v8
	v_lshl_add_u64 v[36:37], v[36:37], 4, v[4:5]
	global_load_dwordx4 v[36:39], v[36:37], off
	s_waitcnt vmcnt(0)
	ds_write2_b64 v28, v[36:37], v[38:39] offset1:1
.LBB252_12:                             ;   in Loop: Header=BB252_8 Depth=1
	s_or_b64 exec, exec, s[18:19]
	v_add_u32_e32 v8, s10, v0
	v_cmp_le_u64_e32 vcc, s[8:9], v[8:9]
	s_or_b64 s[16:17], vcc, s[12:13]
	s_and_saveexec_b64 s[18:19], s[16:17]
	s_xor_b64 s[16:17], exec, s[18:19]
; %bb.13:                               ;   in Loop: Header=BB252_8 Depth=1
	ds_write_b128 v29, v[32:35]
; %bb.14:                               ;   in Loop: Header=BB252_8 Depth=1
	s_andn2_saveexec_b64 s[16:17], s[16:17]
	s_cbranch_execz .LBB252_7
; %bb.15:                               ;   in Loop: Header=BB252_8 Depth=1
	v_lshl_add_u64 v[36:37], v[8:9], 4, v[6:7]
	global_load_dwordx4 v[36:39], v[36:37], off
	s_waitcnt vmcnt(0)
	ds_write2_b64 v29, v[36:37], v[38:39] offset1:1
	s_branch .LBB252_7
.LBB252_16:                             ;   in Loop: Header=BB252_8 Depth=1
	v_add_u32_e32 v8, s10, v2
	v_cmp_le_u64_e32 vcc, s[8:9], v[8:9]
	s_andn2_b64 s[20:21], s[2:3], exec
	s_and_b64 s[22:23], vcc, exec
	s_mov_b64 s[16:17], exec
	s_or_b64 s[20:21], s[20:21], s[22:23]
	v_mov_b64_e32 v[10:11], v[8:9]
	s_or_b64 exec, exec, s[18:19]
	s_and_saveexec_b64 s[18:19], s[20:21]
	s_xor_b64 s[18:19], exec, s[18:19]
	s_cbranch_execz .LBB252_10
.LBB252_17:                             ;   in Loop: Header=BB252_8 Depth=1
	ds_write_b128 v28, v[32:35]
	s_andn2_b64 s[16:17], s[16:17], exec
	s_or_b64 exec, exec, s[18:19]
	s_and_saveexec_b64 s[18:19], s[16:17]
	s_cbranch_execnz .LBB252_11
	s_branch .LBB252_12
.LBB252_18:
	s_mul_i32 s0, s31, s4
	s_mul_hi_u32 s1, s30, s4
	s_add_i32 s1, s1, s0
	s_mul_i32 s0, s30, s4
	s_lshl_b64 s[0:1], s[0:1], 4
	v_add_u32_e32 v10, s33, v3
	s_add_u32 s4, s26, s0
	v_ashrrev_i32_e32 v0, 31, v10
	s_addc_u32 s5, s27, s1
	v_add_u32_e32 v4, s25, v1
	v_cmp_neq_f64_e64 s[0:1], s[36:37], 0
	s_xor_b64 s[6:7], s[6:7], -1
	v_mul_lo_u32 v2, s28, v0
	v_mul_lo_u32 v3, s29, v10
	v_mad_u64_u32 v[0:1], s[8:9], s28, v10, 0
	v_add3_u32 v1, v1, v2, v3
	s_or_b64 s[0:1], s[0:1], s[6:7]
	s_waitcnt lgkmcnt(0)
	v_cmp_gt_i32_e64 s[2:3], s24, v10
	v_lshl_add_u64 v[8:9], v[0:1], 4, s[4:5]
	v_cmp_le_i32_e32 vcc, v4, v10
	v_cndmask_b32_e64 v0, 0, 1, s[0:1]
	s_and_b64 s[8:9], s[2:3], vcc
	v_ashrrev_i32_e32 v5, 31, v4
	v_cmp_ne_u32_e64 s[0:1], 1, v0
	s_and_saveexec_b64 s[6:7], s[8:9]
	s_cbranch_execz .LBB252_22
; %bb.19:
	v_mul_f64 v[0:1], s[42:43], v[26:27]
	v_mul_f64 v[2:3], s[40:41], v[26:27]
	v_fma_f64 v[0:1], s[40:41], v[24:25], -v[0:1]
	v_fmac_f64_e32 v[2:3], s[42:43], v[24:25]
	s_and_b64 vcc, exec, s[0:1]
	v_lshl_add_u64 v[6:7], v[4:5], 4, v[8:9]
	s_cbranch_vccnz .LBB252_21
; %bb.20:
	global_load_dwordx4 v[24:27], v[6:7], off
	s_waitcnt vmcnt(0)
	v_mul_f64 v[28:29], s[38:39], v[26:27]
	v_mul_f64 v[26:27], s[36:37], v[26:27]
	v_fma_f64 v[28:29], s[36:37], v[24:25], -v[28:29]
	v_fmac_f64_e32 v[26:27], s[38:39], v[24:25]
	v_add_f64 v[0:1], v[0:1], v[28:29]
	v_add_f64 v[2:3], v[2:3], v[26:27]
.LBB252_21:
	global_store_dwordx4 v[6:7], v[0:3], off
.LBB252_22:
	s_or_b64 exec, exec, s[6:7]
	v_add_u32_e32 v6, 16, v4
	v_cmp_le_i32_e32 vcc, v6, v10
	s_and_b64 s[6:7], s[2:3], vcc
	v_ashrrev_i32_e32 v7, 31, v6
	s_and_saveexec_b64 s[2:3], s[6:7]
	s_cbranch_execz .LBB252_26
; %bb.23:
	v_mul_f64 v[0:1], s[42:43], v[18:19]
	v_mul_f64 v[2:3], s[40:41], v[18:19]
	v_fma_f64 v[0:1], s[40:41], v[16:17], -v[0:1]
	v_fmac_f64_e32 v[2:3], s[42:43], v[16:17]
	s_and_b64 vcc, exec, s[0:1]
	v_lshl_add_u64 v[8:9], v[6:7], 4, v[8:9]
	s_cbranch_vccnz .LBB252_25
; %bb.24:
	global_load_dwordx4 v[16:19], v[8:9], off
	s_waitcnt vmcnt(0)
	v_mul_f64 v[24:25], s[38:39], v[18:19]
	v_mul_f64 v[18:19], s[36:37], v[18:19]
	v_fma_f64 v[24:25], s[36:37], v[16:17], -v[24:25]
	v_fmac_f64_e32 v[18:19], s[38:39], v[16:17]
	v_add_f64 v[0:1], v[0:1], v[24:25]
	v_add_f64 v[2:3], v[2:3], v[18:19]
.LBB252_25:
	global_store_dwordx4 v[8:9], v[0:3], off
.LBB252_26:
	s_or_b64 exec, exec, s[2:3]
	v_add_u32_e32 v10, 16, v10
	v_ashrrev_i32_e32 v0, 31, v10
	v_mul_lo_u32 v2, s28, v0
	v_mul_lo_u32 v3, s29, v10
	v_mad_u64_u32 v[0:1], s[6:7], s28, v10, 0
	v_cmp_gt_i32_e64 s[2:3], s24, v10
	v_add3_u32 v1, v1, v2, v3
	v_cmp_le_i32_e32 vcc, v4, v10
	v_lshl_add_u64 v[8:9], v[0:1], 4, s[4:5]
	s_and_b64 s[6:7], s[2:3], vcc
	s_and_saveexec_b64 s[4:5], s[6:7]
	s_cbranch_execz .LBB252_30
; %bb.27:
	v_mul_f64 v[0:1], s[42:43], v[22:23]
	v_mul_f64 v[2:3], s[40:41], v[22:23]
	v_fma_f64 v[0:1], s[40:41], v[20:21], -v[0:1]
	v_fmac_f64_e32 v[2:3], s[42:43], v[20:21]
	s_and_b64 vcc, exec, s[0:1]
	v_lshl_add_u64 v[4:5], v[4:5], 4, v[8:9]
	s_cbranch_vccnz .LBB252_29
; %bb.28:
	global_load_dwordx4 v[16:19], v[4:5], off
	s_waitcnt vmcnt(0)
	v_mul_f64 v[20:21], s[38:39], v[18:19]
	v_mul_f64 v[18:19], s[36:37], v[18:19]
	v_fma_f64 v[20:21], s[36:37], v[16:17], -v[20:21]
	v_fmac_f64_e32 v[18:19], s[38:39], v[16:17]
	v_add_f64 v[0:1], v[0:1], v[20:21]
	v_add_f64 v[2:3], v[2:3], v[18:19]
.LBB252_29:
	global_store_dwordx4 v[4:5], v[0:3], off
.LBB252_30:
	s_or_b64 exec, exec, s[4:5]
	v_cmp_le_i32_e32 vcc, v6, v10
	s_and_b64 s[2:3], s[2:3], vcc
	s_and_saveexec_b64 s[4:5], s[2:3]
	s_cbranch_execz .LBB252_34
; %bb.31:
	v_mul_f64 v[0:1], s[42:43], v[12:13]
	v_mul_f64 v[2:3], s[40:41], v[12:13]
	v_fma_f64 v[0:1], s[40:41], v[14:15], -v[0:1]
	v_fmac_f64_e32 v[2:3], s[42:43], v[14:15]
	s_and_b64 vcc, exec, s[0:1]
	v_lshl_add_u64 v[4:5], v[6:7], 4, v[8:9]
	s_cbranch_vccnz .LBB252_33
; %bb.32:
	global_load_dwordx4 v[6:9], v[4:5], off
	s_waitcnt vmcnt(0)
	v_mul_f64 v[10:11], s[38:39], v[8:9]
	v_mul_f64 v[8:9], s[36:37], v[8:9]
	v_fma_f64 v[10:11], s[36:37], v[6:7], -v[10:11]
	v_fmac_f64_e32 v[8:9], s[38:39], v[6:7]
	v_add_f64 v[0:1], v[0:1], v[10:11]
	v_add_f64 v[2:3], v[2:3], v[8:9]
.LBB252_33:
	global_store_dwordx4 v[4:5], v[0:3], off
.LBB252_34:
	s_endpgm
	.section	.rodata,"a",@progbits
	.p2align	6, 0x0
	.amdhsa_kernel _ZL29rocblas_internal_gemmt_kernelIlLi16ELi32ELi8ELc78ELc78ELc85ELb0ELb0E19rocblas_complex_numIdEPKS1_S3_PS1_EviT_T9_T10_S5_lS7_S5_lS6_T11_S5_li
		.amdhsa_group_segment_fixed_size 8192
		.amdhsa_private_segment_fixed_size 0
		.amdhsa_kernarg_size 108
		.amdhsa_user_sgpr_count 2
		.amdhsa_user_sgpr_dispatch_ptr 0
		.amdhsa_user_sgpr_queue_ptr 0
		.amdhsa_user_sgpr_kernarg_segment_ptr 1
		.amdhsa_user_sgpr_dispatch_id 0
		.amdhsa_user_sgpr_kernarg_preload_length 0
		.amdhsa_user_sgpr_kernarg_preload_offset 0
		.amdhsa_user_sgpr_private_segment_size 0
		.amdhsa_uses_dynamic_stack 0
		.amdhsa_enable_private_segment 0
		.amdhsa_system_sgpr_workgroup_id_x 1
		.amdhsa_system_sgpr_workgroup_id_y 1
		.amdhsa_system_sgpr_workgroup_id_z 1
		.amdhsa_system_sgpr_workgroup_info 0
		.amdhsa_system_vgpr_workitem_id 1
		.amdhsa_next_free_vgpr 62
		.amdhsa_next_free_sgpr 44
		.amdhsa_accum_offset 64
		.amdhsa_reserve_vcc 1
		.amdhsa_float_round_mode_32 0
		.amdhsa_float_round_mode_16_64 0
		.amdhsa_float_denorm_mode_32 3
		.amdhsa_float_denorm_mode_16_64 3
		.amdhsa_dx10_clamp 1
		.amdhsa_ieee_mode 1
		.amdhsa_fp16_overflow 0
		.amdhsa_tg_split 0
		.amdhsa_exception_fp_ieee_invalid_op 0
		.amdhsa_exception_fp_denorm_src 0
		.amdhsa_exception_fp_ieee_div_zero 0
		.amdhsa_exception_fp_ieee_overflow 0
		.amdhsa_exception_fp_ieee_underflow 0
		.amdhsa_exception_fp_ieee_inexact 0
		.amdhsa_exception_int_div_zero 0
	.end_amdhsa_kernel
	.section	.text._ZL29rocblas_internal_gemmt_kernelIlLi16ELi32ELi8ELc78ELc78ELc85ELb0ELb0E19rocblas_complex_numIdEPKS1_S3_PS1_EviT_T9_T10_S5_lS7_S5_lS6_T11_S5_li,"axG",@progbits,_ZL29rocblas_internal_gemmt_kernelIlLi16ELi32ELi8ELc78ELc78ELc85ELb0ELb0E19rocblas_complex_numIdEPKS1_S3_PS1_EviT_T9_T10_S5_lS7_S5_lS6_T11_S5_li,comdat
.Lfunc_end252:
	.size	_ZL29rocblas_internal_gemmt_kernelIlLi16ELi32ELi8ELc78ELc78ELc85ELb0ELb0E19rocblas_complex_numIdEPKS1_S3_PS1_EviT_T9_T10_S5_lS7_S5_lS6_T11_S5_li, .Lfunc_end252-_ZL29rocblas_internal_gemmt_kernelIlLi16ELi32ELi8ELc78ELc78ELc85ELb0ELb0E19rocblas_complex_numIdEPKS1_S3_PS1_EviT_T9_T10_S5_lS7_S5_lS6_T11_S5_li
                                        ; -- End function
	.set _ZL29rocblas_internal_gemmt_kernelIlLi16ELi32ELi8ELc78ELc78ELc85ELb0ELb0E19rocblas_complex_numIdEPKS1_S3_PS1_EviT_T9_T10_S5_lS7_S5_lS6_T11_S5_li.num_vgpr, 62
	.set _ZL29rocblas_internal_gemmt_kernelIlLi16ELi32ELi8ELc78ELc78ELc85ELb0ELb0E19rocblas_complex_numIdEPKS1_S3_PS1_EviT_T9_T10_S5_lS7_S5_lS6_T11_S5_li.num_agpr, 0
	.set _ZL29rocblas_internal_gemmt_kernelIlLi16ELi32ELi8ELc78ELc78ELc85ELb0ELb0E19rocblas_complex_numIdEPKS1_S3_PS1_EviT_T9_T10_S5_lS7_S5_lS6_T11_S5_li.numbered_sgpr, 44
	.set _ZL29rocblas_internal_gemmt_kernelIlLi16ELi32ELi8ELc78ELc78ELc85ELb0ELb0E19rocblas_complex_numIdEPKS1_S3_PS1_EviT_T9_T10_S5_lS7_S5_lS6_T11_S5_li.num_named_barrier, 0
	.set _ZL29rocblas_internal_gemmt_kernelIlLi16ELi32ELi8ELc78ELc78ELc85ELb0ELb0E19rocblas_complex_numIdEPKS1_S3_PS1_EviT_T9_T10_S5_lS7_S5_lS6_T11_S5_li.private_seg_size, 0
	.set _ZL29rocblas_internal_gemmt_kernelIlLi16ELi32ELi8ELc78ELc78ELc85ELb0ELb0E19rocblas_complex_numIdEPKS1_S3_PS1_EviT_T9_T10_S5_lS7_S5_lS6_T11_S5_li.uses_vcc, 1
	.set _ZL29rocblas_internal_gemmt_kernelIlLi16ELi32ELi8ELc78ELc78ELc85ELb0ELb0E19rocblas_complex_numIdEPKS1_S3_PS1_EviT_T9_T10_S5_lS7_S5_lS6_T11_S5_li.uses_flat_scratch, 0
	.set _ZL29rocblas_internal_gemmt_kernelIlLi16ELi32ELi8ELc78ELc78ELc85ELb0ELb0E19rocblas_complex_numIdEPKS1_S3_PS1_EviT_T9_T10_S5_lS7_S5_lS6_T11_S5_li.has_dyn_sized_stack, 0
	.set _ZL29rocblas_internal_gemmt_kernelIlLi16ELi32ELi8ELc78ELc78ELc85ELb0ELb0E19rocblas_complex_numIdEPKS1_S3_PS1_EviT_T9_T10_S5_lS7_S5_lS6_T11_S5_li.has_recursion, 0
	.set _ZL29rocblas_internal_gemmt_kernelIlLi16ELi32ELi8ELc78ELc78ELc85ELb0ELb0E19rocblas_complex_numIdEPKS1_S3_PS1_EviT_T9_T10_S5_lS7_S5_lS6_T11_S5_li.has_indirect_call, 0
	.section	.AMDGPU.csdata,"",@progbits
; Kernel info:
; codeLenInByte = 3252
; TotalNumSgprs: 50
; NumVgprs: 62
; NumAgprs: 0
; TotalNumVgprs: 62
; ScratchSize: 0
; MemoryBound: 0
; FloatMode: 240
; IeeeMode: 1
; LDSByteSize: 8192 bytes/workgroup (compile time only)
; SGPRBlocks: 6
; VGPRBlocks: 7
; NumSGPRsForWavesPerEU: 50
; NumVGPRsForWavesPerEU: 62
; AccumOffset: 64
; Occupancy: 8
; WaveLimiterHint : 0
; COMPUTE_PGM_RSRC2:SCRATCH_EN: 0
; COMPUTE_PGM_RSRC2:USER_SGPR: 2
; COMPUTE_PGM_RSRC2:TRAP_HANDLER: 0
; COMPUTE_PGM_RSRC2:TGID_X_EN: 1
; COMPUTE_PGM_RSRC2:TGID_Y_EN: 1
; COMPUTE_PGM_RSRC2:TGID_Z_EN: 1
; COMPUTE_PGM_RSRC2:TIDIG_COMP_CNT: 1
; COMPUTE_PGM_RSRC3_GFX90A:ACCUM_OFFSET: 15
; COMPUTE_PGM_RSRC3_GFX90A:TG_SPLIT: 0
	.section	.text._ZL29rocblas_internal_gemmt_kernelIlLi16ELi32ELi8ELc78ELc84ELc85ELb0ELb0E19rocblas_complex_numIdEPKS1_S3_PS1_EviT_T9_T10_S5_lS7_S5_lS6_T11_S5_li,"axG",@progbits,_ZL29rocblas_internal_gemmt_kernelIlLi16ELi32ELi8ELc78ELc84ELc85ELb0ELb0E19rocblas_complex_numIdEPKS1_S3_PS1_EviT_T9_T10_S5_lS7_S5_lS6_T11_S5_li,comdat
	.globl	_ZL29rocblas_internal_gemmt_kernelIlLi16ELi32ELi8ELc78ELc84ELc85ELb0ELb0E19rocblas_complex_numIdEPKS1_S3_PS1_EviT_T9_T10_S5_lS7_S5_lS6_T11_S5_li ; -- Begin function _ZL29rocblas_internal_gemmt_kernelIlLi16ELi32ELi8ELc78ELc84ELc85ELb0ELb0E19rocblas_complex_numIdEPKS1_S3_PS1_EviT_T9_T10_S5_lS7_S5_lS6_T11_S5_li
	.p2align	8
	.type	_ZL29rocblas_internal_gemmt_kernelIlLi16ELi32ELi8ELc78ELc84ELc85ELb0ELb0E19rocblas_complex_numIdEPKS1_S3_PS1_EviT_T9_T10_S5_lS7_S5_lS6_T11_S5_li,@function
_ZL29rocblas_internal_gemmt_kernelIlLi16ELi32ELi8ELc78ELc84ELc85ELb0ELb0E19rocblas_complex_numIdEPKS1_S3_PS1_EviT_T9_T10_S5_lS7_S5_lS6_T11_S5_li: ; @_ZL29rocblas_internal_gemmt_kernelIlLi16ELi32ELi8ELc78ELc84ELc85ELb0ELb0E19rocblas_complex_numIdEPKS1_S3_PS1_EviT_T9_T10_S5_lS7_S5_lS6_T11_S5_li
; %bb.0:
	s_load_dwordx8 s[24:31], s[0:1], 0x48
	s_load_dwordx16 s[8:23], s[0:1], 0x8
	s_waitcnt lgkmcnt(0)
	s_load_dwordx4 s[36:39], s[24:25], 0x0
	s_load_dwordx4 s[40:43], s[10:11], 0x0
	s_mov_b64 s[24:25], 0
	s_waitcnt lgkmcnt(0)
	v_cmp_eq_f64_e64 s[10:11], s[36:37], 1.0
	v_cmp_eq_f64_e64 s[6:7], s[38:39], 0
	s_and_b64 s[10:11], s[10:11], s[6:7]
	s_andn2_b64 vcc, exec, s[10:11]
	s_mov_b64 s[10:11], -1
	s_cbranch_vccnz .LBB253_4
; %bb.1:
	s_cmp_lg_u64 s[8:9], 0
	s_cbranch_scc0 .LBB253_3
; %bb.2:
	v_cmp_neq_f64_e64 s[10:11], s[40:41], 0
	v_cmp_neq_f64_e64 s[24:25], s[42:43], 0
	s_or_b64 s[24:25], s[10:11], s[24:25]
.LBB253_3:
	s_mov_b64 s[10:11], s[24:25]
.LBB253_4:
	s_and_b64 vcc, exec, s[10:11]
	s_cbranch_vccz .LBB253_34
; %bb.5:
	s_load_dword s24, s[0:1], 0x0
	s_lshl_b32 s25, s2, 5
	s_lshl_b32 s33, s3, 5
	v_cmp_eq_f64_e64 s[0:1], s[40:41], 0
	v_cmp_eq_f64_e64 s[2:3], s[42:43], 0
	s_and_b64 s[0:1], s[0:1], s[2:3]
	v_cmp_lt_i64_e64 s[2:3], s[8:9], 1
	s_or_b64 s[0:1], s[0:1], s[2:3]
	v_and_b32_e32 v1, 0x3ff, v0
	v_bfe_u32 v3, v0, 10, 10
	v_mov_b64_e32 v[24:25], 0
	s_and_b64 vcc, exec, s[0:1]
	v_mov_b64_e32 v[26:27], 0
	v_mov_b64_e32 v[16:17], 0
	;; [unrolled: 1-line block ×7, first 2 shown]
	s_cbranch_vccnz .LBB253_18
; %bb.6:
	s_mul_i32 s0, s23, s4
	s_mul_hi_u32 s1, s22, s4
	s_add_i32 s1, s1, s0
	s_mul_i32 s0, s22, s4
	s_lshl_b64 s[0:1], s[0:1], 4
	s_add_u32 s10, s18, s0
	s_addc_u32 s11, s19, s1
	s_mul_i32 s0, s17, s4
	s_mul_hi_u32 s1, s16, s4
	v_lshl_add_u32 v4, v3, 4, v1
	v_and_b32_e32 v0, 7, v1
	s_add_i32 s1, s1, s0
	s_mul_i32 s0, s16, s4
	v_lshrrev_b32_e32 v7, 3, v4
	v_and_b32_e32 v5, 31, v4
	s_lshl_b64 s[0:1], s[0:1], 4
	v_lshlrev_b32_e32 v8, 4, v0
	v_lshrrev_b32_e32 v2, 5, v4
	v_add_u32_e32 v6, s33, v7
	v_or_b32_e32 v4, s25, v5
	s_add_u32 s12, s12, s0
	v_lshlrev_b32_e32 v5, 4, v5
	v_lshl_or_b32 v7, v7, 7, v8
	s_addc_u32 s13, s13, s1
	v_lshl_or_b32 v28, v2, 9, v5
	v_ashrrev_i32_e32 v5, 31, v4
	s_waitcnt lgkmcnt(0)
	v_cmp_gt_i32_e32 vcc, s24, v6
	v_add_u32_e32 v29, 0x1000, v7
	v_ashrrev_i32_e32 v7, 31, v6
	v_mov_b32_e32 v8, 0x1000
	v_mov_b32_e32 v9, 0
	v_cmp_gt_i32_e64 s[0:1], s24, v4
	v_cmp_le_i32_e64 s[2:3], s24, v4
	v_lshl_add_u64 v[4:5], v[4:5], 4, s[12:13]
	v_lshl_add_u64 v[6:7], v[6:7], 4, s[10:11]
	v_lshlrev_b32_e32 v30, 4, v1
	v_lshl_add_u32 v31, v3, 7, v8
	v_mov_b64_e32 v[12:13], 0
	s_mov_b64 s[10:11], 0
	s_xor_b64 s[12:13], vcc, -1
	v_mov_b32_e32 v32, v9
	v_mov_b32_e32 v33, v9
	;; [unrolled: 1-line block ×4, first 2 shown]
	v_mov_b64_e32 v[14:15], 0
	v_mov_b64_e32 v[22:23], 0
	;; [unrolled: 1-line block ×7, first 2 shown]
                                        ; implicit-def: $vgpr10_vgpr11
	s_branch .LBB253_8
.LBB253_7:                              ;   in Loop: Header=BB253_8 Depth=1
	s_or_b64 exec, exec, s[16:17]
	s_waitcnt lgkmcnt(0)
	s_barrier
	ds_read_b128 v[36:39], v31
	ds_read_b128 v[40:43], v31 offset:16
	ds_read_b128 v[44:47], v31 offset:32
	;; [unrolled: 1-line block ×3, first 2 shown]
	ds_read_b128 v[52:55], v30
	s_add_u32 s10, s10, 8
	s_addc_u32 s11, s11, 0
	s_waitcnt lgkmcnt(0)
	v_mul_f64 v[56:57], v[38:39], v[54:55]
	v_mul_f64 v[58:59], v[36:37], v[54:55]
	v_fma_f64 v[56:57], v[36:37], v[52:53], -v[56:57]
	v_fmac_f64_e32 v[58:59], v[38:39], v[52:53]
	v_add_f64 v[56:57], v[24:25], v[56:57]
	v_add_f64 v[58:59], v[58:59], v[26:27]
	ds_read_b128 v[24:27], v30 offset:256
	s_waitcnt lgkmcnt(0)
	v_mul_f64 v[60:61], v[38:39], v[26:27]
	v_fma_f64 v[60:61], v[36:37], v[24:25], -v[60:61]
	v_mul_f64 v[36:37], v[36:37], v[26:27]
	v_fmac_f64_e32 v[36:37], v[38:39], v[24:25]
	v_add_f64 v[38:39], v[16:17], v[60:61]
	v_add_f64 v[36:37], v[36:37], v[18:19]
	ds_read_b128 v[16:19], v31 offset:2048
	s_waitcnt lgkmcnt(0)
	v_mul_f64 v[60:61], v[18:19], v[54:55]
	v_fma_f64 v[60:61], v[16:17], v[52:53], -v[60:61]
	v_mul_f64 v[54:55], v[16:17], v[54:55]
	v_fmac_f64_e32 v[54:55], v[18:19], v[52:53]
	v_add_f64 v[52:53], v[20:21], v[60:61]
	v_mul_f64 v[20:21], v[18:19], v[26:27]
	v_fma_f64 v[20:21], v[16:17], v[24:25], -v[20:21]
	v_mul_f64 v[16:17], v[16:17], v[26:27]
	v_fmac_f64_e32 v[16:17], v[18:19], v[24:25]
	v_add_f64 v[24:25], v[14:15], v[20:21]
	v_add_f64 v[26:27], v[16:17], v[12:13]
	ds_read_b128 v[12:15], v30 offset:512
	v_add_f64 v[54:55], v[54:55], v[22:23]
	s_waitcnt lgkmcnt(0)
	v_mul_f64 v[16:17], v[42:43], v[14:15]
	v_mul_f64 v[18:19], v[40:41], v[14:15]
	v_fma_f64 v[16:17], v[40:41], v[12:13], -v[16:17]
	v_fmac_f64_e32 v[18:19], v[42:43], v[12:13]
	v_add_f64 v[56:57], v[56:57], v[16:17]
	v_add_f64 v[58:59], v[18:19], v[58:59]
	ds_read_b128 v[16:19], v30 offset:768
	s_waitcnt lgkmcnt(0)
	v_mul_f64 v[20:21], v[42:43], v[18:19]
	v_mul_f64 v[22:23], v[40:41], v[18:19]
	v_fma_f64 v[20:21], v[40:41], v[16:17], -v[20:21]
	v_fmac_f64_e32 v[22:23], v[42:43], v[16:17]
	v_add_f64 v[38:39], v[38:39], v[20:21]
	v_add_f64 v[36:37], v[22:23], v[36:37]
	ds_read_b128 v[20:23], v31 offset:2064
	s_waitcnt lgkmcnt(0)
	v_mul_f64 v[40:41], v[22:23], v[14:15]
	v_mul_f64 v[14:15], v[20:21], v[14:15]
	v_fmac_f64_e32 v[14:15], v[22:23], v[12:13]
	v_fma_f64 v[40:41], v[20:21], v[12:13], -v[40:41]
	v_add_f64 v[42:43], v[14:15], v[54:55]
	v_mul_f64 v[12:13], v[22:23], v[18:19]
	v_mul_f64 v[14:15], v[20:21], v[18:19]
	v_fma_f64 v[12:13], v[20:21], v[16:17], -v[12:13]
	v_fmac_f64_e32 v[14:15], v[22:23], v[16:17]
	v_add_f64 v[24:25], v[24:25], v[12:13]
	v_add_f64 v[26:27], v[14:15], v[26:27]
	ds_read_b128 v[12:15], v30 offset:1024
	v_add_f64 v[40:41], v[52:53], v[40:41]
	s_waitcnt lgkmcnt(0)
	v_mul_f64 v[16:17], v[46:47], v[14:15]
	v_mul_f64 v[18:19], v[44:45], v[14:15]
	v_fma_f64 v[16:17], v[44:45], v[12:13], -v[16:17]
	v_fmac_f64_e32 v[18:19], v[46:47], v[12:13]
	v_add_f64 v[52:53], v[56:57], v[16:17]
	v_add_f64 v[54:55], v[18:19], v[58:59]
	ds_read_b128 v[16:19], v30 offset:1280
	s_waitcnt lgkmcnt(0)
	v_mul_f64 v[20:21], v[46:47], v[18:19]
	v_mul_f64 v[22:23], v[44:45], v[18:19]
	v_fma_f64 v[20:21], v[44:45], v[16:17], -v[20:21]
	v_fmac_f64_e32 v[22:23], v[46:47], v[16:17]
	v_add_f64 v[38:39], v[38:39], v[20:21]
	v_add_f64 v[36:37], v[22:23], v[36:37]
	ds_read_b128 v[20:23], v31 offset:2080
	s_waitcnt lgkmcnt(0)
	v_mul_f64 v[44:45], v[22:23], v[14:15]
	v_mul_f64 v[14:15], v[20:21], v[14:15]
	v_fmac_f64_e32 v[14:15], v[22:23], v[12:13]
	v_fma_f64 v[44:45], v[20:21], v[12:13], -v[44:45]
	v_add_f64 v[42:43], v[14:15], v[42:43]
	v_mul_f64 v[12:13], v[22:23], v[18:19]
	v_mul_f64 v[14:15], v[20:21], v[18:19]
	v_fma_f64 v[12:13], v[20:21], v[16:17], -v[12:13]
	;; [unrolled: 30-line block ×3, first 2 shown]
	v_fmac_f64_e32 v[14:15], v[22:23], v[16:17]
	v_add_f64 v[24:25], v[24:25], v[12:13]
	v_add_f64 v[26:27], v[14:15], v[26:27]
	ds_read_b128 v[12:15], v31 offset:64
	ds_read_b128 v[16:19], v30 offset:2048
	v_add_f64 v[40:41], v[40:41], v[48:49]
	s_waitcnt lgkmcnt(0)
	v_mul_f64 v[20:21], v[14:15], v[18:19]
	v_mul_f64 v[22:23], v[12:13], v[18:19]
	v_fma_f64 v[20:21], v[12:13], v[16:17], -v[20:21]
	v_fmac_f64_e32 v[22:23], v[14:15], v[16:17]
	v_add_f64 v[44:45], v[44:45], v[20:21]
	v_add_f64 v[46:47], v[22:23], v[46:47]
	ds_read_b128 v[20:23], v30 offset:2304
	s_waitcnt lgkmcnt(0)
	v_mul_f64 v[48:49], v[14:15], v[22:23]
	v_fma_f64 v[48:49], v[12:13], v[20:21], -v[48:49]
	v_mul_f64 v[12:13], v[12:13], v[22:23]
	v_fmac_f64_e32 v[12:13], v[14:15], v[20:21]
	v_add_f64 v[36:37], v[12:13], v[36:37]
	ds_read_b128 v[12:15], v31 offset:2112
	v_add_f64 v[38:39], v[38:39], v[48:49]
	s_waitcnt lgkmcnt(0)
	v_mul_f64 v[48:49], v[14:15], v[18:19]
	v_mul_f64 v[18:19], v[12:13], v[18:19]
	v_fma_f64 v[48:49], v[12:13], v[16:17], -v[48:49]
	v_fmac_f64_e32 v[18:19], v[14:15], v[16:17]
	v_mul_f64 v[16:17], v[14:15], v[22:23]
	v_fma_f64 v[16:17], v[12:13], v[20:21], -v[16:17]
	v_mul_f64 v[12:13], v[12:13], v[22:23]
	v_fmac_f64_e32 v[12:13], v[14:15], v[20:21]
	v_add_f64 v[42:43], v[18:19], v[42:43]
	v_add_f64 v[24:25], v[24:25], v[16:17]
	v_add_f64 v[26:27], v[12:13], v[26:27]
	ds_read_b128 v[12:15], v31 offset:80
	ds_read_b128 v[16:19], v30 offset:2560
	v_add_f64 v[40:41], v[40:41], v[48:49]
	s_waitcnt lgkmcnt(0)
	v_mul_f64 v[20:21], v[14:15], v[18:19]
	v_mul_f64 v[22:23], v[12:13], v[18:19]
	v_fma_f64 v[20:21], v[12:13], v[16:17], -v[20:21]
	v_fmac_f64_e32 v[22:23], v[14:15], v[16:17]
	v_add_f64 v[44:45], v[44:45], v[20:21]
	v_add_f64 v[46:47], v[22:23], v[46:47]
	ds_read_b128 v[20:23], v30 offset:2816
	s_waitcnt lgkmcnt(0)
	v_mul_f64 v[48:49], v[14:15], v[22:23]
	v_fma_f64 v[48:49], v[12:13], v[20:21], -v[48:49]
	v_mul_f64 v[12:13], v[12:13], v[22:23]
	v_fmac_f64_e32 v[12:13], v[14:15], v[20:21]
	v_add_f64 v[36:37], v[12:13], v[36:37]
	ds_read_b128 v[12:15], v31 offset:2128
	v_add_f64 v[38:39], v[38:39], v[48:49]
	s_waitcnt lgkmcnt(0)
	v_mul_f64 v[48:49], v[14:15], v[18:19]
	v_mul_f64 v[18:19], v[12:13], v[18:19]
	v_fma_f64 v[48:49], v[12:13], v[16:17], -v[48:49]
	v_fmac_f64_e32 v[18:19], v[14:15], v[16:17]
	v_mul_f64 v[16:17], v[14:15], v[22:23]
	v_fma_f64 v[16:17], v[12:13], v[20:21], -v[16:17]
	v_mul_f64 v[12:13], v[12:13], v[22:23]
	v_fmac_f64_e32 v[12:13], v[14:15], v[20:21]
	v_add_f64 v[42:43], v[18:19], v[42:43]
	;; [unrolled: 31-line block ×3, first 2 shown]
	ds_read_b128 v[12:15], v31 offset:112
	ds_read_b128 v[20:23], v30 offset:3584
	v_add_f64 v[40:41], v[40:41], v[36:37]
	ds_read_b128 v[36:39], v30 offset:3840
	v_add_f64 v[52:53], v[24:25], v[16:17]
	v_add_f64 v[42:43], v[18:19], v[42:43]
	s_waitcnt lgkmcnt(1)
	v_mul_f64 v[16:17], v[14:15], v[22:23]
	v_fma_f64 v[16:17], v[12:13], v[20:21], -v[16:17]
	v_add_f64 v[24:25], v[44:45], v[16:17]
	s_waitcnt lgkmcnt(0)
	v_mul_f64 v[16:17], v[14:15], v[38:39]
	v_mul_f64 v[18:19], v[12:13], v[22:23]
	v_fma_f64 v[16:17], v[12:13], v[36:37], -v[16:17]
	v_mul_f64 v[12:13], v[12:13], v[38:39]
	v_fmac_f64_e32 v[18:19], v[14:15], v[20:21]
	v_fmac_f64_e32 v[12:13], v[14:15], v[36:37]
	v_add_f64 v[26:27], v[18:19], v[46:47]
	v_add_f64 v[18:19], v[12:13], v[50:51]
	ds_read_b128 v[12:15], v31 offset:2160
	v_add_f64 v[16:17], v[48:49], v[16:17]
	s_waitcnt lgkmcnt(0)
	s_barrier
	v_mul_f64 v[44:45], v[14:15], v[22:23]
	v_fma_f64 v[44:45], v[12:13], v[20:21], -v[44:45]
	v_mul_f64 v[22:23], v[12:13], v[22:23]
	v_fmac_f64_e32 v[22:23], v[14:15], v[20:21]
	v_add_f64 v[20:21], v[40:41], v[44:45]
	v_mul_f64 v[40:41], v[14:15], v[38:39]
	v_fma_f64 v[40:41], v[12:13], v[36:37], -v[40:41]
	v_mul_f64 v[12:13], v[12:13], v[38:39]
	v_fmac_f64_e32 v[12:13], v[14:15], v[36:37]
	v_mov_b64_e32 v[36:37], s[10:11]
	v_cmp_gt_i64_e32 vcc, s[8:9], v[36:37]
	v_add_f64 v[22:23], v[22:23], v[42:43]
	v_add_f64 v[14:15], v[52:53], v[40:41]
	;; [unrolled: 1-line block ×3, first 2 shown]
	s_cbranch_vccz .LBB253_18
.LBB253_8:                              ; =>This Inner Loop Header: Depth=1
	s_mov_b64 s[22:23], s[2:3]
	s_mov_b64 s[16:17], 0
	s_and_saveexec_b64 s[18:19], s[0:1]
	s_cbranch_execnz .LBB253_16
; %bb.9:                                ;   in Loop: Header=BB253_8 Depth=1
	s_or_b64 exec, exec, s[18:19]
	s_and_saveexec_b64 s[18:19], s[22:23]
	s_xor_b64 s[18:19], exec, s[18:19]
	s_cbranch_execnz .LBB253_17
.LBB253_10:                             ;   in Loop: Header=BB253_8 Depth=1
	s_or_b64 exec, exec, s[18:19]
	s_and_saveexec_b64 s[18:19], s[16:17]
	s_cbranch_execz .LBB253_12
.LBB253_11:                             ;   in Loop: Header=BB253_8 Depth=1
	v_mul_lo_u32 v8, s15, v10
	v_mul_lo_u32 v38, s14, v11
	v_mad_u64_u32 v[36:37], s[16:17], s14, v10, 0
	v_add3_u32 v37, v37, v38, v8
	v_lshl_add_u64 v[36:37], v[36:37], 4, v[4:5]
	global_load_dwordx4 v[36:39], v[36:37], off
	s_waitcnt vmcnt(0)
	ds_write2_b64 v28, v[36:37], v[38:39] offset1:1
.LBB253_12:                             ;   in Loop: Header=BB253_8 Depth=1
	s_or_b64 exec, exec, s[18:19]
	v_add_u32_e32 v8, s10, v0
	v_cmp_le_u64_e32 vcc, s[8:9], v[8:9]
	s_or_b64 s[16:17], vcc, s[12:13]
	s_and_saveexec_b64 s[18:19], s[16:17]
	s_xor_b64 s[16:17], exec, s[18:19]
; %bb.13:                               ;   in Loop: Header=BB253_8 Depth=1
	ds_write_b128 v29, v[32:35]
; %bb.14:                               ;   in Loop: Header=BB253_8 Depth=1
	s_andn2_saveexec_b64 s[16:17], s[16:17]
	s_cbranch_execz .LBB253_7
; %bb.15:                               ;   in Loop: Header=BB253_8 Depth=1
	v_mad_u64_u32 v[36:37], s[18:19], s20, v8, 0
	v_mov_b32_e32 v38, v37
	v_mad_u64_u32 v[38:39], s[18:19], s21, v8, v[38:39]
	v_mov_b32_e32 v37, v38
	v_lshl_add_u64 v[36:37], v[36:37], 4, v[6:7]
	global_load_dwordx4 v[36:39], v[36:37], off
	s_waitcnt vmcnt(0)
	ds_write2_b64 v29, v[36:37], v[38:39] offset1:1
	s_branch .LBB253_7
.LBB253_16:                             ;   in Loop: Header=BB253_8 Depth=1
	v_add_u32_e32 v8, s10, v2
	v_cmp_le_u64_e32 vcc, s[8:9], v[8:9]
	s_andn2_b64 s[22:23], s[2:3], exec
	s_and_b64 s[34:35], vcc, exec
	s_mov_b64 s[16:17], exec
	s_or_b64 s[22:23], s[22:23], s[34:35]
	v_mov_b64_e32 v[10:11], v[8:9]
	s_or_b64 exec, exec, s[18:19]
	s_and_saveexec_b64 s[18:19], s[22:23]
	s_xor_b64 s[18:19], exec, s[18:19]
	s_cbranch_execz .LBB253_10
.LBB253_17:                             ;   in Loop: Header=BB253_8 Depth=1
	ds_write_b128 v28, v[32:35]
	s_andn2_b64 s[16:17], s[16:17], exec
	s_or_b64 exec, exec, s[18:19]
	s_and_saveexec_b64 s[18:19], s[16:17]
	s_cbranch_execnz .LBB253_11
	s_branch .LBB253_12
.LBB253_18:
	s_mul_i32 s0, s31, s4
	s_mul_hi_u32 s1, s30, s4
	s_add_i32 s1, s1, s0
	s_mul_i32 s0, s30, s4
	s_lshl_b64 s[0:1], s[0:1], 4
	v_add_u32_e32 v10, s33, v3
	s_add_u32 s4, s26, s0
	v_ashrrev_i32_e32 v0, 31, v10
	s_addc_u32 s5, s27, s1
	v_add_u32_e32 v4, s25, v1
	v_cmp_neq_f64_e64 s[0:1], s[36:37], 0
	s_xor_b64 s[6:7], s[6:7], -1
	v_mul_lo_u32 v2, s28, v0
	v_mul_lo_u32 v3, s29, v10
	v_mad_u64_u32 v[0:1], s[8:9], s28, v10, 0
	v_add3_u32 v1, v1, v2, v3
	s_or_b64 s[0:1], s[0:1], s[6:7]
	s_waitcnt lgkmcnt(0)
	v_cmp_gt_i32_e64 s[2:3], s24, v10
	v_lshl_add_u64 v[8:9], v[0:1], 4, s[4:5]
	v_cmp_le_i32_e32 vcc, v4, v10
	v_cndmask_b32_e64 v0, 0, 1, s[0:1]
	s_and_b64 s[8:9], s[2:3], vcc
	v_ashrrev_i32_e32 v5, 31, v4
	v_cmp_ne_u32_e64 s[0:1], 1, v0
	s_and_saveexec_b64 s[6:7], s[8:9]
	s_cbranch_execz .LBB253_22
; %bb.19:
	v_mul_f64 v[0:1], s[42:43], v[26:27]
	v_mul_f64 v[2:3], s[40:41], v[26:27]
	v_fma_f64 v[0:1], s[40:41], v[24:25], -v[0:1]
	v_fmac_f64_e32 v[2:3], s[42:43], v[24:25]
	s_and_b64 vcc, exec, s[0:1]
	v_lshl_add_u64 v[6:7], v[4:5], 4, v[8:9]
	s_cbranch_vccnz .LBB253_21
; %bb.20:
	global_load_dwordx4 v[24:27], v[6:7], off
	s_waitcnt vmcnt(0)
	v_mul_f64 v[28:29], s[38:39], v[26:27]
	v_mul_f64 v[26:27], s[36:37], v[26:27]
	v_fma_f64 v[28:29], s[36:37], v[24:25], -v[28:29]
	v_fmac_f64_e32 v[26:27], s[38:39], v[24:25]
	v_add_f64 v[0:1], v[0:1], v[28:29]
	v_add_f64 v[2:3], v[2:3], v[26:27]
.LBB253_21:
	global_store_dwordx4 v[6:7], v[0:3], off
.LBB253_22:
	s_or_b64 exec, exec, s[6:7]
	v_add_u32_e32 v6, 16, v4
	v_cmp_le_i32_e32 vcc, v6, v10
	s_and_b64 s[6:7], s[2:3], vcc
	v_ashrrev_i32_e32 v7, 31, v6
	s_and_saveexec_b64 s[2:3], s[6:7]
	s_cbranch_execz .LBB253_26
; %bb.23:
	v_mul_f64 v[0:1], s[42:43], v[18:19]
	v_mul_f64 v[2:3], s[40:41], v[18:19]
	v_fma_f64 v[0:1], s[40:41], v[16:17], -v[0:1]
	v_fmac_f64_e32 v[2:3], s[42:43], v[16:17]
	s_and_b64 vcc, exec, s[0:1]
	v_lshl_add_u64 v[8:9], v[6:7], 4, v[8:9]
	s_cbranch_vccnz .LBB253_25
; %bb.24:
	global_load_dwordx4 v[16:19], v[8:9], off
	s_waitcnt vmcnt(0)
	v_mul_f64 v[24:25], s[38:39], v[18:19]
	v_mul_f64 v[18:19], s[36:37], v[18:19]
	v_fma_f64 v[24:25], s[36:37], v[16:17], -v[24:25]
	v_fmac_f64_e32 v[18:19], s[38:39], v[16:17]
	v_add_f64 v[0:1], v[0:1], v[24:25]
	v_add_f64 v[2:3], v[2:3], v[18:19]
.LBB253_25:
	global_store_dwordx4 v[8:9], v[0:3], off
.LBB253_26:
	s_or_b64 exec, exec, s[2:3]
	v_add_u32_e32 v10, 16, v10
	v_ashrrev_i32_e32 v0, 31, v10
	v_mul_lo_u32 v2, s28, v0
	v_mul_lo_u32 v3, s29, v10
	v_mad_u64_u32 v[0:1], s[6:7], s28, v10, 0
	v_cmp_gt_i32_e64 s[2:3], s24, v10
	v_add3_u32 v1, v1, v2, v3
	v_cmp_le_i32_e32 vcc, v4, v10
	v_lshl_add_u64 v[8:9], v[0:1], 4, s[4:5]
	s_and_b64 s[6:7], s[2:3], vcc
	s_and_saveexec_b64 s[4:5], s[6:7]
	s_cbranch_execz .LBB253_30
; %bb.27:
	v_mul_f64 v[0:1], s[42:43], v[22:23]
	v_mul_f64 v[2:3], s[40:41], v[22:23]
	v_fma_f64 v[0:1], s[40:41], v[20:21], -v[0:1]
	v_fmac_f64_e32 v[2:3], s[42:43], v[20:21]
	s_and_b64 vcc, exec, s[0:1]
	v_lshl_add_u64 v[4:5], v[4:5], 4, v[8:9]
	s_cbranch_vccnz .LBB253_29
; %bb.28:
	global_load_dwordx4 v[16:19], v[4:5], off
	s_waitcnt vmcnt(0)
	v_mul_f64 v[20:21], s[38:39], v[18:19]
	v_mul_f64 v[18:19], s[36:37], v[18:19]
	v_fma_f64 v[20:21], s[36:37], v[16:17], -v[20:21]
	v_fmac_f64_e32 v[18:19], s[38:39], v[16:17]
	v_add_f64 v[0:1], v[0:1], v[20:21]
	v_add_f64 v[2:3], v[2:3], v[18:19]
.LBB253_29:
	global_store_dwordx4 v[4:5], v[0:3], off
.LBB253_30:
	s_or_b64 exec, exec, s[4:5]
	v_cmp_le_i32_e32 vcc, v6, v10
	s_and_b64 s[2:3], s[2:3], vcc
	s_and_saveexec_b64 s[4:5], s[2:3]
	s_cbranch_execz .LBB253_34
; %bb.31:
	v_mul_f64 v[0:1], s[42:43], v[12:13]
	v_mul_f64 v[2:3], s[40:41], v[12:13]
	v_fma_f64 v[0:1], s[40:41], v[14:15], -v[0:1]
	v_fmac_f64_e32 v[2:3], s[42:43], v[14:15]
	s_and_b64 vcc, exec, s[0:1]
	v_lshl_add_u64 v[4:5], v[6:7], 4, v[8:9]
	s_cbranch_vccnz .LBB253_33
; %bb.32:
	global_load_dwordx4 v[6:9], v[4:5], off
	s_waitcnt vmcnt(0)
	v_mul_f64 v[10:11], s[38:39], v[8:9]
	v_mul_f64 v[8:9], s[36:37], v[8:9]
	v_fma_f64 v[10:11], s[36:37], v[6:7], -v[10:11]
	v_fmac_f64_e32 v[8:9], s[38:39], v[6:7]
	v_add_f64 v[0:1], v[0:1], v[10:11]
	v_add_f64 v[2:3], v[2:3], v[8:9]
.LBB253_33:
	global_store_dwordx4 v[4:5], v[0:3], off
.LBB253_34:
	s_endpgm
	.section	.rodata,"a",@progbits
	.p2align	6, 0x0
	.amdhsa_kernel _ZL29rocblas_internal_gemmt_kernelIlLi16ELi32ELi8ELc78ELc84ELc85ELb0ELb0E19rocblas_complex_numIdEPKS1_S3_PS1_EviT_T9_T10_S5_lS7_S5_lS6_T11_S5_li
		.amdhsa_group_segment_fixed_size 8192
		.amdhsa_private_segment_fixed_size 0
		.amdhsa_kernarg_size 108
		.amdhsa_user_sgpr_count 2
		.amdhsa_user_sgpr_dispatch_ptr 0
		.amdhsa_user_sgpr_queue_ptr 0
		.amdhsa_user_sgpr_kernarg_segment_ptr 1
		.amdhsa_user_sgpr_dispatch_id 0
		.amdhsa_user_sgpr_kernarg_preload_length 0
		.amdhsa_user_sgpr_kernarg_preload_offset 0
		.amdhsa_user_sgpr_private_segment_size 0
		.amdhsa_uses_dynamic_stack 0
		.amdhsa_enable_private_segment 0
		.amdhsa_system_sgpr_workgroup_id_x 1
		.amdhsa_system_sgpr_workgroup_id_y 1
		.amdhsa_system_sgpr_workgroup_id_z 1
		.amdhsa_system_sgpr_workgroup_info 0
		.amdhsa_system_vgpr_workitem_id 1
		.amdhsa_next_free_vgpr 62
		.amdhsa_next_free_sgpr 44
		.amdhsa_accum_offset 64
		.amdhsa_reserve_vcc 1
		.amdhsa_float_round_mode_32 0
		.amdhsa_float_round_mode_16_64 0
		.amdhsa_float_denorm_mode_32 3
		.amdhsa_float_denorm_mode_16_64 3
		.amdhsa_dx10_clamp 1
		.amdhsa_ieee_mode 1
		.amdhsa_fp16_overflow 0
		.amdhsa_tg_split 0
		.amdhsa_exception_fp_ieee_invalid_op 0
		.amdhsa_exception_fp_denorm_src 0
		.amdhsa_exception_fp_ieee_div_zero 0
		.amdhsa_exception_fp_ieee_overflow 0
		.amdhsa_exception_fp_ieee_underflow 0
		.amdhsa_exception_fp_ieee_inexact 0
		.amdhsa_exception_int_div_zero 0
	.end_amdhsa_kernel
	.section	.text._ZL29rocblas_internal_gemmt_kernelIlLi16ELi32ELi8ELc78ELc84ELc85ELb0ELb0E19rocblas_complex_numIdEPKS1_S3_PS1_EviT_T9_T10_S5_lS7_S5_lS6_T11_S5_li,"axG",@progbits,_ZL29rocblas_internal_gemmt_kernelIlLi16ELi32ELi8ELc78ELc84ELc85ELb0ELb0E19rocblas_complex_numIdEPKS1_S3_PS1_EviT_T9_T10_S5_lS7_S5_lS6_T11_S5_li,comdat
.Lfunc_end253:
	.size	_ZL29rocblas_internal_gemmt_kernelIlLi16ELi32ELi8ELc78ELc84ELc85ELb0ELb0E19rocblas_complex_numIdEPKS1_S3_PS1_EviT_T9_T10_S5_lS7_S5_lS6_T11_S5_li, .Lfunc_end253-_ZL29rocblas_internal_gemmt_kernelIlLi16ELi32ELi8ELc78ELc84ELc85ELb0ELb0E19rocblas_complex_numIdEPKS1_S3_PS1_EviT_T9_T10_S5_lS7_S5_lS6_T11_S5_li
                                        ; -- End function
	.set _ZL29rocblas_internal_gemmt_kernelIlLi16ELi32ELi8ELc78ELc84ELc85ELb0ELb0E19rocblas_complex_numIdEPKS1_S3_PS1_EviT_T9_T10_S5_lS7_S5_lS6_T11_S5_li.num_vgpr, 62
	.set _ZL29rocblas_internal_gemmt_kernelIlLi16ELi32ELi8ELc78ELc84ELc85ELb0ELb0E19rocblas_complex_numIdEPKS1_S3_PS1_EviT_T9_T10_S5_lS7_S5_lS6_T11_S5_li.num_agpr, 0
	.set _ZL29rocblas_internal_gemmt_kernelIlLi16ELi32ELi8ELc78ELc84ELc85ELb0ELb0E19rocblas_complex_numIdEPKS1_S3_PS1_EviT_T9_T10_S5_lS7_S5_lS6_T11_S5_li.numbered_sgpr, 44
	.set _ZL29rocblas_internal_gemmt_kernelIlLi16ELi32ELi8ELc78ELc84ELc85ELb0ELb0E19rocblas_complex_numIdEPKS1_S3_PS1_EviT_T9_T10_S5_lS7_S5_lS6_T11_S5_li.num_named_barrier, 0
	.set _ZL29rocblas_internal_gemmt_kernelIlLi16ELi32ELi8ELc78ELc84ELc85ELb0ELb0E19rocblas_complex_numIdEPKS1_S3_PS1_EviT_T9_T10_S5_lS7_S5_lS6_T11_S5_li.private_seg_size, 0
	.set _ZL29rocblas_internal_gemmt_kernelIlLi16ELi32ELi8ELc78ELc84ELc85ELb0ELb0E19rocblas_complex_numIdEPKS1_S3_PS1_EviT_T9_T10_S5_lS7_S5_lS6_T11_S5_li.uses_vcc, 1
	.set _ZL29rocblas_internal_gemmt_kernelIlLi16ELi32ELi8ELc78ELc84ELc85ELb0ELb0E19rocblas_complex_numIdEPKS1_S3_PS1_EviT_T9_T10_S5_lS7_S5_lS6_T11_S5_li.uses_flat_scratch, 0
	.set _ZL29rocblas_internal_gemmt_kernelIlLi16ELi32ELi8ELc78ELc84ELc85ELb0ELb0E19rocblas_complex_numIdEPKS1_S3_PS1_EviT_T9_T10_S5_lS7_S5_lS6_T11_S5_li.has_dyn_sized_stack, 0
	.set _ZL29rocblas_internal_gemmt_kernelIlLi16ELi32ELi8ELc78ELc84ELc85ELb0ELb0E19rocblas_complex_numIdEPKS1_S3_PS1_EviT_T9_T10_S5_lS7_S5_lS6_T11_S5_li.has_recursion, 0
	.set _ZL29rocblas_internal_gemmt_kernelIlLi16ELi32ELi8ELc78ELc84ELc85ELb0ELb0E19rocblas_complex_numIdEPKS1_S3_PS1_EviT_T9_T10_S5_lS7_S5_lS6_T11_S5_li.has_indirect_call, 0
	.section	.AMDGPU.csdata,"",@progbits
; Kernel info:
; codeLenInByte = 3244
; TotalNumSgprs: 50
; NumVgprs: 62
; NumAgprs: 0
; TotalNumVgprs: 62
; ScratchSize: 0
; MemoryBound: 0
; FloatMode: 240
; IeeeMode: 1
; LDSByteSize: 8192 bytes/workgroup (compile time only)
; SGPRBlocks: 6
; VGPRBlocks: 7
; NumSGPRsForWavesPerEU: 50
; NumVGPRsForWavesPerEU: 62
; AccumOffset: 64
; Occupancy: 8
; WaveLimiterHint : 0
; COMPUTE_PGM_RSRC2:SCRATCH_EN: 0
; COMPUTE_PGM_RSRC2:USER_SGPR: 2
; COMPUTE_PGM_RSRC2:TRAP_HANDLER: 0
; COMPUTE_PGM_RSRC2:TGID_X_EN: 1
; COMPUTE_PGM_RSRC2:TGID_Y_EN: 1
; COMPUTE_PGM_RSRC2:TGID_Z_EN: 1
; COMPUTE_PGM_RSRC2:TIDIG_COMP_CNT: 1
; COMPUTE_PGM_RSRC3_GFX90A:ACCUM_OFFSET: 15
; COMPUTE_PGM_RSRC3_GFX90A:TG_SPLIT: 0
	.section	.text._ZL29rocblas_internal_gemmt_kernelIlLi16ELi32ELi8ELc78ELc67ELc85ELb0ELb1E19rocblas_complex_numIdEPKS1_S3_PS1_EviT_T9_T10_S5_lS7_S5_lS6_T11_S5_li,"axG",@progbits,_ZL29rocblas_internal_gemmt_kernelIlLi16ELi32ELi8ELc78ELc67ELc85ELb0ELb1E19rocblas_complex_numIdEPKS1_S3_PS1_EviT_T9_T10_S5_lS7_S5_lS6_T11_S5_li,comdat
	.globl	_ZL29rocblas_internal_gemmt_kernelIlLi16ELi32ELi8ELc78ELc67ELc85ELb0ELb1E19rocblas_complex_numIdEPKS1_S3_PS1_EviT_T9_T10_S5_lS7_S5_lS6_T11_S5_li ; -- Begin function _ZL29rocblas_internal_gemmt_kernelIlLi16ELi32ELi8ELc78ELc67ELc85ELb0ELb1E19rocblas_complex_numIdEPKS1_S3_PS1_EviT_T9_T10_S5_lS7_S5_lS6_T11_S5_li
	.p2align	8
	.type	_ZL29rocblas_internal_gemmt_kernelIlLi16ELi32ELi8ELc78ELc67ELc85ELb0ELb1E19rocblas_complex_numIdEPKS1_S3_PS1_EviT_T9_T10_S5_lS7_S5_lS6_T11_S5_li,@function
_ZL29rocblas_internal_gemmt_kernelIlLi16ELi32ELi8ELc78ELc67ELc85ELb0ELb1E19rocblas_complex_numIdEPKS1_S3_PS1_EviT_T9_T10_S5_lS7_S5_lS6_T11_S5_li: ; @_ZL29rocblas_internal_gemmt_kernelIlLi16ELi32ELi8ELc78ELc67ELc85ELb0ELb1E19rocblas_complex_numIdEPKS1_S3_PS1_EviT_T9_T10_S5_lS7_S5_lS6_T11_S5_li
; %bb.0:
	s_load_dwordx8 s[24:31], s[0:1], 0x48
	s_load_dwordx16 s[8:23], s[0:1], 0x8
	s_waitcnt lgkmcnt(0)
	s_load_dwordx4 s[36:39], s[24:25], 0x0
	s_load_dwordx4 s[40:43], s[10:11], 0x0
	s_mov_b64 s[24:25], 0
	s_waitcnt lgkmcnt(0)
	v_cmp_eq_f64_e64 s[10:11], s[36:37], 1.0
	v_cmp_eq_f64_e64 s[6:7], s[38:39], 0
	s_and_b64 s[10:11], s[10:11], s[6:7]
	s_andn2_b64 vcc, exec, s[10:11]
	s_mov_b64 s[10:11], -1
	s_cbranch_vccnz .LBB254_4
; %bb.1:
	s_cmp_lg_u64 s[8:9], 0
	s_cbranch_scc0 .LBB254_3
; %bb.2:
	v_cmp_neq_f64_e64 s[10:11], s[40:41], 0
	v_cmp_neq_f64_e64 s[24:25], s[42:43], 0
	s_or_b64 s[24:25], s[10:11], s[24:25]
.LBB254_3:
	s_mov_b64 s[10:11], s[24:25]
.LBB254_4:
	s_and_b64 vcc, exec, s[10:11]
	s_cbranch_vccz .LBB254_32
; %bb.5:
	s_load_dword s24, s[0:1], 0x0
	s_lshl_b32 s25, s2, 5
	s_lshl_b32 s33, s3, 5
	v_cmp_eq_f64_e64 s[0:1], s[40:41], 0
	v_cmp_eq_f64_e64 s[2:3], s[42:43], 0
	s_and_b64 s[0:1], s[0:1], s[2:3]
	v_cmp_lt_i64_e64 s[2:3], s[8:9], 1
	s_or_b64 s[0:1], s[0:1], s[2:3]
	v_and_b32_e32 v5, 0x3ff, v0
	v_bfe_u32 v7, v0, 10, 10
	v_mov_b64_e32 v[28:29], 0
	s_and_b64 vcc, exec, s[0:1]
	v_mov_b64_e32 v[30:31], 0
	v_mov_b64_e32 v[24:25], 0
	;; [unrolled: 1-line block ×7, first 2 shown]
	s_cbranch_vccnz .LBB254_16
; %bb.6:
	s_mul_i32 s0, s23, s4
	s_mul_hi_u32 s1, s22, s4
	s_add_i32 s1, s1, s0
	s_mul_i32 s0, s22, s4
	s_lshl_b64 s[0:1], s[0:1], 4
	v_lshl_add_u32 v1, v7, 4, v5
	s_add_u32 s18, s18, s0
	v_lshrrev_b32_e32 v6, 5, v1
	v_lshrrev_b32_e32 v10, 3, v1
	v_and_b32_e32 v1, 31, v1
	s_addc_u32 s19, s19, s1
	s_mul_i32 s0, s17, s4
	s_mul_hi_u32 s1, s16, s4
	v_and_b32_e32 v4, 7, v5
	v_or_b32_e32 v2, s25, v1
	s_add_i32 s1, s1, s0
	s_mul_i32 s0, s16, s4
	v_lshlrev_b32_e32 v1, 4, v1
	s_lshl_b64 s[0:1], s[0:1], 4
	v_lshl_or_b32 v32, v6, 9, v1
	v_lshlrev_b32_e32 v1, 4, v4
	v_add_u32_e32 v0, s33, v10
	s_add_u32 s2, s12, s0
	v_lshl_or_b32 v1, v10, 7, v1
	s_addc_u32 s3, s13, s1
	v_ashrrev_i32_e32 v3, 31, v2
	v_add_u32_e32 v33, 0x1000, v1
	v_ashrrev_i32_e32 v1, 31, v0
	v_lshl_add_u64 v[8:9], v[2:3], 4, s[2:3]
	s_waitcnt lgkmcnt(0)
	v_cmp_gt_i32_e64 s[2:3], s24, v0
	v_lshl_add_u64 v[10:11], v[0:1], 4, s[18:19]
	v_mov_b32_e32 v0, 0x1000
	v_mov_b32_e32 v13, 0
	v_cmp_gt_i32_e64 s[0:1], s24, v2
	v_cmp_le_i32_e64 s[10:11], s24, v2
	v_lshlrev_b32_e32 v34, 4, v5
	v_lshl_add_u32 v35, v7, 7, v0
	v_mov_b64_e32 v[16:17], 0
	s_mov_b64 s[12:13], 0
	v_mov_b32_e32 v36, v13
	v_mov_b32_e32 v37, v13
	v_mov_b32_e32 v38, v13
	v_mov_b32_e32 v39, v13
	v_mov_b64_e32 v[18:19], 0
	v_mov_b64_e32 v[22:23], 0
	;; [unrolled: 1-line block ×7, first 2 shown]
                                        ; implicit-def: $vgpr14_vgpr15
	s_branch .LBB254_8
.LBB254_7:                              ;   in Loop: Header=BB254_8 Depth=1
	s_or_b64 exec, exec, s[16:17]
	ds_write_b128 v33, v[0:3]
	s_waitcnt lgkmcnt(0)
	s_barrier
	ds_read_b128 v[0:3], v34
	ds_read_b128 v[40:43], v35
	ds_read_b128 v[44:47], v35 offset:16
	ds_read_b128 v[48:51], v35 offset:32
	;; [unrolled: 1-line block ×4, first 2 shown]
	s_waitcnt lgkmcnt(4)
	v_mul_f64 v[60:61], v[42:43], v[2:3]
	v_fma_f64 v[60:61], v[40:41], v[0:1], -v[60:61]
	v_mul_f64 v[62:63], v[40:41], v[2:3]
	v_fmac_f64_e32 v[62:63], v[42:43], v[0:1]
	v_add_f64 v[60:61], v[28:29], v[60:61]
	s_waitcnt lgkmcnt(0)
	v_mul_f64 v[28:29], v[42:43], v[58:59]
	v_add_f64 v[62:63], v[62:63], v[30:31]
	v_fma_f64 v[64:65], v[40:41], v[56:57], -v[28:29]
	ds_read_b128 v[28:31], v35 offset:2048
	v_mul_f64 v[40:41], v[40:41], v[58:59]
	v_fmac_f64_e32 v[40:41], v[42:43], v[56:57]
	v_add_f64 v[42:43], v[24:25], v[64:65]
	v_add_f64 v[40:41], v[40:41], v[26:27]
	ds_read_b128 v[24:27], v35 offset:2064
	s_waitcnt lgkmcnt(1)
	v_mul_f64 v[64:65], v[30:31], v[2:3]
	v_mul_f64 v[2:3], v[28:29], v[2:3]
	v_fma_f64 v[64:65], v[28:29], v[0:1], -v[64:65]
	v_fmac_f64_e32 v[2:3], v[30:31], v[0:1]
	v_mul_f64 v[0:1], v[30:31], v[58:59]
	v_add_f64 v[20:21], v[20:21], v[64:65]
	v_add_f64 v[22:23], v[2:3], v[22:23]
	v_fma_f64 v[64:65], v[28:29], v[56:57], -v[0:1]
	v_mul_f64 v[28:29], v[28:29], v[58:59]
	ds_read_b128 v[0:3], v34 offset:512
	v_fmac_f64_e32 v[28:29], v[30:31], v[56:57]
	v_add_f64 v[30:31], v[18:19], v[64:65]
	v_add_f64 v[28:29], v[28:29], v[16:17]
	ds_read_b128 v[16:19], v34 offset:768
	s_waitcnt lgkmcnt(1)
	v_mul_f64 v[56:57], v[46:47], v[2:3]
	v_fma_f64 v[56:57], v[44:45], v[0:1], -v[56:57]
	v_add_f64 v[56:57], v[60:61], v[56:57]
	v_mul_f64 v[58:59], v[44:45], v[2:3]
	s_waitcnt lgkmcnt(0)
	v_mul_f64 v[60:61], v[46:47], v[18:19]
	v_fma_f64 v[60:61], v[44:45], v[16:17], -v[60:61]
	v_mul_f64 v[44:45], v[44:45], v[18:19]
	v_fmac_f64_e32 v[44:45], v[46:47], v[16:17]
	v_add_f64 v[40:41], v[44:45], v[40:41]
	v_mul_f64 v[44:45], v[26:27], v[2:3]
	v_mul_f64 v[2:3], v[24:25], v[2:3]
	v_fmac_f64_e32 v[58:59], v[46:47], v[0:1]
	v_fma_f64 v[44:45], v[24:25], v[0:1], -v[44:45]
	v_fmac_f64_e32 v[2:3], v[26:27], v[0:1]
	v_mul_f64 v[0:1], v[26:27], v[18:19]
	v_add_f64 v[44:45], v[20:21], v[44:45]
	v_add_f64 v[46:47], v[2:3], v[22:23]
	v_fma_f64 v[20:21], v[24:25], v[16:17], -v[0:1]
	v_mul_f64 v[18:19], v[24:25], v[18:19]
	ds_read_b128 v[0:3], v34 offset:1024
	v_fmac_f64_e32 v[18:19], v[26:27], v[16:17]
	v_add_f64 v[28:29], v[18:19], v[28:29]
	ds_read_b128 v[16:19], v34 offset:1280
	v_add_f64 v[30:31], v[30:31], v[20:21]
	s_waitcnt lgkmcnt(1)
	v_mul_f64 v[20:21], v[50:51], v[2:3]
	v_fma_f64 v[20:21], v[48:49], v[0:1], -v[20:21]
	v_mul_f64 v[22:23], v[48:49], v[2:3]
	v_add_f64 v[58:59], v[58:59], v[62:63]
	v_fmac_f64_e32 v[22:23], v[50:51], v[0:1]
	v_add_f64 v[56:57], v[56:57], v[20:21]
	s_waitcnt lgkmcnt(0)
	v_mul_f64 v[20:21], v[50:51], v[18:19]
	v_add_f64 v[58:59], v[22:23], v[58:59]
	v_fma_f64 v[24:25], v[48:49], v[16:17], -v[20:21]
	ds_read_b128 v[20:23], v35 offset:2080
	v_mul_f64 v[26:27], v[48:49], v[18:19]
	v_add_f64 v[42:43], v[42:43], v[60:61]
	v_fmac_f64_e32 v[26:27], v[50:51], v[16:17]
	v_add_f64 v[42:43], v[42:43], v[24:25]
	v_add_f64 v[40:41], v[26:27], v[40:41]
	ds_read_b128 v[24:27], v35 offset:2096
	s_waitcnt lgkmcnt(1)
	v_mul_f64 v[48:49], v[22:23], v[2:3]
	v_mul_f64 v[2:3], v[20:21], v[2:3]
	v_fma_f64 v[48:49], v[20:21], v[0:1], -v[48:49]
	v_fmac_f64_e32 v[2:3], v[22:23], v[0:1]
	v_mul_f64 v[0:1], v[22:23], v[18:19]
	v_mul_f64 v[18:19], v[20:21], v[18:19]
	v_fmac_f64_e32 v[18:19], v[22:23], v[16:17]
	v_add_f64 v[44:45], v[44:45], v[48:49]
	v_add_f64 v[46:47], v[2:3], v[46:47]
	v_fma_f64 v[48:49], v[20:21], v[16:17], -v[0:1]
	ds_read_b128 v[0:3], v34 offset:1536
	v_add_f64 v[22:23], v[18:19], v[28:29]
	ds_read_b128 v[16:19], v34 offset:1792
	v_add_f64 v[20:21], v[30:31], v[48:49]
	s_add_u32 s12, s12, 8
	s_waitcnt lgkmcnt(1)
	v_mul_f64 v[28:29], v[54:55], v[2:3]
	v_mul_f64 v[30:31], v[52:53], v[2:3]
	s_waitcnt lgkmcnt(0)
	v_mul_f64 v[48:49], v[54:55], v[18:19]
	v_fma_f64 v[48:49], v[52:53], v[16:17], -v[48:49]
	v_add_f64 v[42:43], v[42:43], v[48:49]
	v_mul_f64 v[48:49], v[26:27], v[2:3]
	v_mul_f64 v[2:3], v[24:25], v[2:3]
	v_fma_f64 v[28:29], v[52:53], v[0:1], -v[28:29]
	v_fmac_f64_e32 v[30:31], v[54:55], v[0:1]
	v_fma_f64 v[48:49], v[24:25], v[0:1], -v[48:49]
	v_fmac_f64_e32 v[2:3], v[26:27], v[0:1]
	v_mul_f64 v[0:1], v[26:27], v[18:19]
	v_mul_f64 v[50:51], v[52:53], v[18:19]
	v_add_f64 v[44:45], v[44:45], v[48:49]
	v_fma_f64 v[48:49], v[24:25], v[16:17], -v[0:1]
	v_mul_f64 v[24:25], v[24:25], v[18:19]
	v_fmac_f64_e32 v[50:51], v[54:55], v[16:17]
	v_add_f64 v[46:47], v[2:3], v[46:47]
	v_fmac_f64_e32 v[24:25], v[26:27], v[16:17]
	ds_read_b128 v[0:3], v35 offset:64
	ds_read_b128 v[16:19], v34 offset:2048
	v_add_f64 v[40:41], v[50:51], v[40:41]
	v_add_f64 v[48:49], v[20:21], v[48:49]
	;; [unrolled: 1-line block ×3, first 2 shown]
	ds_read_b128 v[20:23], v34 offset:2304
	ds_read_b128 v[24:27], v35 offset:80
	s_waitcnt lgkmcnt(2)
	v_mul_f64 v[52:53], v[2:3], v[18:19]
	v_add_f64 v[28:29], v[56:57], v[28:29]
	v_fma_f64 v[52:53], v[0:1], v[16:17], -v[52:53]
	v_mul_f64 v[54:55], v[0:1], v[18:19]
	v_add_f64 v[30:31], v[30:31], v[58:59]
	v_fmac_f64_e32 v[54:55], v[2:3], v[16:17]
	v_add_f64 v[52:53], v[28:29], v[52:53]
	s_waitcnt lgkmcnt(1)
	v_mul_f64 v[28:29], v[2:3], v[22:23]
	v_add_f64 v[54:55], v[54:55], v[30:31]
	v_fma_f64 v[56:57], v[0:1], v[20:21], -v[28:29]
	ds_read_b128 v[28:31], v35 offset:2112
	v_mul_f64 v[0:1], v[0:1], v[22:23]
	v_fmac_f64_e32 v[0:1], v[2:3], v[20:21]
	v_add_f64 v[42:43], v[42:43], v[56:57]
	v_add_f64 v[40:41], v[0:1], v[40:41]
	ds_read_b128 v[0:3], v35 offset:2128
	s_waitcnt lgkmcnt(1)
	v_mul_f64 v[56:57], v[30:31], v[18:19]
	v_mul_f64 v[18:19], v[28:29], v[18:19]
	v_fma_f64 v[56:57], v[28:29], v[16:17], -v[56:57]
	v_fmac_f64_e32 v[18:19], v[30:31], v[16:17]
	v_mul_f64 v[16:17], v[30:31], v[22:23]
	v_add_f64 v[44:45], v[44:45], v[56:57]
	v_add_f64 v[46:47], v[18:19], v[46:47]
	v_fma_f64 v[56:57], v[28:29], v[20:21], -v[16:17]
	v_mul_f64 v[22:23], v[28:29], v[22:23]
	ds_read_b128 v[16:19], v34 offset:2560
	v_fmac_f64_e32 v[22:23], v[30:31], v[20:21]
	v_add_f64 v[30:31], v[22:23], v[50:51]
	ds_read_b128 v[20:23], v34 offset:2816
	v_add_f64 v[28:29], v[48:49], v[56:57]
	s_waitcnt lgkmcnt(1)
	v_mul_f64 v[48:49], v[26:27], v[18:19]
	v_fma_f64 v[48:49], v[24:25], v[16:17], -v[48:49]
	v_add_f64 v[48:49], v[52:53], v[48:49]
	s_waitcnt lgkmcnt(0)
	v_mul_f64 v[52:53], v[26:27], v[22:23]
	v_mul_f64 v[50:51], v[24:25], v[18:19]
	v_fma_f64 v[52:53], v[24:25], v[20:21], -v[52:53]
	v_mul_f64 v[24:25], v[24:25], v[22:23]
	v_fmac_f64_e32 v[24:25], v[26:27], v[20:21]
	v_add_f64 v[40:41], v[24:25], v[40:41]
	v_mul_f64 v[24:25], v[2:3], v[18:19]
	v_mul_f64 v[18:19], v[0:1], v[18:19]
	v_fmac_f64_e32 v[50:51], v[26:27], v[16:17]
	v_fma_f64 v[24:25], v[0:1], v[16:17], -v[24:25]
	v_fmac_f64_e32 v[18:19], v[2:3], v[16:17]
	v_mul_f64 v[16:17], v[2:3], v[22:23]
	v_mul_f64 v[22:23], v[0:1], v[22:23]
	v_add_f64 v[44:45], v[44:45], v[24:25]
	v_add_f64 v[46:47], v[18:19], v[46:47]
	v_fma_f64 v[24:25], v[0:1], v[20:21], -v[16:17]
	v_fmac_f64_e32 v[22:23], v[2:3], v[20:21]
	ds_read_b128 v[0:3], v35 offset:96
	ds_read_b128 v[16:19], v34 offset:3072
	v_add_f64 v[50:51], v[50:51], v[54:55]
	v_add_f64 v[42:43], v[42:43], v[52:53]
	v_add_f64 v[52:53], v[28:29], v[24:25]
	v_add_f64 v[54:55], v[22:23], v[30:31]
	ds_read_b128 v[20:23], v34 offset:3328
	ds_read_b128 v[24:27], v35 offset:112
	s_waitcnt lgkmcnt(2)
	v_mul_f64 v[28:29], v[2:3], v[18:19]
	v_fma_f64 v[28:29], v[0:1], v[16:17], -v[28:29]
	v_mul_f64 v[30:31], v[0:1], v[18:19]
	v_fmac_f64_e32 v[30:31], v[2:3], v[16:17]
	v_add_f64 v[48:49], v[48:49], v[28:29]
	s_waitcnt lgkmcnt(1)
	v_mul_f64 v[28:29], v[2:3], v[22:23]
	v_add_f64 v[50:51], v[30:31], v[50:51]
	v_fma_f64 v[56:57], v[0:1], v[20:21], -v[28:29]
	ds_read_b128 v[28:31], v35 offset:2144
	v_mul_f64 v[0:1], v[0:1], v[22:23]
	v_fmac_f64_e32 v[0:1], v[2:3], v[20:21]
	v_add_f64 v[58:59], v[0:1], v[40:41]
	ds_read_b128 v[0:3], v35 offset:2160
	s_waitcnt lgkmcnt(1)
	v_mul_f64 v[40:41], v[30:31], v[18:19]
	v_mul_f64 v[18:19], v[28:29], v[18:19]
	v_fma_f64 v[40:41], v[28:29], v[16:17], -v[40:41]
	v_fmac_f64_e32 v[18:19], v[30:31], v[16:17]
	v_mul_f64 v[16:17], v[30:31], v[22:23]
	v_add_f64 v[44:45], v[44:45], v[40:41]
	v_add_f64 v[46:47], v[18:19], v[46:47]
	v_fma_f64 v[40:41], v[28:29], v[20:21], -v[16:17]
	ds_read_b128 v[16:19], v34 offset:3584
	v_add_f64 v[56:57], v[42:43], v[56:57]
	v_add_f64 v[52:53], v[52:53], v[40:41]
	ds_read_b128 v[40:43], v34 offset:3840
	v_mul_f64 v[22:23], v[28:29], v[22:23]
	v_fmac_f64_e32 v[22:23], v[30:31], v[20:21]
	s_waitcnt lgkmcnt(1)
	v_mul_f64 v[20:21], v[26:27], v[18:19]
	v_fma_f64 v[20:21], v[24:25], v[16:17], -v[20:21]
	v_add_f64 v[54:55], v[22:23], v[54:55]
	v_mul_f64 v[22:23], v[24:25], v[18:19]
	v_add_f64 v[28:29], v[48:49], v[20:21]
	s_waitcnt lgkmcnt(0)
	v_mul_f64 v[20:21], v[26:27], v[42:43]
	v_fmac_f64_e32 v[22:23], v[26:27], v[16:17]
	v_fma_f64 v[20:21], v[24:25], v[40:41], -v[20:21]
	v_add_f64 v[30:31], v[22:23], v[50:51]
	v_mul_f64 v[22:23], v[24:25], v[42:43]
	v_add_f64 v[24:25], v[56:57], v[20:21]
	v_mul_f64 v[20:21], v[2:3], v[18:19]
	v_mul_f64 v[18:19], v[0:1], v[18:19]
	v_fma_f64 v[20:21], v[0:1], v[16:17], -v[20:21]
	v_fmac_f64_e32 v[18:19], v[2:3], v[16:17]
	v_mul_f64 v[16:17], v[2:3], v[42:43]
	v_fma_f64 v[16:17], v[0:1], v[40:41], -v[16:17]
	v_mul_f64 v[0:1], v[0:1], v[42:43]
	v_fmac_f64_e32 v[22:23], v[26:27], v[40:41]
	v_fmac_f64_e32 v[0:1], v[2:3], v[40:41]
	s_addc_u32 s13, s13, 0
	v_add_f64 v[26:27], v[22:23], v[58:59]
	v_add_f64 v[22:23], v[18:19], v[46:47]
	;; [unrolled: 1-line block ×4, first 2 shown]
	v_mov_b64_e32 v[0:1], s[12:13]
	v_cmp_gt_i64_e32 vcc, s[8:9], v[0:1]
	v_add_f64 v[20:21], v[44:45], v[20:21]
	s_barrier
	s_cbranch_vccz .LBB254_16
.LBB254_8:                              ; =>This Inner Loop Header: Depth=1
	s_mov_b64 s[22:23], s[10:11]
	s_mov_b64 s[16:17], 0
	s_and_saveexec_b64 s[18:19], s[0:1]
	s_cbranch_execnz .LBB254_14
; %bb.9:                                ;   in Loop: Header=BB254_8 Depth=1
	s_or_b64 exec, exec, s[18:19]
	s_and_saveexec_b64 s[18:19], s[22:23]
	s_xor_b64 s[18:19], exec, s[18:19]
	s_cbranch_execnz .LBB254_15
.LBB254_10:                             ;   in Loop: Header=BB254_8 Depth=1
	s_or_b64 exec, exec, s[18:19]
	s_and_saveexec_b64 s[18:19], s[16:17]
	s_cbranch_execz .LBB254_12
.LBB254_11:                             ;   in Loop: Header=BB254_8 Depth=1
	v_mul_lo_u32 v2, s15, v14
	v_mul_lo_u32 v3, s14, v15
	v_mad_u64_u32 v[0:1], s[16:17], s14, v14, 0
	v_add3_u32 v1, v1, v3, v2
	v_lshl_add_u64 v[0:1], v[0:1], 4, v[8:9]
	global_load_dwordx4 v[0:3], v[0:1], off
	s_waitcnt vmcnt(0)
	ds_write2_b64 v32, v[0:1], v[2:3] offset1:1
.LBB254_12:                             ;   in Loop: Header=BB254_8 Depth=1
	s_or_b64 exec, exec, s[18:19]
	v_add_u32_e32 v12, s12, v4
	v_cmp_gt_u64_e32 vcc, s[8:9], v[12:13]
	s_and_b64 s[18:19], vcc, s[2:3]
	v_mov_b64_e32 v[0:1], 0
	v_mov_b64_e32 v[2:3], 0
	s_and_saveexec_b64 s[16:17], s[18:19]
	s_cbranch_execz .LBB254_7
; %bb.13:                               ;   in Loop: Header=BB254_8 Depth=1
	v_mad_u64_u32 v[0:1], s[18:19], s20, v12, 0
	v_mov_b32_e32 v2, v1
	v_mad_u64_u32 v[2:3], s[18:19], s21, v12, v[2:3]
	v_mov_b32_e32 v1, v2
	v_lshl_add_u64 v[0:1], v[0:1], 4, v[10:11]
	global_load_dwordx4 v[0:3], v[0:1], off
	s_waitcnt vmcnt(0)
	v_xor_b32_e32 v3, 0x80000000, v3
	s_branch .LBB254_7
.LBB254_14:                             ;   in Loop: Header=BB254_8 Depth=1
	v_add_u32_e32 v12, s12, v6
	v_cmp_le_u64_e32 vcc, s[8:9], v[12:13]
	s_andn2_b64 s[22:23], s[10:11], exec
	s_and_b64 s[34:35], vcc, exec
	s_mov_b64 s[16:17], exec
	s_or_b64 s[22:23], s[22:23], s[34:35]
	v_mov_b64_e32 v[14:15], v[12:13]
	s_or_b64 exec, exec, s[18:19]
	s_and_saveexec_b64 s[18:19], s[22:23]
	s_xor_b64 s[18:19], exec, s[18:19]
	s_cbranch_execz .LBB254_10
.LBB254_15:                             ;   in Loop: Header=BB254_8 Depth=1
	ds_write_b128 v32, v[36:39]
	s_andn2_b64 s[16:17], s[16:17], exec
	s_or_b64 exec, exec, s[18:19]
	s_and_saveexec_b64 s[18:19], s[16:17]
	s_cbranch_execnz .LBB254_11
	s_branch .LBB254_12
.LBB254_16:
	s_mul_i32 s0, s31, s4
	s_mul_hi_u32 s1, s30, s4
	s_add_i32 s1, s1, s0
	s_mul_i32 s0, s30, s4
	s_lshl_b64 s[0:1], s[0:1], 4
	v_add_u32_e32 v10, s33, v7
	s_add_u32 s4, s26, s0
	v_ashrrev_i32_e32 v0, 31, v10
	s_addc_u32 s5, s27, s1
	v_cmp_neq_f64_e64 s[0:1], s[36:37], 0
	s_xor_b64 s[6:7], s[6:7], -1
	v_mul_lo_u32 v2, s28, v0
	v_mul_lo_u32 v3, s29, v10
	v_mad_u64_u32 v[0:1], s[8:9], s28, v10, 0
	v_add_u32_e32 v4, s25, v5
	v_add3_u32 v1, v1, v2, v3
	s_or_b64 s[0:1], s[0:1], s[6:7]
	s_waitcnt lgkmcnt(0)
	v_cmp_gt_i32_e64 s[2:3], s24, v10
	v_lshl_add_u64 v[8:9], v[0:1], 4, s[4:5]
	v_cmp_le_i32_e32 vcc, v4, v10
	v_cndmask_b32_e64 v0, 0, 1, s[0:1]
	s_and_b64 s[8:9], s[2:3], vcc
	v_ashrrev_i32_e32 v5, 31, v4
	v_cmp_ne_u32_e64 s[0:1], 1, v0
	s_and_saveexec_b64 s[6:7], s[8:9]
	s_cbranch_execz .LBB254_20
; %bb.17:
	v_mul_f64 v[0:1], s[42:43], v[30:31]
	v_mul_f64 v[2:3], s[40:41], v[30:31]
	v_fma_f64 v[0:1], s[40:41], v[28:29], -v[0:1]
	v_fmac_f64_e32 v[2:3], s[42:43], v[28:29]
	s_and_b64 vcc, exec, s[0:1]
	v_lshl_add_u64 v[6:7], v[4:5], 4, v[8:9]
	s_cbranch_vccnz .LBB254_19
; %bb.18:
	global_load_dwordx4 v[12:15], v[6:7], off
	s_waitcnt vmcnt(0)
	v_mul_f64 v[28:29], s[38:39], v[14:15]
	v_mul_f64 v[14:15], s[36:37], v[14:15]
	v_fma_f64 v[28:29], s[36:37], v[12:13], -v[28:29]
	v_fmac_f64_e32 v[14:15], s[38:39], v[12:13]
	v_add_f64 v[0:1], v[0:1], v[28:29]
	v_add_f64 v[2:3], v[2:3], v[14:15]
.LBB254_19:
	global_store_dwordx4 v[6:7], v[0:3], off
.LBB254_20:
	s_or_b64 exec, exec, s[6:7]
	v_add_u32_e32 v6, 16, v4
	v_cmp_le_i32_e32 vcc, v6, v10
	s_and_b64 s[6:7], s[2:3], vcc
	v_ashrrev_i32_e32 v7, 31, v6
	s_and_saveexec_b64 s[2:3], s[6:7]
	s_cbranch_execz .LBB254_24
; %bb.21:
	v_mul_f64 v[0:1], s[42:43], v[26:27]
	v_mul_f64 v[2:3], s[40:41], v[26:27]
	v_fma_f64 v[0:1], s[40:41], v[24:25], -v[0:1]
	v_fmac_f64_e32 v[2:3], s[42:43], v[24:25]
	s_and_b64 vcc, exec, s[0:1]
	v_lshl_add_u64 v[8:9], v[6:7], 4, v[8:9]
	s_cbranch_vccnz .LBB254_23
; %bb.22:
	global_load_dwordx4 v[12:15], v[8:9], off
	s_waitcnt vmcnt(0)
	v_mul_f64 v[24:25], s[38:39], v[14:15]
	v_mul_f64 v[14:15], s[36:37], v[14:15]
	v_fma_f64 v[24:25], s[36:37], v[12:13], -v[24:25]
	v_fmac_f64_e32 v[14:15], s[38:39], v[12:13]
	v_add_f64 v[0:1], v[0:1], v[24:25]
	v_add_f64 v[2:3], v[2:3], v[14:15]
.LBB254_23:
	global_store_dwordx4 v[8:9], v[0:3], off
.LBB254_24:
	s_or_b64 exec, exec, s[2:3]
	v_add_u32_e32 v10, 16, v10
	v_ashrrev_i32_e32 v0, 31, v10
	v_mul_lo_u32 v2, s28, v0
	v_mul_lo_u32 v3, s29, v10
	v_mad_u64_u32 v[0:1], s[6:7], s28, v10, 0
	v_cmp_gt_i32_e64 s[2:3], s24, v10
	v_add3_u32 v1, v1, v2, v3
	v_cmp_le_i32_e32 vcc, v4, v10
	v_lshl_add_u64 v[8:9], v[0:1], 4, s[4:5]
	s_and_b64 s[6:7], s[2:3], vcc
	s_and_saveexec_b64 s[4:5], s[6:7]
	s_cbranch_execz .LBB254_28
; %bb.25:
	v_mul_f64 v[0:1], s[42:43], v[22:23]
	v_mul_f64 v[2:3], s[40:41], v[22:23]
	v_fma_f64 v[0:1], s[40:41], v[20:21], -v[0:1]
	v_fmac_f64_e32 v[2:3], s[42:43], v[20:21]
	s_and_b64 vcc, exec, s[0:1]
	v_lshl_add_u64 v[4:5], v[4:5], 4, v[8:9]
	s_cbranch_vccnz .LBB254_27
; %bb.26:
	global_load_dwordx4 v[12:15], v[4:5], off
	s_waitcnt vmcnt(0)
	v_mul_f64 v[20:21], s[38:39], v[14:15]
	v_mul_f64 v[14:15], s[36:37], v[14:15]
	v_fma_f64 v[20:21], s[36:37], v[12:13], -v[20:21]
	v_fmac_f64_e32 v[14:15], s[38:39], v[12:13]
	v_add_f64 v[0:1], v[0:1], v[20:21]
	v_add_f64 v[2:3], v[2:3], v[14:15]
.LBB254_27:
	global_store_dwordx4 v[4:5], v[0:3], off
.LBB254_28:
	s_or_b64 exec, exec, s[4:5]
	v_cmp_le_i32_e32 vcc, v6, v10
	s_and_b64 s[2:3], s[2:3], vcc
	s_and_saveexec_b64 s[4:5], s[2:3]
	s_cbranch_execz .LBB254_32
; %bb.29:
	v_mul_f64 v[0:1], s[42:43], v[16:17]
	v_mul_f64 v[2:3], s[40:41], v[16:17]
	v_fma_f64 v[0:1], s[40:41], v[18:19], -v[0:1]
	v_fmac_f64_e32 v[2:3], s[42:43], v[18:19]
	s_and_b64 vcc, exec, s[0:1]
	v_lshl_add_u64 v[4:5], v[6:7], 4, v[8:9]
	s_cbranch_vccnz .LBB254_31
; %bb.30:
	global_load_dwordx4 v[6:9], v[4:5], off
	s_waitcnt vmcnt(0)
	v_mul_f64 v[10:11], s[38:39], v[8:9]
	v_mul_f64 v[8:9], s[36:37], v[8:9]
	v_fma_f64 v[10:11], s[36:37], v[6:7], -v[10:11]
	v_fmac_f64_e32 v[8:9], s[38:39], v[6:7]
	v_add_f64 v[0:1], v[0:1], v[10:11]
	v_add_f64 v[2:3], v[2:3], v[8:9]
.LBB254_31:
	global_store_dwordx4 v[4:5], v[0:3], off
.LBB254_32:
	s_endpgm
	.section	.rodata,"a",@progbits
	.p2align	6, 0x0
	.amdhsa_kernel _ZL29rocblas_internal_gemmt_kernelIlLi16ELi32ELi8ELc78ELc67ELc85ELb0ELb1E19rocblas_complex_numIdEPKS1_S3_PS1_EviT_T9_T10_S5_lS7_S5_lS6_T11_S5_li
		.amdhsa_group_segment_fixed_size 8192
		.amdhsa_private_segment_fixed_size 0
		.amdhsa_kernarg_size 108
		.amdhsa_user_sgpr_count 2
		.amdhsa_user_sgpr_dispatch_ptr 0
		.amdhsa_user_sgpr_queue_ptr 0
		.amdhsa_user_sgpr_kernarg_segment_ptr 1
		.amdhsa_user_sgpr_dispatch_id 0
		.amdhsa_user_sgpr_kernarg_preload_length 0
		.amdhsa_user_sgpr_kernarg_preload_offset 0
		.amdhsa_user_sgpr_private_segment_size 0
		.amdhsa_uses_dynamic_stack 0
		.amdhsa_enable_private_segment 0
		.amdhsa_system_sgpr_workgroup_id_x 1
		.amdhsa_system_sgpr_workgroup_id_y 1
		.amdhsa_system_sgpr_workgroup_id_z 1
		.amdhsa_system_sgpr_workgroup_info 0
		.amdhsa_system_vgpr_workitem_id 1
		.amdhsa_next_free_vgpr 66
		.amdhsa_next_free_sgpr 44
		.amdhsa_accum_offset 68
		.amdhsa_reserve_vcc 1
		.amdhsa_float_round_mode_32 0
		.amdhsa_float_round_mode_16_64 0
		.amdhsa_float_denorm_mode_32 3
		.amdhsa_float_denorm_mode_16_64 3
		.amdhsa_dx10_clamp 1
		.amdhsa_ieee_mode 1
		.amdhsa_fp16_overflow 0
		.amdhsa_tg_split 0
		.amdhsa_exception_fp_ieee_invalid_op 0
		.amdhsa_exception_fp_denorm_src 0
		.amdhsa_exception_fp_ieee_div_zero 0
		.amdhsa_exception_fp_ieee_overflow 0
		.amdhsa_exception_fp_ieee_underflow 0
		.amdhsa_exception_fp_ieee_inexact 0
		.amdhsa_exception_int_div_zero 0
	.end_amdhsa_kernel
	.section	.text._ZL29rocblas_internal_gemmt_kernelIlLi16ELi32ELi8ELc78ELc67ELc85ELb0ELb1E19rocblas_complex_numIdEPKS1_S3_PS1_EviT_T9_T10_S5_lS7_S5_lS6_T11_S5_li,"axG",@progbits,_ZL29rocblas_internal_gemmt_kernelIlLi16ELi32ELi8ELc78ELc67ELc85ELb0ELb1E19rocblas_complex_numIdEPKS1_S3_PS1_EviT_T9_T10_S5_lS7_S5_lS6_T11_S5_li,comdat
.Lfunc_end254:
	.size	_ZL29rocblas_internal_gemmt_kernelIlLi16ELi32ELi8ELc78ELc67ELc85ELb0ELb1E19rocblas_complex_numIdEPKS1_S3_PS1_EviT_T9_T10_S5_lS7_S5_lS6_T11_S5_li, .Lfunc_end254-_ZL29rocblas_internal_gemmt_kernelIlLi16ELi32ELi8ELc78ELc67ELc85ELb0ELb1E19rocblas_complex_numIdEPKS1_S3_PS1_EviT_T9_T10_S5_lS7_S5_lS6_T11_S5_li
                                        ; -- End function
	.set _ZL29rocblas_internal_gemmt_kernelIlLi16ELi32ELi8ELc78ELc67ELc85ELb0ELb1E19rocblas_complex_numIdEPKS1_S3_PS1_EviT_T9_T10_S5_lS7_S5_lS6_T11_S5_li.num_vgpr, 66
	.set _ZL29rocblas_internal_gemmt_kernelIlLi16ELi32ELi8ELc78ELc67ELc85ELb0ELb1E19rocblas_complex_numIdEPKS1_S3_PS1_EviT_T9_T10_S5_lS7_S5_lS6_T11_S5_li.num_agpr, 0
	.set _ZL29rocblas_internal_gemmt_kernelIlLi16ELi32ELi8ELc78ELc67ELc85ELb0ELb1E19rocblas_complex_numIdEPKS1_S3_PS1_EviT_T9_T10_S5_lS7_S5_lS6_T11_S5_li.numbered_sgpr, 44
	.set _ZL29rocblas_internal_gemmt_kernelIlLi16ELi32ELi8ELc78ELc67ELc85ELb0ELb1E19rocblas_complex_numIdEPKS1_S3_PS1_EviT_T9_T10_S5_lS7_S5_lS6_T11_S5_li.num_named_barrier, 0
	.set _ZL29rocblas_internal_gemmt_kernelIlLi16ELi32ELi8ELc78ELc67ELc85ELb0ELb1E19rocblas_complex_numIdEPKS1_S3_PS1_EviT_T9_T10_S5_lS7_S5_lS6_T11_S5_li.private_seg_size, 0
	.set _ZL29rocblas_internal_gemmt_kernelIlLi16ELi32ELi8ELc78ELc67ELc85ELb0ELb1E19rocblas_complex_numIdEPKS1_S3_PS1_EviT_T9_T10_S5_lS7_S5_lS6_T11_S5_li.uses_vcc, 1
	.set _ZL29rocblas_internal_gemmt_kernelIlLi16ELi32ELi8ELc78ELc67ELc85ELb0ELb1E19rocblas_complex_numIdEPKS1_S3_PS1_EviT_T9_T10_S5_lS7_S5_lS6_T11_S5_li.uses_flat_scratch, 0
	.set _ZL29rocblas_internal_gemmt_kernelIlLi16ELi32ELi8ELc78ELc67ELc85ELb0ELb1E19rocblas_complex_numIdEPKS1_S3_PS1_EviT_T9_T10_S5_lS7_S5_lS6_T11_S5_li.has_dyn_sized_stack, 0
	.set _ZL29rocblas_internal_gemmt_kernelIlLi16ELi32ELi8ELc78ELc67ELc85ELb0ELb1E19rocblas_complex_numIdEPKS1_S3_PS1_EviT_T9_T10_S5_lS7_S5_lS6_T11_S5_li.has_recursion, 0
	.set _ZL29rocblas_internal_gemmt_kernelIlLi16ELi32ELi8ELc78ELc67ELc85ELb0ELb1E19rocblas_complex_numIdEPKS1_S3_PS1_EviT_T9_T10_S5_lS7_S5_lS6_T11_S5_li.has_indirect_call, 0
	.section	.AMDGPU.csdata,"",@progbits
; Kernel info:
; codeLenInByte = 3228
; TotalNumSgprs: 50
; NumVgprs: 66
; NumAgprs: 0
; TotalNumVgprs: 66
; ScratchSize: 0
; MemoryBound: 1
; FloatMode: 240
; IeeeMode: 1
; LDSByteSize: 8192 bytes/workgroup (compile time only)
; SGPRBlocks: 6
; VGPRBlocks: 8
; NumSGPRsForWavesPerEU: 50
; NumVGPRsForWavesPerEU: 66
; AccumOffset: 68
; Occupancy: 7
; WaveLimiterHint : 0
; COMPUTE_PGM_RSRC2:SCRATCH_EN: 0
; COMPUTE_PGM_RSRC2:USER_SGPR: 2
; COMPUTE_PGM_RSRC2:TRAP_HANDLER: 0
; COMPUTE_PGM_RSRC2:TGID_X_EN: 1
; COMPUTE_PGM_RSRC2:TGID_Y_EN: 1
; COMPUTE_PGM_RSRC2:TGID_Z_EN: 1
; COMPUTE_PGM_RSRC2:TIDIG_COMP_CNT: 1
; COMPUTE_PGM_RSRC3_GFX90A:ACCUM_OFFSET: 16
; COMPUTE_PGM_RSRC3_GFX90A:TG_SPLIT: 0
	.section	.text._ZL29rocblas_internal_gemmt_kernelIlLi16ELi32ELi8ELc84ELc78ELc85ELb0ELb0E19rocblas_complex_numIdEPKS1_S3_PS1_EviT_T9_T10_S5_lS7_S5_lS6_T11_S5_li,"axG",@progbits,_ZL29rocblas_internal_gemmt_kernelIlLi16ELi32ELi8ELc84ELc78ELc85ELb0ELb0E19rocblas_complex_numIdEPKS1_S3_PS1_EviT_T9_T10_S5_lS7_S5_lS6_T11_S5_li,comdat
	.globl	_ZL29rocblas_internal_gemmt_kernelIlLi16ELi32ELi8ELc84ELc78ELc85ELb0ELb0E19rocblas_complex_numIdEPKS1_S3_PS1_EviT_T9_T10_S5_lS7_S5_lS6_T11_S5_li ; -- Begin function _ZL29rocblas_internal_gemmt_kernelIlLi16ELi32ELi8ELc84ELc78ELc85ELb0ELb0E19rocblas_complex_numIdEPKS1_S3_PS1_EviT_T9_T10_S5_lS7_S5_lS6_T11_S5_li
	.p2align	8
	.type	_ZL29rocblas_internal_gemmt_kernelIlLi16ELi32ELi8ELc84ELc78ELc85ELb0ELb0E19rocblas_complex_numIdEPKS1_S3_PS1_EviT_T9_T10_S5_lS7_S5_lS6_T11_S5_li,@function
_ZL29rocblas_internal_gemmt_kernelIlLi16ELi32ELi8ELc84ELc78ELc85ELb0ELb0E19rocblas_complex_numIdEPKS1_S3_PS1_EviT_T9_T10_S5_lS7_S5_lS6_T11_S5_li: ; @_ZL29rocblas_internal_gemmt_kernelIlLi16ELi32ELi8ELc84ELc78ELc85ELb0ELb0E19rocblas_complex_numIdEPKS1_S3_PS1_EviT_T9_T10_S5_lS7_S5_lS6_T11_S5_li
; %bb.0:
	s_load_dwordx8 s[24:31], s[0:1], 0x48
	s_load_dwordx16 s[8:23], s[0:1], 0x8
	s_waitcnt lgkmcnt(0)
	s_load_dwordx4 s[36:39], s[24:25], 0x0
	s_load_dwordx4 s[40:43], s[10:11], 0x0
	s_mov_b64 s[24:25], 0
	s_waitcnt lgkmcnt(0)
	v_cmp_eq_f64_e64 s[10:11], s[36:37], 1.0
	v_cmp_eq_f64_e64 s[6:7], s[38:39], 0
	s_and_b64 s[10:11], s[10:11], s[6:7]
	s_andn2_b64 vcc, exec, s[10:11]
	s_mov_b64 s[10:11], -1
	s_cbranch_vccnz .LBB255_4
; %bb.1:
	s_cmp_lg_u64 s[8:9], 0
	s_cbranch_scc0 .LBB255_3
; %bb.2:
	v_cmp_neq_f64_e64 s[10:11], s[40:41], 0
	v_cmp_neq_f64_e64 s[24:25], s[42:43], 0
	s_or_b64 s[24:25], s[10:11], s[24:25]
.LBB255_3:
	s_mov_b64 s[10:11], s[24:25]
.LBB255_4:
	s_and_b64 vcc, exec, s[10:11]
	s_cbranch_vccz .LBB255_34
; %bb.5:
	s_load_dword s24, s[0:1], 0x0
	s_lshl_b32 s25, s2, 5
	s_lshl_b32 s33, s3, 5
	v_cmp_eq_f64_e64 s[0:1], s[40:41], 0
	v_cmp_eq_f64_e64 s[2:3], s[42:43], 0
	s_and_b64 s[0:1], s[0:1], s[2:3]
	v_cmp_lt_i64_e64 s[2:3], s[8:9], 1
	s_or_b64 s[0:1], s[0:1], s[2:3]
	v_and_b32_e32 v1, 0x3ff, v0
	v_bfe_u32 v3, v0, 10, 10
	v_mov_b64_e32 v[24:25], 0
	s_and_b64 vcc, exec, s[0:1]
	v_mov_b64_e32 v[26:27], 0
	v_mov_b64_e32 v[16:17], 0
	;; [unrolled: 1-line block ×7, first 2 shown]
	s_cbranch_vccnz .LBB255_18
; %bb.6:
	s_mul_i32 s0, s23, s4
	s_mul_hi_u32 s1, s22, s4
	s_add_i32 s1, s1, s0
	s_mul_i32 s0, s22, s4
	s_lshl_b64 s[0:1], s[0:1], 4
	s_add_u32 s10, s18, s0
	s_addc_u32 s11, s19, s1
	s_mul_i32 s0, s17, s4
	s_mul_hi_u32 s1, s16, s4
	s_add_i32 s1, s1, s0
	s_mul_i32 s0, s16, s4
	v_lshl_add_u32 v4, v3, 4, v1
	s_lshl_b64 s[0:1], s[0:1], 4
	v_lshrrev_b32_e32 v2, 5, v4
	v_lshrrev_b32_e32 v6, 3, v4
	v_and_b32_e32 v4, 31, v4
	s_add_u32 s12, s12, s0
	v_or_b32_e32 v5, s25, v4
	s_addc_u32 s13, s13, s1
	v_lshlrev_b32_e32 v4, 4, v4
	s_ashr_i32 s5, s25, 31
	v_and_b32_e32 v0, 7, v1
	s_waitcnt lgkmcnt(0)
	v_cmp_gt_i32_e64 s[0:1], s24, v5
	v_cmp_le_i32_e64 s[2:3], s24, v5
	v_lshl_or_b32 v28, v2, 9, v4
	v_mul_lo_u32 v8, s15, v5
	v_mad_u64_u32 v[4:5], s[16:17], s14, v5, 0
	s_mul_i32 s5, s14, s5
	v_add3_u32 v5, v5, s5, v8
	v_lshlrev_b32_e32 v8, 4, v0
	v_add_u32_e32 v7, s33, v6
	v_lshl_or_b32 v6, v6, 7, v8
	v_add_u32_e32 v29, 0x1000, v6
	v_ashrrev_i32_e32 v6, 31, v7
	v_lshl_add_u64 v[4:5], v[4:5], 4, s[12:13]
	v_cmp_gt_i32_e32 vcc, s24, v7
	v_mul_lo_u32 v8, s20, v6
	v_mul_lo_u32 v9, s21, v7
	v_mad_u64_u32 v[6:7], s[12:13], s20, v7, 0
	v_add3_u32 v7, v7, v8, v9
	v_mov_b32_e32 v8, 0x1000
	v_mov_b32_e32 v9, 0
	v_lshl_add_u64 v[6:7], v[6:7], 4, s[10:11]
	v_lshlrev_b32_e32 v30, 4, v1
	v_lshl_add_u32 v31, v3, 7, v8
	v_mov_b64_e32 v[12:13], 0
	s_mov_b64 s[10:11], 0
	s_xor_b64 s[12:13], vcc, -1
	v_mov_b32_e32 v32, v9
	v_mov_b32_e32 v33, v9
	;; [unrolled: 1-line block ×4, first 2 shown]
	v_mov_b64_e32 v[14:15], 0
	v_mov_b64_e32 v[22:23], 0
	;; [unrolled: 1-line block ×7, first 2 shown]
                                        ; implicit-def: $vgpr10_vgpr11
	s_branch .LBB255_8
.LBB255_7:                              ;   in Loop: Header=BB255_8 Depth=1
	s_or_b64 exec, exec, s[14:15]
	s_waitcnt lgkmcnt(0)
	s_barrier
	ds_read_b128 v[36:39], v31
	ds_read_b128 v[40:43], v31 offset:16
	ds_read_b128 v[44:47], v31 offset:32
	;; [unrolled: 1-line block ×3, first 2 shown]
	ds_read_b128 v[52:55], v30
	s_add_u32 s10, s10, 8
	s_addc_u32 s11, s11, 0
	s_waitcnt lgkmcnt(0)
	v_mul_f64 v[56:57], v[38:39], v[54:55]
	v_mul_f64 v[58:59], v[36:37], v[54:55]
	v_fma_f64 v[56:57], v[36:37], v[52:53], -v[56:57]
	v_fmac_f64_e32 v[58:59], v[38:39], v[52:53]
	v_add_f64 v[56:57], v[24:25], v[56:57]
	v_add_f64 v[58:59], v[58:59], v[26:27]
	ds_read_b128 v[24:27], v30 offset:256
	s_waitcnt lgkmcnt(0)
	v_mul_f64 v[60:61], v[38:39], v[26:27]
	v_fma_f64 v[60:61], v[36:37], v[24:25], -v[60:61]
	v_mul_f64 v[36:37], v[36:37], v[26:27]
	v_fmac_f64_e32 v[36:37], v[38:39], v[24:25]
	v_add_f64 v[38:39], v[16:17], v[60:61]
	v_add_f64 v[36:37], v[36:37], v[18:19]
	ds_read_b128 v[16:19], v31 offset:2048
	s_waitcnt lgkmcnt(0)
	v_mul_f64 v[60:61], v[18:19], v[54:55]
	v_fma_f64 v[60:61], v[16:17], v[52:53], -v[60:61]
	v_mul_f64 v[54:55], v[16:17], v[54:55]
	v_fmac_f64_e32 v[54:55], v[18:19], v[52:53]
	v_add_f64 v[52:53], v[20:21], v[60:61]
	v_mul_f64 v[20:21], v[18:19], v[26:27]
	v_fma_f64 v[20:21], v[16:17], v[24:25], -v[20:21]
	v_mul_f64 v[16:17], v[16:17], v[26:27]
	v_fmac_f64_e32 v[16:17], v[18:19], v[24:25]
	v_add_f64 v[24:25], v[14:15], v[20:21]
	v_add_f64 v[26:27], v[16:17], v[12:13]
	ds_read_b128 v[12:15], v30 offset:512
	v_add_f64 v[54:55], v[54:55], v[22:23]
	s_waitcnt lgkmcnt(0)
	v_mul_f64 v[16:17], v[42:43], v[14:15]
	v_mul_f64 v[18:19], v[40:41], v[14:15]
	v_fma_f64 v[16:17], v[40:41], v[12:13], -v[16:17]
	v_fmac_f64_e32 v[18:19], v[42:43], v[12:13]
	v_add_f64 v[56:57], v[56:57], v[16:17]
	v_add_f64 v[58:59], v[18:19], v[58:59]
	ds_read_b128 v[16:19], v30 offset:768
	s_waitcnt lgkmcnt(0)
	v_mul_f64 v[20:21], v[42:43], v[18:19]
	v_mul_f64 v[22:23], v[40:41], v[18:19]
	v_fma_f64 v[20:21], v[40:41], v[16:17], -v[20:21]
	v_fmac_f64_e32 v[22:23], v[42:43], v[16:17]
	v_add_f64 v[38:39], v[38:39], v[20:21]
	v_add_f64 v[36:37], v[22:23], v[36:37]
	ds_read_b128 v[20:23], v31 offset:2064
	s_waitcnt lgkmcnt(0)
	v_mul_f64 v[40:41], v[22:23], v[14:15]
	v_mul_f64 v[14:15], v[20:21], v[14:15]
	v_fmac_f64_e32 v[14:15], v[22:23], v[12:13]
	v_fma_f64 v[40:41], v[20:21], v[12:13], -v[40:41]
	v_add_f64 v[42:43], v[14:15], v[54:55]
	v_mul_f64 v[12:13], v[22:23], v[18:19]
	v_mul_f64 v[14:15], v[20:21], v[18:19]
	v_fma_f64 v[12:13], v[20:21], v[16:17], -v[12:13]
	v_fmac_f64_e32 v[14:15], v[22:23], v[16:17]
	v_add_f64 v[24:25], v[24:25], v[12:13]
	v_add_f64 v[26:27], v[14:15], v[26:27]
	ds_read_b128 v[12:15], v30 offset:1024
	v_add_f64 v[40:41], v[52:53], v[40:41]
	s_waitcnt lgkmcnt(0)
	v_mul_f64 v[16:17], v[46:47], v[14:15]
	v_mul_f64 v[18:19], v[44:45], v[14:15]
	v_fma_f64 v[16:17], v[44:45], v[12:13], -v[16:17]
	v_fmac_f64_e32 v[18:19], v[46:47], v[12:13]
	v_add_f64 v[52:53], v[56:57], v[16:17]
	v_add_f64 v[54:55], v[18:19], v[58:59]
	ds_read_b128 v[16:19], v30 offset:1280
	s_waitcnt lgkmcnt(0)
	v_mul_f64 v[20:21], v[46:47], v[18:19]
	v_mul_f64 v[22:23], v[44:45], v[18:19]
	v_fma_f64 v[20:21], v[44:45], v[16:17], -v[20:21]
	v_fmac_f64_e32 v[22:23], v[46:47], v[16:17]
	v_add_f64 v[38:39], v[38:39], v[20:21]
	v_add_f64 v[36:37], v[22:23], v[36:37]
	ds_read_b128 v[20:23], v31 offset:2080
	s_waitcnt lgkmcnt(0)
	v_mul_f64 v[44:45], v[22:23], v[14:15]
	v_mul_f64 v[14:15], v[20:21], v[14:15]
	v_fmac_f64_e32 v[14:15], v[22:23], v[12:13]
	v_fma_f64 v[44:45], v[20:21], v[12:13], -v[44:45]
	v_add_f64 v[42:43], v[14:15], v[42:43]
	v_mul_f64 v[12:13], v[22:23], v[18:19]
	v_mul_f64 v[14:15], v[20:21], v[18:19]
	v_fma_f64 v[12:13], v[20:21], v[16:17], -v[12:13]
	;; [unrolled: 30-line block ×3, first 2 shown]
	v_fmac_f64_e32 v[14:15], v[22:23], v[16:17]
	v_add_f64 v[24:25], v[24:25], v[12:13]
	v_add_f64 v[26:27], v[14:15], v[26:27]
	ds_read_b128 v[12:15], v31 offset:64
	ds_read_b128 v[16:19], v30 offset:2048
	v_add_f64 v[40:41], v[40:41], v[48:49]
	s_waitcnt lgkmcnt(0)
	v_mul_f64 v[20:21], v[14:15], v[18:19]
	v_mul_f64 v[22:23], v[12:13], v[18:19]
	v_fma_f64 v[20:21], v[12:13], v[16:17], -v[20:21]
	v_fmac_f64_e32 v[22:23], v[14:15], v[16:17]
	v_add_f64 v[44:45], v[44:45], v[20:21]
	v_add_f64 v[46:47], v[22:23], v[46:47]
	ds_read_b128 v[20:23], v30 offset:2304
	s_waitcnt lgkmcnt(0)
	v_mul_f64 v[48:49], v[14:15], v[22:23]
	v_fma_f64 v[48:49], v[12:13], v[20:21], -v[48:49]
	v_mul_f64 v[12:13], v[12:13], v[22:23]
	v_fmac_f64_e32 v[12:13], v[14:15], v[20:21]
	v_add_f64 v[36:37], v[12:13], v[36:37]
	ds_read_b128 v[12:15], v31 offset:2112
	v_add_f64 v[38:39], v[38:39], v[48:49]
	s_waitcnt lgkmcnt(0)
	v_mul_f64 v[48:49], v[14:15], v[18:19]
	v_mul_f64 v[18:19], v[12:13], v[18:19]
	v_fma_f64 v[48:49], v[12:13], v[16:17], -v[48:49]
	v_fmac_f64_e32 v[18:19], v[14:15], v[16:17]
	v_mul_f64 v[16:17], v[14:15], v[22:23]
	v_fma_f64 v[16:17], v[12:13], v[20:21], -v[16:17]
	v_mul_f64 v[12:13], v[12:13], v[22:23]
	v_fmac_f64_e32 v[12:13], v[14:15], v[20:21]
	v_add_f64 v[42:43], v[18:19], v[42:43]
	v_add_f64 v[24:25], v[24:25], v[16:17]
	v_add_f64 v[26:27], v[12:13], v[26:27]
	ds_read_b128 v[12:15], v31 offset:80
	ds_read_b128 v[16:19], v30 offset:2560
	v_add_f64 v[40:41], v[40:41], v[48:49]
	s_waitcnt lgkmcnt(0)
	v_mul_f64 v[20:21], v[14:15], v[18:19]
	v_mul_f64 v[22:23], v[12:13], v[18:19]
	v_fma_f64 v[20:21], v[12:13], v[16:17], -v[20:21]
	v_fmac_f64_e32 v[22:23], v[14:15], v[16:17]
	v_add_f64 v[44:45], v[44:45], v[20:21]
	v_add_f64 v[46:47], v[22:23], v[46:47]
	ds_read_b128 v[20:23], v30 offset:2816
	s_waitcnt lgkmcnt(0)
	v_mul_f64 v[48:49], v[14:15], v[22:23]
	v_fma_f64 v[48:49], v[12:13], v[20:21], -v[48:49]
	v_mul_f64 v[12:13], v[12:13], v[22:23]
	v_fmac_f64_e32 v[12:13], v[14:15], v[20:21]
	v_add_f64 v[36:37], v[12:13], v[36:37]
	ds_read_b128 v[12:15], v31 offset:2128
	v_add_f64 v[38:39], v[38:39], v[48:49]
	s_waitcnt lgkmcnt(0)
	v_mul_f64 v[48:49], v[14:15], v[18:19]
	v_mul_f64 v[18:19], v[12:13], v[18:19]
	v_fma_f64 v[48:49], v[12:13], v[16:17], -v[48:49]
	v_fmac_f64_e32 v[18:19], v[14:15], v[16:17]
	v_mul_f64 v[16:17], v[14:15], v[22:23]
	v_fma_f64 v[16:17], v[12:13], v[20:21], -v[16:17]
	v_mul_f64 v[12:13], v[12:13], v[22:23]
	v_fmac_f64_e32 v[12:13], v[14:15], v[20:21]
	v_add_f64 v[42:43], v[18:19], v[42:43]
	;; [unrolled: 31-line block ×3, first 2 shown]
	ds_read_b128 v[12:15], v31 offset:112
	ds_read_b128 v[20:23], v30 offset:3584
	v_add_f64 v[40:41], v[40:41], v[36:37]
	ds_read_b128 v[36:39], v30 offset:3840
	v_add_f64 v[52:53], v[24:25], v[16:17]
	v_add_f64 v[42:43], v[18:19], v[42:43]
	s_waitcnt lgkmcnt(1)
	v_mul_f64 v[16:17], v[14:15], v[22:23]
	v_fma_f64 v[16:17], v[12:13], v[20:21], -v[16:17]
	v_add_f64 v[24:25], v[44:45], v[16:17]
	s_waitcnt lgkmcnt(0)
	v_mul_f64 v[16:17], v[14:15], v[38:39]
	v_mul_f64 v[18:19], v[12:13], v[22:23]
	v_fma_f64 v[16:17], v[12:13], v[36:37], -v[16:17]
	v_mul_f64 v[12:13], v[12:13], v[38:39]
	v_fmac_f64_e32 v[18:19], v[14:15], v[20:21]
	v_fmac_f64_e32 v[12:13], v[14:15], v[36:37]
	v_add_f64 v[26:27], v[18:19], v[46:47]
	v_add_f64 v[18:19], v[12:13], v[50:51]
	ds_read_b128 v[12:15], v31 offset:2160
	v_add_f64 v[16:17], v[48:49], v[16:17]
	s_waitcnt lgkmcnt(0)
	s_barrier
	v_mul_f64 v[44:45], v[14:15], v[22:23]
	v_fma_f64 v[44:45], v[12:13], v[20:21], -v[44:45]
	v_mul_f64 v[22:23], v[12:13], v[22:23]
	v_fmac_f64_e32 v[22:23], v[14:15], v[20:21]
	v_add_f64 v[20:21], v[40:41], v[44:45]
	v_mul_f64 v[40:41], v[14:15], v[38:39]
	v_fma_f64 v[40:41], v[12:13], v[36:37], -v[40:41]
	v_mul_f64 v[12:13], v[12:13], v[38:39]
	v_fmac_f64_e32 v[12:13], v[14:15], v[36:37]
	v_mov_b64_e32 v[36:37], s[10:11]
	v_cmp_gt_i64_e32 vcc, s[8:9], v[36:37]
	v_add_f64 v[22:23], v[22:23], v[42:43]
	v_add_f64 v[14:15], v[52:53], v[40:41]
	;; [unrolled: 1-line block ×3, first 2 shown]
	s_cbranch_vccz .LBB255_18
.LBB255_8:                              ; =>This Inner Loop Header: Depth=1
	s_mov_b64 s[18:19], s[2:3]
	s_mov_b64 s[14:15], 0
	s_and_saveexec_b64 s[16:17], s[0:1]
	s_cbranch_execnz .LBB255_16
; %bb.9:                                ;   in Loop: Header=BB255_8 Depth=1
	s_or_b64 exec, exec, s[16:17]
	s_and_saveexec_b64 s[16:17], s[18:19]
	s_xor_b64 s[16:17], exec, s[16:17]
	s_cbranch_execnz .LBB255_17
.LBB255_10:                             ;   in Loop: Header=BB255_8 Depth=1
	s_or_b64 exec, exec, s[16:17]
	s_and_saveexec_b64 s[16:17], s[14:15]
	s_cbranch_execz .LBB255_12
.LBB255_11:                             ;   in Loop: Header=BB255_8 Depth=1
	v_lshl_add_u64 v[36:37], v[10:11], 4, v[4:5]
	global_load_dwordx4 v[36:39], v[36:37], off
	s_waitcnt vmcnt(0)
	ds_write2_b64 v28, v[36:37], v[38:39] offset1:1
.LBB255_12:                             ;   in Loop: Header=BB255_8 Depth=1
	s_or_b64 exec, exec, s[16:17]
	v_add_u32_e32 v8, s10, v0
	v_cmp_le_u64_e32 vcc, s[8:9], v[8:9]
	s_or_b64 s[14:15], vcc, s[12:13]
	s_and_saveexec_b64 s[16:17], s[14:15]
	s_xor_b64 s[14:15], exec, s[16:17]
; %bb.13:                               ;   in Loop: Header=BB255_8 Depth=1
	ds_write_b128 v29, v[32:35]
; %bb.14:                               ;   in Loop: Header=BB255_8 Depth=1
	s_andn2_saveexec_b64 s[14:15], s[14:15]
	s_cbranch_execz .LBB255_7
; %bb.15:                               ;   in Loop: Header=BB255_8 Depth=1
	v_lshl_add_u64 v[36:37], v[8:9], 4, v[6:7]
	global_load_dwordx4 v[36:39], v[36:37], off
	s_waitcnt vmcnt(0)
	ds_write2_b64 v29, v[36:37], v[38:39] offset1:1
	s_branch .LBB255_7
.LBB255_16:                             ;   in Loop: Header=BB255_8 Depth=1
	v_add_u32_e32 v8, s10, v2
	v_cmp_le_u64_e32 vcc, s[8:9], v[8:9]
	s_andn2_b64 s[18:19], s[2:3], exec
	s_and_b64 s[20:21], vcc, exec
	s_mov_b64 s[14:15], exec
	s_or_b64 s[18:19], s[18:19], s[20:21]
	v_mov_b64_e32 v[10:11], v[8:9]
	s_or_b64 exec, exec, s[16:17]
	s_and_saveexec_b64 s[16:17], s[18:19]
	s_xor_b64 s[16:17], exec, s[16:17]
	s_cbranch_execz .LBB255_10
.LBB255_17:                             ;   in Loop: Header=BB255_8 Depth=1
	ds_write_b128 v28, v[32:35]
	s_andn2_b64 s[14:15], s[14:15], exec
	s_or_b64 exec, exec, s[16:17]
	s_and_saveexec_b64 s[16:17], s[14:15]
	s_cbranch_execnz .LBB255_11
	s_branch .LBB255_12
.LBB255_18:
	s_mul_i32 s0, s31, s4
	s_mul_hi_u32 s1, s30, s4
	s_add_i32 s1, s1, s0
	s_mul_i32 s0, s30, s4
	s_lshl_b64 s[0:1], s[0:1], 4
	v_add_u32_e32 v10, s33, v3
	s_add_u32 s4, s26, s0
	v_ashrrev_i32_e32 v0, 31, v10
	s_addc_u32 s5, s27, s1
	v_add_u32_e32 v4, s25, v1
	v_cmp_neq_f64_e64 s[0:1], s[36:37], 0
	s_xor_b64 s[6:7], s[6:7], -1
	v_mul_lo_u32 v2, s28, v0
	v_mul_lo_u32 v3, s29, v10
	v_mad_u64_u32 v[0:1], s[8:9], s28, v10, 0
	v_add3_u32 v1, v1, v2, v3
	s_or_b64 s[0:1], s[0:1], s[6:7]
	s_waitcnt lgkmcnt(0)
	v_cmp_gt_i32_e64 s[2:3], s24, v10
	v_lshl_add_u64 v[8:9], v[0:1], 4, s[4:5]
	v_cmp_le_i32_e32 vcc, v4, v10
	v_cndmask_b32_e64 v0, 0, 1, s[0:1]
	s_and_b64 s[8:9], s[2:3], vcc
	v_ashrrev_i32_e32 v5, 31, v4
	v_cmp_ne_u32_e64 s[0:1], 1, v0
	s_and_saveexec_b64 s[6:7], s[8:9]
	s_cbranch_execz .LBB255_22
; %bb.19:
	v_mul_f64 v[0:1], s[42:43], v[26:27]
	v_mul_f64 v[2:3], s[40:41], v[26:27]
	v_fma_f64 v[0:1], s[40:41], v[24:25], -v[0:1]
	v_fmac_f64_e32 v[2:3], s[42:43], v[24:25]
	s_and_b64 vcc, exec, s[0:1]
	v_lshl_add_u64 v[6:7], v[4:5], 4, v[8:9]
	s_cbranch_vccnz .LBB255_21
; %bb.20:
	global_load_dwordx4 v[24:27], v[6:7], off
	s_waitcnt vmcnt(0)
	v_mul_f64 v[28:29], s[38:39], v[26:27]
	v_mul_f64 v[26:27], s[36:37], v[26:27]
	v_fma_f64 v[28:29], s[36:37], v[24:25], -v[28:29]
	v_fmac_f64_e32 v[26:27], s[38:39], v[24:25]
	v_add_f64 v[0:1], v[0:1], v[28:29]
	v_add_f64 v[2:3], v[2:3], v[26:27]
.LBB255_21:
	global_store_dwordx4 v[6:7], v[0:3], off
.LBB255_22:
	s_or_b64 exec, exec, s[6:7]
	v_add_u32_e32 v6, 16, v4
	v_cmp_le_i32_e32 vcc, v6, v10
	s_and_b64 s[6:7], s[2:3], vcc
	v_ashrrev_i32_e32 v7, 31, v6
	s_and_saveexec_b64 s[2:3], s[6:7]
	s_cbranch_execz .LBB255_26
; %bb.23:
	v_mul_f64 v[0:1], s[42:43], v[18:19]
	v_mul_f64 v[2:3], s[40:41], v[18:19]
	v_fma_f64 v[0:1], s[40:41], v[16:17], -v[0:1]
	v_fmac_f64_e32 v[2:3], s[42:43], v[16:17]
	s_and_b64 vcc, exec, s[0:1]
	v_lshl_add_u64 v[8:9], v[6:7], 4, v[8:9]
	s_cbranch_vccnz .LBB255_25
; %bb.24:
	global_load_dwordx4 v[16:19], v[8:9], off
	s_waitcnt vmcnt(0)
	v_mul_f64 v[24:25], s[38:39], v[18:19]
	v_mul_f64 v[18:19], s[36:37], v[18:19]
	v_fma_f64 v[24:25], s[36:37], v[16:17], -v[24:25]
	v_fmac_f64_e32 v[18:19], s[38:39], v[16:17]
	v_add_f64 v[0:1], v[0:1], v[24:25]
	v_add_f64 v[2:3], v[2:3], v[18:19]
.LBB255_25:
	global_store_dwordx4 v[8:9], v[0:3], off
.LBB255_26:
	s_or_b64 exec, exec, s[2:3]
	v_add_u32_e32 v10, 16, v10
	v_ashrrev_i32_e32 v0, 31, v10
	v_mul_lo_u32 v2, s28, v0
	v_mul_lo_u32 v3, s29, v10
	v_mad_u64_u32 v[0:1], s[6:7], s28, v10, 0
	v_cmp_gt_i32_e64 s[2:3], s24, v10
	v_add3_u32 v1, v1, v2, v3
	v_cmp_le_i32_e32 vcc, v4, v10
	v_lshl_add_u64 v[8:9], v[0:1], 4, s[4:5]
	s_and_b64 s[6:7], s[2:3], vcc
	s_and_saveexec_b64 s[4:5], s[6:7]
	s_cbranch_execz .LBB255_30
; %bb.27:
	v_mul_f64 v[0:1], s[42:43], v[22:23]
	v_mul_f64 v[2:3], s[40:41], v[22:23]
	v_fma_f64 v[0:1], s[40:41], v[20:21], -v[0:1]
	v_fmac_f64_e32 v[2:3], s[42:43], v[20:21]
	s_and_b64 vcc, exec, s[0:1]
	v_lshl_add_u64 v[4:5], v[4:5], 4, v[8:9]
	s_cbranch_vccnz .LBB255_29
; %bb.28:
	global_load_dwordx4 v[16:19], v[4:5], off
	s_waitcnt vmcnt(0)
	v_mul_f64 v[20:21], s[38:39], v[18:19]
	v_mul_f64 v[18:19], s[36:37], v[18:19]
	v_fma_f64 v[20:21], s[36:37], v[16:17], -v[20:21]
	v_fmac_f64_e32 v[18:19], s[38:39], v[16:17]
	v_add_f64 v[0:1], v[0:1], v[20:21]
	v_add_f64 v[2:3], v[2:3], v[18:19]
.LBB255_29:
	global_store_dwordx4 v[4:5], v[0:3], off
.LBB255_30:
	s_or_b64 exec, exec, s[4:5]
	v_cmp_le_i32_e32 vcc, v6, v10
	s_and_b64 s[2:3], s[2:3], vcc
	s_and_saveexec_b64 s[4:5], s[2:3]
	s_cbranch_execz .LBB255_34
; %bb.31:
	v_mul_f64 v[0:1], s[42:43], v[12:13]
	v_mul_f64 v[2:3], s[40:41], v[12:13]
	v_fma_f64 v[0:1], s[40:41], v[14:15], -v[0:1]
	v_fmac_f64_e32 v[2:3], s[42:43], v[14:15]
	s_and_b64 vcc, exec, s[0:1]
	v_lshl_add_u64 v[4:5], v[6:7], 4, v[8:9]
	s_cbranch_vccnz .LBB255_33
; %bb.32:
	global_load_dwordx4 v[6:9], v[4:5], off
	s_waitcnt vmcnt(0)
	v_mul_f64 v[10:11], s[38:39], v[8:9]
	v_mul_f64 v[8:9], s[36:37], v[8:9]
	v_fma_f64 v[10:11], s[36:37], v[6:7], -v[10:11]
	v_fmac_f64_e32 v[8:9], s[38:39], v[6:7]
	v_add_f64 v[0:1], v[0:1], v[10:11]
	v_add_f64 v[2:3], v[2:3], v[8:9]
.LBB255_33:
	global_store_dwordx4 v[4:5], v[0:3], off
.LBB255_34:
	s_endpgm
	.section	.rodata,"a",@progbits
	.p2align	6, 0x0
	.amdhsa_kernel _ZL29rocblas_internal_gemmt_kernelIlLi16ELi32ELi8ELc84ELc78ELc85ELb0ELb0E19rocblas_complex_numIdEPKS1_S3_PS1_EviT_T9_T10_S5_lS7_S5_lS6_T11_S5_li
		.amdhsa_group_segment_fixed_size 8192
		.amdhsa_private_segment_fixed_size 0
		.amdhsa_kernarg_size 108
		.amdhsa_user_sgpr_count 2
		.amdhsa_user_sgpr_dispatch_ptr 0
		.amdhsa_user_sgpr_queue_ptr 0
		.amdhsa_user_sgpr_kernarg_segment_ptr 1
		.amdhsa_user_sgpr_dispatch_id 0
		.amdhsa_user_sgpr_kernarg_preload_length 0
		.amdhsa_user_sgpr_kernarg_preload_offset 0
		.amdhsa_user_sgpr_private_segment_size 0
		.amdhsa_uses_dynamic_stack 0
		.amdhsa_enable_private_segment 0
		.amdhsa_system_sgpr_workgroup_id_x 1
		.amdhsa_system_sgpr_workgroup_id_y 1
		.amdhsa_system_sgpr_workgroup_id_z 1
		.amdhsa_system_sgpr_workgroup_info 0
		.amdhsa_system_vgpr_workitem_id 1
		.amdhsa_next_free_vgpr 62
		.amdhsa_next_free_sgpr 44
		.amdhsa_accum_offset 64
		.amdhsa_reserve_vcc 1
		.amdhsa_float_round_mode_32 0
		.amdhsa_float_round_mode_16_64 0
		.amdhsa_float_denorm_mode_32 3
		.amdhsa_float_denorm_mode_16_64 3
		.amdhsa_dx10_clamp 1
		.amdhsa_ieee_mode 1
		.amdhsa_fp16_overflow 0
		.amdhsa_tg_split 0
		.amdhsa_exception_fp_ieee_invalid_op 0
		.amdhsa_exception_fp_denorm_src 0
		.amdhsa_exception_fp_ieee_div_zero 0
		.amdhsa_exception_fp_ieee_overflow 0
		.amdhsa_exception_fp_ieee_underflow 0
		.amdhsa_exception_fp_ieee_inexact 0
		.amdhsa_exception_int_div_zero 0
	.end_amdhsa_kernel
	.section	.text._ZL29rocblas_internal_gemmt_kernelIlLi16ELi32ELi8ELc84ELc78ELc85ELb0ELb0E19rocblas_complex_numIdEPKS1_S3_PS1_EviT_T9_T10_S5_lS7_S5_lS6_T11_S5_li,"axG",@progbits,_ZL29rocblas_internal_gemmt_kernelIlLi16ELi32ELi8ELc84ELc78ELc85ELb0ELb0E19rocblas_complex_numIdEPKS1_S3_PS1_EviT_T9_T10_S5_lS7_S5_lS6_T11_S5_li,comdat
.Lfunc_end255:
	.size	_ZL29rocblas_internal_gemmt_kernelIlLi16ELi32ELi8ELc84ELc78ELc85ELb0ELb0E19rocblas_complex_numIdEPKS1_S3_PS1_EviT_T9_T10_S5_lS7_S5_lS6_T11_S5_li, .Lfunc_end255-_ZL29rocblas_internal_gemmt_kernelIlLi16ELi32ELi8ELc84ELc78ELc85ELb0ELb0E19rocblas_complex_numIdEPKS1_S3_PS1_EviT_T9_T10_S5_lS7_S5_lS6_T11_S5_li
                                        ; -- End function
	.set _ZL29rocblas_internal_gemmt_kernelIlLi16ELi32ELi8ELc84ELc78ELc85ELb0ELb0E19rocblas_complex_numIdEPKS1_S3_PS1_EviT_T9_T10_S5_lS7_S5_lS6_T11_S5_li.num_vgpr, 62
	.set _ZL29rocblas_internal_gemmt_kernelIlLi16ELi32ELi8ELc84ELc78ELc85ELb0ELb0E19rocblas_complex_numIdEPKS1_S3_PS1_EviT_T9_T10_S5_lS7_S5_lS6_T11_S5_li.num_agpr, 0
	.set _ZL29rocblas_internal_gemmt_kernelIlLi16ELi32ELi8ELc84ELc78ELc85ELb0ELb0E19rocblas_complex_numIdEPKS1_S3_PS1_EviT_T9_T10_S5_lS7_S5_lS6_T11_S5_li.numbered_sgpr, 44
	.set _ZL29rocblas_internal_gemmt_kernelIlLi16ELi32ELi8ELc84ELc78ELc85ELb0ELb0E19rocblas_complex_numIdEPKS1_S3_PS1_EviT_T9_T10_S5_lS7_S5_lS6_T11_S5_li.num_named_barrier, 0
	.set _ZL29rocblas_internal_gemmt_kernelIlLi16ELi32ELi8ELc84ELc78ELc85ELb0ELb0E19rocblas_complex_numIdEPKS1_S3_PS1_EviT_T9_T10_S5_lS7_S5_lS6_T11_S5_li.private_seg_size, 0
	.set _ZL29rocblas_internal_gemmt_kernelIlLi16ELi32ELi8ELc84ELc78ELc85ELb0ELb0E19rocblas_complex_numIdEPKS1_S3_PS1_EviT_T9_T10_S5_lS7_S5_lS6_T11_S5_li.uses_vcc, 1
	.set _ZL29rocblas_internal_gemmt_kernelIlLi16ELi32ELi8ELc84ELc78ELc85ELb0ELb0E19rocblas_complex_numIdEPKS1_S3_PS1_EviT_T9_T10_S5_lS7_S5_lS6_T11_S5_li.uses_flat_scratch, 0
	.set _ZL29rocblas_internal_gemmt_kernelIlLi16ELi32ELi8ELc84ELc78ELc85ELb0ELb0E19rocblas_complex_numIdEPKS1_S3_PS1_EviT_T9_T10_S5_lS7_S5_lS6_T11_S5_li.has_dyn_sized_stack, 0
	.set _ZL29rocblas_internal_gemmt_kernelIlLi16ELi32ELi8ELc84ELc78ELc85ELb0ELb0E19rocblas_complex_numIdEPKS1_S3_PS1_EviT_T9_T10_S5_lS7_S5_lS6_T11_S5_li.has_recursion, 0
	.set _ZL29rocblas_internal_gemmt_kernelIlLi16ELi32ELi8ELc84ELc78ELc85ELb0ELb0E19rocblas_complex_numIdEPKS1_S3_PS1_EviT_T9_T10_S5_lS7_S5_lS6_T11_S5_li.has_indirect_call, 0
	.section	.AMDGPU.csdata,"",@progbits
; Kernel info:
; codeLenInByte = 3248
; TotalNumSgprs: 50
; NumVgprs: 62
; NumAgprs: 0
; TotalNumVgprs: 62
; ScratchSize: 0
; MemoryBound: 0
; FloatMode: 240
; IeeeMode: 1
; LDSByteSize: 8192 bytes/workgroup (compile time only)
; SGPRBlocks: 6
; VGPRBlocks: 7
; NumSGPRsForWavesPerEU: 50
; NumVGPRsForWavesPerEU: 62
; AccumOffset: 64
; Occupancy: 8
; WaveLimiterHint : 0
; COMPUTE_PGM_RSRC2:SCRATCH_EN: 0
; COMPUTE_PGM_RSRC2:USER_SGPR: 2
; COMPUTE_PGM_RSRC2:TRAP_HANDLER: 0
; COMPUTE_PGM_RSRC2:TGID_X_EN: 1
; COMPUTE_PGM_RSRC2:TGID_Y_EN: 1
; COMPUTE_PGM_RSRC2:TGID_Z_EN: 1
; COMPUTE_PGM_RSRC2:TIDIG_COMP_CNT: 1
; COMPUTE_PGM_RSRC3_GFX90A:ACCUM_OFFSET: 15
; COMPUTE_PGM_RSRC3_GFX90A:TG_SPLIT: 0
	.section	.text._ZL29rocblas_internal_gemmt_kernelIlLi16ELi32ELi8ELc84ELc84ELc85ELb0ELb0E19rocblas_complex_numIdEPKS1_S3_PS1_EviT_T9_T10_S5_lS7_S5_lS6_T11_S5_li,"axG",@progbits,_ZL29rocblas_internal_gemmt_kernelIlLi16ELi32ELi8ELc84ELc84ELc85ELb0ELb0E19rocblas_complex_numIdEPKS1_S3_PS1_EviT_T9_T10_S5_lS7_S5_lS6_T11_S5_li,comdat
	.globl	_ZL29rocblas_internal_gemmt_kernelIlLi16ELi32ELi8ELc84ELc84ELc85ELb0ELb0E19rocblas_complex_numIdEPKS1_S3_PS1_EviT_T9_T10_S5_lS7_S5_lS6_T11_S5_li ; -- Begin function _ZL29rocblas_internal_gemmt_kernelIlLi16ELi32ELi8ELc84ELc84ELc85ELb0ELb0E19rocblas_complex_numIdEPKS1_S3_PS1_EviT_T9_T10_S5_lS7_S5_lS6_T11_S5_li
	.p2align	8
	.type	_ZL29rocblas_internal_gemmt_kernelIlLi16ELi32ELi8ELc84ELc84ELc85ELb0ELb0E19rocblas_complex_numIdEPKS1_S3_PS1_EviT_T9_T10_S5_lS7_S5_lS6_T11_S5_li,@function
_ZL29rocblas_internal_gemmt_kernelIlLi16ELi32ELi8ELc84ELc84ELc85ELb0ELb0E19rocblas_complex_numIdEPKS1_S3_PS1_EviT_T9_T10_S5_lS7_S5_lS6_T11_S5_li: ; @_ZL29rocblas_internal_gemmt_kernelIlLi16ELi32ELi8ELc84ELc84ELc85ELb0ELb0E19rocblas_complex_numIdEPKS1_S3_PS1_EviT_T9_T10_S5_lS7_S5_lS6_T11_S5_li
; %bb.0:
	s_load_dwordx8 s[24:31], s[0:1], 0x48
	s_load_dwordx16 s[8:23], s[0:1], 0x8
	s_waitcnt lgkmcnt(0)
	s_load_dwordx4 s[36:39], s[24:25], 0x0
	s_load_dwordx4 s[40:43], s[10:11], 0x0
	s_mov_b64 s[24:25], 0
	s_waitcnt lgkmcnt(0)
	v_cmp_eq_f64_e64 s[10:11], s[36:37], 1.0
	v_cmp_eq_f64_e64 s[6:7], s[38:39], 0
	s_and_b64 s[10:11], s[10:11], s[6:7]
	s_andn2_b64 vcc, exec, s[10:11]
	s_mov_b64 s[10:11], -1
	s_cbranch_vccnz .LBB256_4
; %bb.1:
	s_cmp_lg_u64 s[8:9], 0
	s_cbranch_scc0 .LBB256_3
; %bb.2:
	v_cmp_neq_f64_e64 s[10:11], s[40:41], 0
	v_cmp_neq_f64_e64 s[24:25], s[42:43], 0
	s_or_b64 s[24:25], s[10:11], s[24:25]
.LBB256_3:
	s_mov_b64 s[10:11], s[24:25]
.LBB256_4:
	s_and_b64 vcc, exec, s[10:11]
	s_cbranch_vccz .LBB256_34
; %bb.5:
	s_load_dword s24, s[0:1], 0x0
	s_lshl_b32 s25, s2, 5
	s_lshl_b32 s33, s3, 5
	v_cmp_eq_f64_e64 s[0:1], s[40:41], 0
	v_cmp_eq_f64_e64 s[2:3], s[42:43], 0
	s_and_b64 s[0:1], s[0:1], s[2:3]
	v_cmp_lt_i64_e64 s[2:3], s[8:9], 1
	s_or_b64 s[0:1], s[0:1], s[2:3]
	v_and_b32_e32 v1, 0x3ff, v0
	v_bfe_u32 v3, v0, 10, 10
	v_mov_b64_e32 v[24:25], 0
	s_and_b64 vcc, exec, s[0:1]
	v_mov_b64_e32 v[26:27], 0
	v_mov_b64_e32 v[16:17], 0
	;; [unrolled: 1-line block ×7, first 2 shown]
	s_cbranch_vccnz .LBB256_18
; %bb.6:
	s_mul_i32 s0, s23, s4
	s_mul_hi_u32 s1, s22, s4
	s_add_i32 s1, s1, s0
	s_mul_i32 s0, s22, s4
	s_lshl_b64 s[0:1], s[0:1], 4
	s_add_u32 s10, s18, s0
	s_addc_u32 s11, s19, s1
	s_mul_i32 s0, s17, s4
	s_mul_hi_u32 s1, s16, s4
	s_add_i32 s1, s1, s0
	s_mul_i32 s0, s16, s4
	v_lshl_add_u32 v4, v3, 4, v1
	s_lshl_b64 s[0:1], s[0:1], 4
	v_lshrrev_b32_e32 v2, 5, v4
	v_lshrrev_b32_e32 v7, 3, v4
	v_and_b32_e32 v4, 31, v4
	s_add_u32 s12, s12, s0
	v_or_b32_e32 v5, s25, v4
	s_addc_u32 s13, s13, s1
	v_lshlrev_b32_e32 v4, 4, v4
	s_ashr_i32 s5, s25, 31
	v_and_b32_e32 v0, 7, v1
	s_waitcnt lgkmcnt(0)
	v_cmp_gt_i32_e64 s[0:1], s24, v5
	v_cmp_le_i32_e64 s[2:3], s24, v5
	v_lshl_or_b32 v28, v2, 9, v4
	v_mul_lo_u32 v8, s15, v5
	v_mad_u64_u32 v[4:5], s[16:17], s14, v5, 0
	s_mul_i32 s5, s14, s5
	v_add3_u32 v5, v5, s5, v8
	v_lshlrev_b32_e32 v8, 4, v0
	v_add_u32_e32 v6, s33, v7
	v_lshl_or_b32 v7, v7, 7, v8
	v_cmp_gt_i32_e32 vcc, s24, v6
	v_add_u32_e32 v29, 0x1000, v7
	v_ashrrev_i32_e32 v7, 31, v6
	v_mov_b32_e32 v8, 0x1000
	v_mov_b32_e32 v9, 0
	v_lshl_add_u64 v[4:5], v[4:5], 4, s[12:13]
	v_lshl_add_u64 v[6:7], v[6:7], 4, s[10:11]
	v_lshlrev_b32_e32 v30, 4, v1
	v_lshl_add_u32 v31, v3, 7, v8
	v_mov_b64_e32 v[12:13], 0
	s_mov_b64 s[10:11], 0
	s_xor_b64 s[12:13], vcc, -1
	v_mov_b32_e32 v32, v9
	v_mov_b32_e32 v33, v9
	;; [unrolled: 1-line block ×4, first 2 shown]
	v_mov_b64_e32 v[14:15], 0
	v_mov_b64_e32 v[22:23], 0
	;; [unrolled: 1-line block ×7, first 2 shown]
                                        ; implicit-def: $vgpr10_vgpr11
	s_branch .LBB256_8
.LBB256_7:                              ;   in Loop: Header=BB256_8 Depth=1
	s_or_b64 exec, exec, s[14:15]
	s_waitcnt lgkmcnt(0)
	s_barrier
	ds_read_b128 v[36:39], v31
	ds_read_b128 v[40:43], v31 offset:16
	ds_read_b128 v[44:47], v31 offset:32
	;; [unrolled: 1-line block ×3, first 2 shown]
	ds_read_b128 v[52:55], v30
	s_add_u32 s10, s10, 8
	s_addc_u32 s11, s11, 0
	s_waitcnt lgkmcnt(0)
	v_mul_f64 v[56:57], v[38:39], v[54:55]
	v_mul_f64 v[58:59], v[36:37], v[54:55]
	v_fma_f64 v[56:57], v[36:37], v[52:53], -v[56:57]
	v_fmac_f64_e32 v[58:59], v[38:39], v[52:53]
	v_add_f64 v[56:57], v[24:25], v[56:57]
	v_add_f64 v[58:59], v[58:59], v[26:27]
	ds_read_b128 v[24:27], v30 offset:256
	s_waitcnt lgkmcnt(0)
	v_mul_f64 v[60:61], v[38:39], v[26:27]
	v_fma_f64 v[60:61], v[36:37], v[24:25], -v[60:61]
	v_mul_f64 v[36:37], v[36:37], v[26:27]
	v_fmac_f64_e32 v[36:37], v[38:39], v[24:25]
	v_add_f64 v[38:39], v[16:17], v[60:61]
	v_add_f64 v[36:37], v[36:37], v[18:19]
	ds_read_b128 v[16:19], v31 offset:2048
	s_waitcnt lgkmcnt(0)
	v_mul_f64 v[60:61], v[18:19], v[54:55]
	v_fma_f64 v[60:61], v[16:17], v[52:53], -v[60:61]
	v_mul_f64 v[54:55], v[16:17], v[54:55]
	v_fmac_f64_e32 v[54:55], v[18:19], v[52:53]
	v_add_f64 v[52:53], v[20:21], v[60:61]
	v_mul_f64 v[20:21], v[18:19], v[26:27]
	v_fma_f64 v[20:21], v[16:17], v[24:25], -v[20:21]
	v_mul_f64 v[16:17], v[16:17], v[26:27]
	v_fmac_f64_e32 v[16:17], v[18:19], v[24:25]
	v_add_f64 v[24:25], v[14:15], v[20:21]
	v_add_f64 v[26:27], v[16:17], v[12:13]
	ds_read_b128 v[12:15], v30 offset:512
	v_add_f64 v[54:55], v[54:55], v[22:23]
	s_waitcnt lgkmcnt(0)
	v_mul_f64 v[16:17], v[42:43], v[14:15]
	v_mul_f64 v[18:19], v[40:41], v[14:15]
	v_fma_f64 v[16:17], v[40:41], v[12:13], -v[16:17]
	v_fmac_f64_e32 v[18:19], v[42:43], v[12:13]
	v_add_f64 v[56:57], v[56:57], v[16:17]
	v_add_f64 v[58:59], v[18:19], v[58:59]
	ds_read_b128 v[16:19], v30 offset:768
	s_waitcnt lgkmcnt(0)
	v_mul_f64 v[20:21], v[42:43], v[18:19]
	v_mul_f64 v[22:23], v[40:41], v[18:19]
	v_fma_f64 v[20:21], v[40:41], v[16:17], -v[20:21]
	v_fmac_f64_e32 v[22:23], v[42:43], v[16:17]
	v_add_f64 v[38:39], v[38:39], v[20:21]
	v_add_f64 v[36:37], v[22:23], v[36:37]
	ds_read_b128 v[20:23], v31 offset:2064
	s_waitcnt lgkmcnt(0)
	v_mul_f64 v[40:41], v[22:23], v[14:15]
	v_mul_f64 v[14:15], v[20:21], v[14:15]
	v_fmac_f64_e32 v[14:15], v[22:23], v[12:13]
	v_fma_f64 v[40:41], v[20:21], v[12:13], -v[40:41]
	v_add_f64 v[42:43], v[14:15], v[54:55]
	v_mul_f64 v[12:13], v[22:23], v[18:19]
	v_mul_f64 v[14:15], v[20:21], v[18:19]
	v_fma_f64 v[12:13], v[20:21], v[16:17], -v[12:13]
	v_fmac_f64_e32 v[14:15], v[22:23], v[16:17]
	v_add_f64 v[24:25], v[24:25], v[12:13]
	v_add_f64 v[26:27], v[14:15], v[26:27]
	ds_read_b128 v[12:15], v30 offset:1024
	v_add_f64 v[40:41], v[52:53], v[40:41]
	s_waitcnt lgkmcnt(0)
	v_mul_f64 v[16:17], v[46:47], v[14:15]
	v_mul_f64 v[18:19], v[44:45], v[14:15]
	v_fma_f64 v[16:17], v[44:45], v[12:13], -v[16:17]
	v_fmac_f64_e32 v[18:19], v[46:47], v[12:13]
	v_add_f64 v[52:53], v[56:57], v[16:17]
	v_add_f64 v[54:55], v[18:19], v[58:59]
	ds_read_b128 v[16:19], v30 offset:1280
	s_waitcnt lgkmcnt(0)
	v_mul_f64 v[20:21], v[46:47], v[18:19]
	v_mul_f64 v[22:23], v[44:45], v[18:19]
	v_fma_f64 v[20:21], v[44:45], v[16:17], -v[20:21]
	v_fmac_f64_e32 v[22:23], v[46:47], v[16:17]
	v_add_f64 v[38:39], v[38:39], v[20:21]
	v_add_f64 v[36:37], v[22:23], v[36:37]
	ds_read_b128 v[20:23], v31 offset:2080
	s_waitcnt lgkmcnt(0)
	v_mul_f64 v[44:45], v[22:23], v[14:15]
	v_mul_f64 v[14:15], v[20:21], v[14:15]
	v_fmac_f64_e32 v[14:15], v[22:23], v[12:13]
	v_fma_f64 v[44:45], v[20:21], v[12:13], -v[44:45]
	v_add_f64 v[42:43], v[14:15], v[42:43]
	v_mul_f64 v[12:13], v[22:23], v[18:19]
	v_mul_f64 v[14:15], v[20:21], v[18:19]
	v_fma_f64 v[12:13], v[20:21], v[16:17], -v[12:13]
	;; [unrolled: 30-line block ×3, first 2 shown]
	v_fmac_f64_e32 v[14:15], v[22:23], v[16:17]
	v_add_f64 v[24:25], v[24:25], v[12:13]
	v_add_f64 v[26:27], v[14:15], v[26:27]
	ds_read_b128 v[12:15], v31 offset:64
	ds_read_b128 v[16:19], v30 offset:2048
	v_add_f64 v[40:41], v[40:41], v[48:49]
	s_waitcnt lgkmcnt(0)
	v_mul_f64 v[20:21], v[14:15], v[18:19]
	v_mul_f64 v[22:23], v[12:13], v[18:19]
	v_fma_f64 v[20:21], v[12:13], v[16:17], -v[20:21]
	v_fmac_f64_e32 v[22:23], v[14:15], v[16:17]
	v_add_f64 v[44:45], v[44:45], v[20:21]
	v_add_f64 v[46:47], v[22:23], v[46:47]
	ds_read_b128 v[20:23], v30 offset:2304
	s_waitcnt lgkmcnt(0)
	v_mul_f64 v[48:49], v[14:15], v[22:23]
	v_fma_f64 v[48:49], v[12:13], v[20:21], -v[48:49]
	v_mul_f64 v[12:13], v[12:13], v[22:23]
	v_fmac_f64_e32 v[12:13], v[14:15], v[20:21]
	v_add_f64 v[36:37], v[12:13], v[36:37]
	ds_read_b128 v[12:15], v31 offset:2112
	v_add_f64 v[38:39], v[38:39], v[48:49]
	s_waitcnt lgkmcnt(0)
	v_mul_f64 v[48:49], v[14:15], v[18:19]
	v_mul_f64 v[18:19], v[12:13], v[18:19]
	v_fma_f64 v[48:49], v[12:13], v[16:17], -v[48:49]
	v_fmac_f64_e32 v[18:19], v[14:15], v[16:17]
	v_mul_f64 v[16:17], v[14:15], v[22:23]
	v_fma_f64 v[16:17], v[12:13], v[20:21], -v[16:17]
	v_mul_f64 v[12:13], v[12:13], v[22:23]
	v_fmac_f64_e32 v[12:13], v[14:15], v[20:21]
	v_add_f64 v[42:43], v[18:19], v[42:43]
	v_add_f64 v[24:25], v[24:25], v[16:17]
	v_add_f64 v[26:27], v[12:13], v[26:27]
	ds_read_b128 v[12:15], v31 offset:80
	ds_read_b128 v[16:19], v30 offset:2560
	v_add_f64 v[40:41], v[40:41], v[48:49]
	s_waitcnt lgkmcnt(0)
	v_mul_f64 v[20:21], v[14:15], v[18:19]
	v_mul_f64 v[22:23], v[12:13], v[18:19]
	v_fma_f64 v[20:21], v[12:13], v[16:17], -v[20:21]
	v_fmac_f64_e32 v[22:23], v[14:15], v[16:17]
	v_add_f64 v[44:45], v[44:45], v[20:21]
	v_add_f64 v[46:47], v[22:23], v[46:47]
	ds_read_b128 v[20:23], v30 offset:2816
	s_waitcnt lgkmcnt(0)
	v_mul_f64 v[48:49], v[14:15], v[22:23]
	v_fma_f64 v[48:49], v[12:13], v[20:21], -v[48:49]
	v_mul_f64 v[12:13], v[12:13], v[22:23]
	v_fmac_f64_e32 v[12:13], v[14:15], v[20:21]
	v_add_f64 v[36:37], v[12:13], v[36:37]
	ds_read_b128 v[12:15], v31 offset:2128
	v_add_f64 v[38:39], v[38:39], v[48:49]
	s_waitcnt lgkmcnt(0)
	v_mul_f64 v[48:49], v[14:15], v[18:19]
	v_mul_f64 v[18:19], v[12:13], v[18:19]
	v_fma_f64 v[48:49], v[12:13], v[16:17], -v[48:49]
	v_fmac_f64_e32 v[18:19], v[14:15], v[16:17]
	v_mul_f64 v[16:17], v[14:15], v[22:23]
	v_fma_f64 v[16:17], v[12:13], v[20:21], -v[16:17]
	v_mul_f64 v[12:13], v[12:13], v[22:23]
	v_fmac_f64_e32 v[12:13], v[14:15], v[20:21]
	v_add_f64 v[42:43], v[18:19], v[42:43]
	;; [unrolled: 31-line block ×3, first 2 shown]
	ds_read_b128 v[12:15], v31 offset:112
	ds_read_b128 v[20:23], v30 offset:3584
	v_add_f64 v[40:41], v[40:41], v[36:37]
	ds_read_b128 v[36:39], v30 offset:3840
	v_add_f64 v[52:53], v[24:25], v[16:17]
	v_add_f64 v[42:43], v[18:19], v[42:43]
	s_waitcnt lgkmcnt(1)
	v_mul_f64 v[16:17], v[14:15], v[22:23]
	v_fma_f64 v[16:17], v[12:13], v[20:21], -v[16:17]
	v_add_f64 v[24:25], v[44:45], v[16:17]
	s_waitcnt lgkmcnt(0)
	v_mul_f64 v[16:17], v[14:15], v[38:39]
	v_mul_f64 v[18:19], v[12:13], v[22:23]
	v_fma_f64 v[16:17], v[12:13], v[36:37], -v[16:17]
	v_mul_f64 v[12:13], v[12:13], v[38:39]
	v_fmac_f64_e32 v[18:19], v[14:15], v[20:21]
	v_fmac_f64_e32 v[12:13], v[14:15], v[36:37]
	v_add_f64 v[26:27], v[18:19], v[46:47]
	v_add_f64 v[18:19], v[12:13], v[50:51]
	ds_read_b128 v[12:15], v31 offset:2160
	v_add_f64 v[16:17], v[48:49], v[16:17]
	s_waitcnt lgkmcnt(0)
	s_barrier
	v_mul_f64 v[44:45], v[14:15], v[22:23]
	v_fma_f64 v[44:45], v[12:13], v[20:21], -v[44:45]
	v_mul_f64 v[22:23], v[12:13], v[22:23]
	v_fmac_f64_e32 v[22:23], v[14:15], v[20:21]
	v_add_f64 v[20:21], v[40:41], v[44:45]
	v_mul_f64 v[40:41], v[14:15], v[38:39]
	v_fma_f64 v[40:41], v[12:13], v[36:37], -v[40:41]
	v_mul_f64 v[12:13], v[12:13], v[38:39]
	v_fmac_f64_e32 v[12:13], v[14:15], v[36:37]
	v_mov_b64_e32 v[36:37], s[10:11]
	v_cmp_gt_i64_e32 vcc, s[8:9], v[36:37]
	v_add_f64 v[22:23], v[22:23], v[42:43]
	v_add_f64 v[14:15], v[52:53], v[40:41]
	;; [unrolled: 1-line block ×3, first 2 shown]
	s_cbranch_vccz .LBB256_18
.LBB256_8:                              ; =>This Inner Loop Header: Depth=1
	s_mov_b64 s[18:19], s[2:3]
	s_mov_b64 s[14:15], 0
	s_and_saveexec_b64 s[16:17], s[0:1]
	s_cbranch_execnz .LBB256_16
; %bb.9:                                ;   in Loop: Header=BB256_8 Depth=1
	s_or_b64 exec, exec, s[16:17]
	s_and_saveexec_b64 s[16:17], s[18:19]
	s_xor_b64 s[16:17], exec, s[16:17]
	s_cbranch_execnz .LBB256_17
.LBB256_10:                             ;   in Loop: Header=BB256_8 Depth=1
	s_or_b64 exec, exec, s[16:17]
	s_and_saveexec_b64 s[16:17], s[14:15]
	s_cbranch_execz .LBB256_12
.LBB256_11:                             ;   in Loop: Header=BB256_8 Depth=1
	v_lshl_add_u64 v[36:37], v[10:11], 4, v[4:5]
	global_load_dwordx4 v[36:39], v[36:37], off
	s_waitcnt vmcnt(0)
	ds_write2_b64 v28, v[36:37], v[38:39] offset1:1
.LBB256_12:                             ;   in Loop: Header=BB256_8 Depth=1
	s_or_b64 exec, exec, s[16:17]
	v_add_u32_e32 v8, s10, v0
	v_cmp_le_u64_e32 vcc, s[8:9], v[8:9]
	s_or_b64 s[14:15], vcc, s[12:13]
	s_and_saveexec_b64 s[16:17], s[14:15]
	s_xor_b64 s[14:15], exec, s[16:17]
; %bb.13:                               ;   in Loop: Header=BB256_8 Depth=1
	ds_write_b128 v29, v[32:35]
; %bb.14:                               ;   in Loop: Header=BB256_8 Depth=1
	s_andn2_saveexec_b64 s[14:15], s[14:15]
	s_cbranch_execz .LBB256_7
; %bb.15:                               ;   in Loop: Header=BB256_8 Depth=1
	v_mad_u64_u32 v[36:37], s[16:17], s20, v8, 0
	v_mov_b32_e32 v38, v37
	v_mad_u64_u32 v[38:39], s[16:17], s21, v8, v[38:39]
	v_mov_b32_e32 v37, v38
	v_lshl_add_u64 v[36:37], v[36:37], 4, v[6:7]
	global_load_dwordx4 v[36:39], v[36:37], off
	s_waitcnt vmcnt(0)
	ds_write2_b64 v29, v[36:37], v[38:39] offset1:1
	s_branch .LBB256_7
.LBB256_16:                             ;   in Loop: Header=BB256_8 Depth=1
	v_add_u32_e32 v8, s10, v2
	v_cmp_le_u64_e32 vcc, s[8:9], v[8:9]
	s_andn2_b64 s[18:19], s[2:3], exec
	s_and_b64 s[22:23], vcc, exec
	s_mov_b64 s[14:15], exec
	s_or_b64 s[18:19], s[18:19], s[22:23]
	v_mov_b64_e32 v[10:11], v[8:9]
	s_or_b64 exec, exec, s[16:17]
	s_and_saveexec_b64 s[16:17], s[18:19]
	s_xor_b64 s[16:17], exec, s[16:17]
	s_cbranch_execz .LBB256_10
.LBB256_17:                             ;   in Loop: Header=BB256_8 Depth=1
	ds_write_b128 v28, v[32:35]
	s_andn2_b64 s[14:15], s[14:15], exec
	s_or_b64 exec, exec, s[16:17]
	s_and_saveexec_b64 s[16:17], s[14:15]
	s_cbranch_execnz .LBB256_11
	s_branch .LBB256_12
.LBB256_18:
	s_mul_i32 s0, s31, s4
	s_mul_hi_u32 s1, s30, s4
	s_add_i32 s1, s1, s0
	s_mul_i32 s0, s30, s4
	s_lshl_b64 s[0:1], s[0:1], 4
	v_add_u32_e32 v10, s33, v3
	s_add_u32 s4, s26, s0
	v_ashrrev_i32_e32 v0, 31, v10
	s_addc_u32 s5, s27, s1
	v_add_u32_e32 v4, s25, v1
	v_cmp_neq_f64_e64 s[0:1], s[36:37], 0
	s_xor_b64 s[6:7], s[6:7], -1
	v_mul_lo_u32 v2, s28, v0
	v_mul_lo_u32 v3, s29, v10
	v_mad_u64_u32 v[0:1], s[8:9], s28, v10, 0
	v_add3_u32 v1, v1, v2, v3
	s_or_b64 s[0:1], s[0:1], s[6:7]
	s_waitcnt lgkmcnt(0)
	v_cmp_gt_i32_e64 s[2:3], s24, v10
	v_lshl_add_u64 v[8:9], v[0:1], 4, s[4:5]
	v_cmp_le_i32_e32 vcc, v4, v10
	v_cndmask_b32_e64 v0, 0, 1, s[0:1]
	s_and_b64 s[8:9], s[2:3], vcc
	v_ashrrev_i32_e32 v5, 31, v4
	v_cmp_ne_u32_e64 s[0:1], 1, v0
	s_and_saveexec_b64 s[6:7], s[8:9]
	s_cbranch_execz .LBB256_22
; %bb.19:
	v_mul_f64 v[0:1], s[42:43], v[26:27]
	v_mul_f64 v[2:3], s[40:41], v[26:27]
	v_fma_f64 v[0:1], s[40:41], v[24:25], -v[0:1]
	v_fmac_f64_e32 v[2:3], s[42:43], v[24:25]
	s_and_b64 vcc, exec, s[0:1]
	v_lshl_add_u64 v[6:7], v[4:5], 4, v[8:9]
	s_cbranch_vccnz .LBB256_21
; %bb.20:
	global_load_dwordx4 v[24:27], v[6:7], off
	s_waitcnt vmcnt(0)
	v_mul_f64 v[28:29], s[38:39], v[26:27]
	v_mul_f64 v[26:27], s[36:37], v[26:27]
	v_fma_f64 v[28:29], s[36:37], v[24:25], -v[28:29]
	v_fmac_f64_e32 v[26:27], s[38:39], v[24:25]
	v_add_f64 v[0:1], v[0:1], v[28:29]
	v_add_f64 v[2:3], v[2:3], v[26:27]
.LBB256_21:
	global_store_dwordx4 v[6:7], v[0:3], off
.LBB256_22:
	s_or_b64 exec, exec, s[6:7]
	v_add_u32_e32 v6, 16, v4
	v_cmp_le_i32_e32 vcc, v6, v10
	s_and_b64 s[6:7], s[2:3], vcc
	v_ashrrev_i32_e32 v7, 31, v6
	s_and_saveexec_b64 s[2:3], s[6:7]
	s_cbranch_execz .LBB256_26
; %bb.23:
	v_mul_f64 v[0:1], s[42:43], v[18:19]
	v_mul_f64 v[2:3], s[40:41], v[18:19]
	v_fma_f64 v[0:1], s[40:41], v[16:17], -v[0:1]
	v_fmac_f64_e32 v[2:3], s[42:43], v[16:17]
	s_and_b64 vcc, exec, s[0:1]
	v_lshl_add_u64 v[8:9], v[6:7], 4, v[8:9]
	s_cbranch_vccnz .LBB256_25
; %bb.24:
	global_load_dwordx4 v[16:19], v[8:9], off
	s_waitcnt vmcnt(0)
	v_mul_f64 v[24:25], s[38:39], v[18:19]
	v_mul_f64 v[18:19], s[36:37], v[18:19]
	v_fma_f64 v[24:25], s[36:37], v[16:17], -v[24:25]
	v_fmac_f64_e32 v[18:19], s[38:39], v[16:17]
	v_add_f64 v[0:1], v[0:1], v[24:25]
	v_add_f64 v[2:3], v[2:3], v[18:19]
.LBB256_25:
	global_store_dwordx4 v[8:9], v[0:3], off
.LBB256_26:
	s_or_b64 exec, exec, s[2:3]
	v_add_u32_e32 v10, 16, v10
	v_ashrrev_i32_e32 v0, 31, v10
	v_mul_lo_u32 v2, s28, v0
	v_mul_lo_u32 v3, s29, v10
	v_mad_u64_u32 v[0:1], s[6:7], s28, v10, 0
	v_cmp_gt_i32_e64 s[2:3], s24, v10
	v_add3_u32 v1, v1, v2, v3
	v_cmp_le_i32_e32 vcc, v4, v10
	v_lshl_add_u64 v[8:9], v[0:1], 4, s[4:5]
	s_and_b64 s[6:7], s[2:3], vcc
	s_and_saveexec_b64 s[4:5], s[6:7]
	s_cbranch_execz .LBB256_30
; %bb.27:
	v_mul_f64 v[0:1], s[42:43], v[22:23]
	v_mul_f64 v[2:3], s[40:41], v[22:23]
	v_fma_f64 v[0:1], s[40:41], v[20:21], -v[0:1]
	v_fmac_f64_e32 v[2:3], s[42:43], v[20:21]
	s_and_b64 vcc, exec, s[0:1]
	v_lshl_add_u64 v[4:5], v[4:5], 4, v[8:9]
	s_cbranch_vccnz .LBB256_29
; %bb.28:
	global_load_dwordx4 v[16:19], v[4:5], off
	s_waitcnt vmcnt(0)
	v_mul_f64 v[20:21], s[38:39], v[18:19]
	v_mul_f64 v[18:19], s[36:37], v[18:19]
	v_fma_f64 v[20:21], s[36:37], v[16:17], -v[20:21]
	v_fmac_f64_e32 v[18:19], s[38:39], v[16:17]
	v_add_f64 v[0:1], v[0:1], v[20:21]
	v_add_f64 v[2:3], v[2:3], v[18:19]
.LBB256_29:
	global_store_dwordx4 v[4:5], v[0:3], off
.LBB256_30:
	s_or_b64 exec, exec, s[4:5]
	v_cmp_le_i32_e32 vcc, v6, v10
	s_and_b64 s[2:3], s[2:3], vcc
	s_and_saveexec_b64 s[4:5], s[2:3]
	s_cbranch_execz .LBB256_34
; %bb.31:
	v_mul_f64 v[0:1], s[42:43], v[12:13]
	v_mul_f64 v[2:3], s[40:41], v[12:13]
	v_fma_f64 v[0:1], s[40:41], v[14:15], -v[0:1]
	v_fmac_f64_e32 v[2:3], s[42:43], v[14:15]
	s_and_b64 vcc, exec, s[0:1]
	v_lshl_add_u64 v[4:5], v[6:7], 4, v[8:9]
	s_cbranch_vccnz .LBB256_33
; %bb.32:
	global_load_dwordx4 v[6:9], v[4:5], off
	s_waitcnt vmcnt(0)
	v_mul_f64 v[10:11], s[38:39], v[8:9]
	v_mul_f64 v[8:9], s[36:37], v[8:9]
	v_fma_f64 v[10:11], s[36:37], v[6:7], -v[10:11]
	v_fmac_f64_e32 v[8:9], s[38:39], v[6:7]
	v_add_f64 v[0:1], v[0:1], v[10:11]
	v_add_f64 v[2:3], v[2:3], v[8:9]
.LBB256_33:
	global_store_dwordx4 v[4:5], v[0:3], off
.LBB256_34:
	s_endpgm
	.section	.rodata,"a",@progbits
	.p2align	6, 0x0
	.amdhsa_kernel _ZL29rocblas_internal_gemmt_kernelIlLi16ELi32ELi8ELc84ELc84ELc85ELb0ELb0E19rocblas_complex_numIdEPKS1_S3_PS1_EviT_T9_T10_S5_lS7_S5_lS6_T11_S5_li
		.amdhsa_group_segment_fixed_size 8192
		.amdhsa_private_segment_fixed_size 0
		.amdhsa_kernarg_size 108
		.amdhsa_user_sgpr_count 2
		.amdhsa_user_sgpr_dispatch_ptr 0
		.amdhsa_user_sgpr_queue_ptr 0
		.amdhsa_user_sgpr_kernarg_segment_ptr 1
		.amdhsa_user_sgpr_dispatch_id 0
		.amdhsa_user_sgpr_kernarg_preload_length 0
		.amdhsa_user_sgpr_kernarg_preload_offset 0
		.amdhsa_user_sgpr_private_segment_size 0
		.amdhsa_uses_dynamic_stack 0
		.amdhsa_enable_private_segment 0
		.amdhsa_system_sgpr_workgroup_id_x 1
		.amdhsa_system_sgpr_workgroup_id_y 1
		.amdhsa_system_sgpr_workgroup_id_z 1
		.amdhsa_system_sgpr_workgroup_info 0
		.amdhsa_system_vgpr_workitem_id 1
		.amdhsa_next_free_vgpr 62
		.amdhsa_next_free_sgpr 44
		.amdhsa_accum_offset 64
		.amdhsa_reserve_vcc 1
		.amdhsa_float_round_mode_32 0
		.amdhsa_float_round_mode_16_64 0
		.amdhsa_float_denorm_mode_32 3
		.amdhsa_float_denorm_mode_16_64 3
		.amdhsa_dx10_clamp 1
		.amdhsa_ieee_mode 1
		.amdhsa_fp16_overflow 0
		.amdhsa_tg_split 0
		.amdhsa_exception_fp_ieee_invalid_op 0
		.amdhsa_exception_fp_denorm_src 0
		.amdhsa_exception_fp_ieee_div_zero 0
		.amdhsa_exception_fp_ieee_overflow 0
		.amdhsa_exception_fp_ieee_underflow 0
		.amdhsa_exception_fp_ieee_inexact 0
		.amdhsa_exception_int_div_zero 0
	.end_amdhsa_kernel
	.section	.text._ZL29rocblas_internal_gemmt_kernelIlLi16ELi32ELi8ELc84ELc84ELc85ELb0ELb0E19rocblas_complex_numIdEPKS1_S3_PS1_EviT_T9_T10_S5_lS7_S5_lS6_T11_S5_li,"axG",@progbits,_ZL29rocblas_internal_gemmt_kernelIlLi16ELi32ELi8ELc84ELc84ELc85ELb0ELb0E19rocblas_complex_numIdEPKS1_S3_PS1_EviT_T9_T10_S5_lS7_S5_lS6_T11_S5_li,comdat
.Lfunc_end256:
	.size	_ZL29rocblas_internal_gemmt_kernelIlLi16ELi32ELi8ELc84ELc84ELc85ELb0ELb0E19rocblas_complex_numIdEPKS1_S3_PS1_EviT_T9_T10_S5_lS7_S5_lS6_T11_S5_li, .Lfunc_end256-_ZL29rocblas_internal_gemmt_kernelIlLi16ELi32ELi8ELc84ELc84ELc85ELb0ELb0E19rocblas_complex_numIdEPKS1_S3_PS1_EviT_T9_T10_S5_lS7_S5_lS6_T11_S5_li
                                        ; -- End function
	.set _ZL29rocblas_internal_gemmt_kernelIlLi16ELi32ELi8ELc84ELc84ELc85ELb0ELb0E19rocblas_complex_numIdEPKS1_S3_PS1_EviT_T9_T10_S5_lS7_S5_lS6_T11_S5_li.num_vgpr, 62
	.set _ZL29rocblas_internal_gemmt_kernelIlLi16ELi32ELi8ELc84ELc84ELc85ELb0ELb0E19rocblas_complex_numIdEPKS1_S3_PS1_EviT_T9_T10_S5_lS7_S5_lS6_T11_S5_li.num_agpr, 0
	.set _ZL29rocblas_internal_gemmt_kernelIlLi16ELi32ELi8ELc84ELc84ELc85ELb0ELb0E19rocblas_complex_numIdEPKS1_S3_PS1_EviT_T9_T10_S5_lS7_S5_lS6_T11_S5_li.numbered_sgpr, 44
	.set _ZL29rocblas_internal_gemmt_kernelIlLi16ELi32ELi8ELc84ELc84ELc85ELb0ELb0E19rocblas_complex_numIdEPKS1_S3_PS1_EviT_T9_T10_S5_lS7_S5_lS6_T11_S5_li.num_named_barrier, 0
	.set _ZL29rocblas_internal_gemmt_kernelIlLi16ELi32ELi8ELc84ELc84ELc85ELb0ELb0E19rocblas_complex_numIdEPKS1_S3_PS1_EviT_T9_T10_S5_lS7_S5_lS6_T11_S5_li.private_seg_size, 0
	.set _ZL29rocblas_internal_gemmt_kernelIlLi16ELi32ELi8ELc84ELc84ELc85ELb0ELb0E19rocblas_complex_numIdEPKS1_S3_PS1_EviT_T9_T10_S5_lS7_S5_lS6_T11_S5_li.uses_vcc, 1
	.set _ZL29rocblas_internal_gemmt_kernelIlLi16ELi32ELi8ELc84ELc84ELc85ELb0ELb0E19rocblas_complex_numIdEPKS1_S3_PS1_EviT_T9_T10_S5_lS7_S5_lS6_T11_S5_li.uses_flat_scratch, 0
	.set _ZL29rocblas_internal_gemmt_kernelIlLi16ELi32ELi8ELc84ELc84ELc85ELb0ELb0E19rocblas_complex_numIdEPKS1_S3_PS1_EviT_T9_T10_S5_lS7_S5_lS6_T11_S5_li.has_dyn_sized_stack, 0
	.set _ZL29rocblas_internal_gemmt_kernelIlLi16ELi32ELi8ELc84ELc84ELc85ELb0ELb0E19rocblas_complex_numIdEPKS1_S3_PS1_EviT_T9_T10_S5_lS7_S5_lS6_T11_S5_li.has_recursion, 0
	.set _ZL29rocblas_internal_gemmt_kernelIlLi16ELi32ELi8ELc84ELc84ELc85ELb0ELb0E19rocblas_complex_numIdEPKS1_S3_PS1_EviT_T9_T10_S5_lS7_S5_lS6_T11_S5_li.has_indirect_call, 0
	.section	.AMDGPU.csdata,"",@progbits
; Kernel info:
; codeLenInByte = 3240
; TotalNumSgprs: 50
; NumVgprs: 62
; NumAgprs: 0
; TotalNumVgprs: 62
; ScratchSize: 0
; MemoryBound: 0
; FloatMode: 240
; IeeeMode: 1
; LDSByteSize: 8192 bytes/workgroup (compile time only)
; SGPRBlocks: 6
; VGPRBlocks: 7
; NumSGPRsForWavesPerEU: 50
; NumVGPRsForWavesPerEU: 62
; AccumOffset: 64
; Occupancy: 8
; WaveLimiterHint : 0
; COMPUTE_PGM_RSRC2:SCRATCH_EN: 0
; COMPUTE_PGM_RSRC2:USER_SGPR: 2
; COMPUTE_PGM_RSRC2:TRAP_HANDLER: 0
; COMPUTE_PGM_RSRC2:TGID_X_EN: 1
; COMPUTE_PGM_RSRC2:TGID_Y_EN: 1
; COMPUTE_PGM_RSRC2:TGID_Z_EN: 1
; COMPUTE_PGM_RSRC2:TIDIG_COMP_CNT: 1
; COMPUTE_PGM_RSRC3_GFX90A:ACCUM_OFFSET: 15
; COMPUTE_PGM_RSRC3_GFX90A:TG_SPLIT: 0
	.section	.text._ZL29rocblas_internal_gemmt_kernelIlLi16ELi32ELi8ELc84ELc67ELc85ELb0ELb1E19rocblas_complex_numIdEPKS1_S3_PS1_EviT_T9_T10_S5_lS7_S5_lS6_T11_S5_li,"axG",@progbits,_ZL29rocblas_internal_gemmt_kernelIlLi16ELi32ELi8ELc84ELc67ELc85ELb0ELb1E19rocblas_complex_numIdEPKS1_S3_PS1_EviT_T9_T10_S5_lS7_S5_lS6_T11_S5_li,comdat
	.globl	_ZL29rocblas_internal_gemmt_kernelIlLi16ELi32ELi8ELc84ELc67ELc85ELb0ELb1E19rocblas_complex_numIdEPKS1_S3_PS1_EviT_T9_T10_S5_lS7_S5_lS6_T11_S5_li ; -- Begin function _ZL29rocblas_internal_gemmt_kernelIlLi16ELi32ELi8ELc84ELc67ELc85ELb0ELb1E19rocblas_complex_numIdEPKS1_S3_PS1_EviT_T9_T10_S5_lS7_S5_lS6_T11_S5_li
	.p2align	8
	.type	_ZL29rocblas_internal_gemmt_kernelIlLi16ELi32ELi8ELc84ELc67ELc85ELb0ELb1E19rocblas_complex_numIdEPKS1_S3_PS1_EviT_T9_T10_S5_lS7_S5_lS6_T11_S5_li,@function
_ZL29rocblas_internal_gemmt_kernelIlLi16ELi32ELi8ELc84ELc67ELc85ELb0ELb1E19rocblas_complex_numIdEPKS1_S3_PS1_EviT_T9_T10_S5_lS7_S5_lS6_T11_S5_li: ; @_ZL29rocblas_internal_gemmt_kernelIlLi16ELi32ELi8ELc84ELc67ELc85ELb0ELb1E19rocblas_complex_numIdEPKS1_S3_PS1_EviT_T9_T10_S5_lS7_S5_lS6_T11_S5_li
; %bb.0:
	s_load_dwordx8 s[24:31], s[0:1], 0x48
	s_load_dwordx16 s[8:23], s[0:1], 0x8
	s_waitcnt lgkmcnt(0)
	s_load_dwordx4 s[36:39], s[24:25], 0x0
	s_load_dwordx4 s[40:43], s[10:11], 0x0
	s_mov_b64 s[24:25], 0
	s_waitcnt lgkmcnt(0)
	v_cmp_eq_f64_e64 s[10:11], s[36:37], 1.0
	v_cmp_eq_f64_e64 s[6:7], s[38:39], 0
	s_and_b64 s[10:11], s[10:11], s[6:7]
	s_andn2_b64 vcc, exec, s[10:11]
	s_mov_b64 s[10:11], -1
	s_cbranch_vccnz .LBB257_4
; %bb.1:
	s_cmp_lg_u64 s[8:9], 0
	s_cbranch_scc0 .LBB257_3
; %bb.2:
	v_cmp_neq_f64_e64 s[10:11], s[40:41], 0
	v_cmp_neq_f64_e64 s[24:25], s[42:43], 0
	s_or_b64 s[24:25], s[10:11], s[24:25]
.LBB257_3:
	s_mov_b64 s[10:11], s[24:25]
.LBB257_4:
	s_and_b64 vcc, exec, s[10:11]
	s_cbranch_vccz .LBB257_32
; %bb.5:
	s_load_dword s24, s[0:1], 0x0
	s_lshl_b32 s25, s2, 5
	s_lshl_b32 s33, s3, 5
	v_cmp_eq_f64_e64 s[0:1], s[40:41], 0
	v_cmp_eq_f64_e64 s[2:3], s[42:43], 0
	s_and_b64 s[0:1], s[0:1], s[2:3]
	v_cmp_lt_i64_e64 s[2:3], s[8:9], 1
	s_or_b64 s[0:1], s[0:1], s[2:3]
	v_and_b32_e32 v5, 0x3ff, v0
	v_bfe_u32 v7, v0, 10, 10
	v_mov_b64_e32 v[28:29], 0
	s_and_b64 vcc, exec, s[0:1]
	v_mov_b64_e32 v[30:31], 0
	v_mov_b64_e32 v[24:25], 0
	;; [unrolled: 1-line block ×7, first 2 shown]
	s_cbranch_vccnz .LBB257_16
; %bb.6:
	s_mul_i32 s0, s23, s4
	s_mul_hi_u32 s1, s22, s4
	s_add_i32 s1, s1, s0
	s_mul_i32 s0, s22, s4
	s_lshl_b64 s[0:1], s[0:1], 4
	s_add_u32 s18, s18, s0
	s_addc_u32 s19, s19, s1
	s_mul_i32 s0, s17, s4
	s_mul_hi_u32 s1, s16, s4
	s_add_i32 s1, s1, s0
	s_mul_i32 s0, s16, s4
	v_lshl_add_u32 v1, v7, 4, v5
	s_lshl_b64 s[0:1], s[0:1], 4
	v_lshrrev_b32_e32 v6, 5, v1
	v_lshrrev_b32_e32 v10, 3, v1
	v_and_b32_e32 v1, 31, v1
	s_add_u32 s2, s12, s0
	v_or_b32_e32 v2, s25, v1
	s_addc_u32 s3, s13, s1
	v_lshlrev_b32_e32 v1, 4, v1
	s_ashr_i32 s5, s25, 31
	v_and_b32_e32 v4, 7, v5
	s_waitcnt lgkmcnt(0)
	v_cmp_gt_i32_e64 s[0:1], s24, v2
	v_cmp_le_i32_e64 s[10:11], s24, v2
	v_lshl_or_b32 v32, v6, 9, v1
	v_mul_lo_u32 v1, s15, v2
	v_mad_u64_u32 v[2:3], s[12:13], s14, v2, 0
	s_mul_i32 s5, s14, s5
	v_add3_u32 v3, v3, s5, v1
	v_lshlrev_b32_e32 v1, 4, v4
	v_add_u32_e32 v0, s33, v10
	v_lshl_or_b32 v1, v10, 7, v1
	v_add_u32_e32 v33, 0x1000, v1
	v_ashrrev_i32_e32 v1, 31, v0
	v_lshl_add_u64 v[8:9], v[2:3], 4, s[2:3]
	v_cmp_gt_i32_e64 s[2:3], s24, v0
	v_lshl_add_u64 v[10:11], v[0:1], 4, s[18:19]
	v_mov_b32_e32 v0, 0x1000
	v_mov_b32_e32 v13, 0
	v_lshlrev_b32_e32 v34, 4, v5
	v_lshl_add_u32 v35, v7, 7, v0
	v_mov_b64_e32 v[16:17], 0
	s_mov_b64 s[12:13], 0
	v_mov_b32_e32 v36, v13
	v_mov_b32_e32 v37, v13
	;; [unrolled: 1-line block ×4, first 2 shown]
	v_mov_b64_e32 v[18:19], 0
	v_mov_b64_e32 v[22:23], 0
	;; [unrolled: 1-line block ×7, first 2 shown]
                                        ; implicit-def: $vgpr14_vgpr15
	s_branch .LBB257_8
.LBB257_7:                              ;   in Loop: Header=BB257_8 Depth=1
	s_or_b64 exec, exec, s[14:15]
	ds_write_b128 v33, v[0:3]
	s_waitcnt lgkmcnt(0)
	s_barrier
	ds_read_b128 v[0:3], v34
	ds_read_b128 v[40:43], v35
	ds_read_b128 v[44:47], v35 offset:16
	ds_read_b128 v[48:51], v35 offset:32
	;; [unrolled: 1-line block ×4, first 2 shown]
	s_waitcnt lgkmcnt(4)
	v_mul_f64 v[60:61], v[42:43], v[2:3]
	v_fma_f64 v[60:61], v[40:41], v[0:1], -v[60:61]
	v_mul_f64 v[62:63], v[40:41], v[2:3]
	v_fmac_f64_e32 v[62:63], v[42:43], v[0:1]
	v_add_f64 v[60:61], v[28:29], v[60:61]
	s_waitcnt lgkmcnt(0)
	v_mul_f64 v[28:29], v[42:43], v[58:59]
	v_add_f64 v[62:63], v[62:63], v[30:31]
	v_fma_f64 v[64:65], v[40:41], v[56:57], -v[28:29]
	ds_read_b128 v[28:31], v35 offset:2048
	v_mul_f64 v[40:41], v[40:41], v[58:59]
	v_fmac_f64_e32 v[40:41], v[42:43], v[56:57]
	v_add_f64 v[42:43], v[24:25], v[64:65]
	v_add_f64 v[40:41], v[40:41], v[26:27]
	ds_read_b128 v[24:27], v35 offset:2064
	s_waitcnt lgkmcnt(1)
	v_mul_f64 v[64:65], v[30:31], v[2:3]
	v_mul_f64 v[2:3], v[28:29], v[2:3]
	v_fma_f64 v[64:65], v[28:29], v[0:1], -v[64:65]
	v_fmac_f64_e32 v[2:3], v[30:31], v[0:1]
	v_mul_f64 v[0:1], v[30:31], v[58:59]
	v_add_f64 v[20:21], v[20:21], v[64:65]
	v_add_f64 v[22:23], v[2:3], v[22:23]
	v_fma_f64 v[64:65], v[28:29], v[56:57], -v[0:1]
	v_mul_f64 v[28:29], v[28:29], v[58:59]
	ds_read_b128 v[0:3], v34 offset:512
	v_fmac_f64_e32 v[28:29], v[30:31], v[56:57]
	v_add_f64 v[30:31], v[18:19], v[64:65]
	v_add_f64 v[28:29], v[28:29], v[16:17]
	ds_read_b128 v[16:19], v34 offset:768
	s_waitcnt lgkmcnt(1)
	v_mul_f64 v[56:57], v[46:47], v[2:3]
	v_fma_f64 v[56:57], v[44:45], v[0:1], -v[56:57]
	v_add_f64 v[56:57], v[60:61], v[56:57]
	v_mul_f64 v[58:59], v[44:45], v[2:3]
	s_waitcnt lgkmcnt(0)
	v_mul_f64 v[60:61], v[46:47], v[18:19]
	v_fma_f64 v[60:61], v[44:45], v[16:17], -v[60:61]
	v_mul_f64 v[44:45], v[44:45], v[18:19]
	v_fmac_f64_e32 v[44:45], v[46:47], v[16:17]
	v_add_f64 v[40:41], v[44:45], v[40:41]
	v_mul_f64 v[44:45], v[26:27], v[2:3]
	v_mul_f64 v[2:3], v[24:25], v[2:3]
	v_fmac_f64_e32 v[58:59], v[46:47], v[0:1]
	v_fma_f64 v[44:45], v[24:25], v[0:1], -v[44:45]
	v_fmac_f64_e32 v[2:3], v[26:27], v[0:1]
	v_mul_f64 v[0:1], v[26:27], v[18:19]
	v_add_f64 v[44:45], v[20:21], v[44:45]
	v_add_f64 v[46:47], v[2:3], v[22:23]
	v_fma_f64 v[20:21], v[24:25], v[16:17], -v[0:1]
	v_mul_f64 v[18:19], v[24:25], v[18:19]
	ds_read_b128 v[0:3], v34 offset:1024
	v_fmac_f64_e32 v[18:19], v[26:27], v[16:17]
	v_add_f64 v[28:29], v[18:19], v[28:29]
	ds_read_b128 v[16:19], v34 offset:1280
	v_add_f64 v[30:31], v[30:31], v[20:21]
	s_waitcnt lgkmcnt(1)
	v_mul_f64 v[20:21], v[50:51], v[2:3]
	v_fma_f64 v[20:21], v[48:49], v[0:1], -v[20:21]
	v_mul_f64 v[22:23], v[48:49], v[2:3]
	v_add_f64 v[58:59], v[58:59], v[62:63]
	v_fmac_f64_e32 v[22:23], v[50:51], v[0:1]
	v_add_f64 v[56:57], v[56:57], v[20:21]
	s_waitcnt lgkmcnt(0)
	v_mul_f64 v[20:21], v[50:51], v[18:19]
	v_add_f64 v[58:59], v[22:23], v[58:59]
	v_fma_f64 v[24:25], v[48:49], v[16:17], -v[20:21]
	ds_read_b128 v[20:23], v35 offset:2080
	v_mul_f64 v[26:27], v[48:49], v[18:19]
	v_add_f64 v[42:43], v[42:43], v[60:61]
	v_fmac_f64_e32 v[26:27], v[50:51], v[16:17]
	v_add_f64 v[42:43], v[42:43], v[24:25]
	v_add_f64 v[40:41], v[26:27], v[40:41]
	ds_read_b128 v[24:27], v35 offset:2096
	s_waitcnt lgkmcnt(1)
	v_mul_f64 v[48:49], v[22:23], v[2:3]
	v_mul_f64 v[2:3], v[20:21], v[2:3]
	v_fma_f64 v[48:49], v[20:21], v[0:1], -v[48:49]
	v_fmac_f64_e32 v[2:3], v[22:23], v[0:1]
	v_mul_f64 v[0:1], v[22:23], v[18:19]
	v_mul_f64 v[18:19], v[20:21], v[18:19]
	v_fmac_f64_e32 v[18:19], v[22:23], v[16:17]
	v_add_f64 v[44:45], v[44:45], v[48:49]
	v_add_f64 v[46:47], v[2:3], v[46:47]
	v_fma_f64 v[48:49], v[20:21], v[16:17], -v[0:1]
	ds_read_b128 v[0:3], v34 offset:1536
	v_add_f64 v[22:23], v[18:19], v[28:29]
	ds_read_b128 v[16:19], v34 offset:1792
	v_add_f64 v[20:21], v[30:31], v[48:49]
	s_add_u32 s12, s12, 8
	s_waitcnt lgkmcnt(1)
	v_mul_f64 v[28:29], v[54:55], v[2:3]
	v_mul_f64 v[30:31], v[52:53], v[2:3]
	s_waitcnt lgkmcnt(0)
	v_mul_f64 v[48:49], v[54:55], v[18:19]
	v_fma_f64 v[48:49], v[52:53], v[16:17], -v[48:49]
	v_add_f64 v[42:43], v[42:43], v[48:49]
	v_mul_f64 v[48:49], v[26:27], v[2:3]
	v_mul_f64 v[2:3], v[24:25], v[2:3]
	v_fma_f64 v[28:29], v[52:53], v[0:1], -v[28:29]
	v_fmac_f64_e32 v[30:31], v[54:55], v[0:1]
	v_fma_f64 v[48:49], v[24:25], v[0:1], -v[48:49]
	v_fmac_f64_e32 v[2:3], v[26:27], v[0:1]
	v_mul_f64 v[0:1], v[26:27], v[18:19]
	v_mul_f64 v[50:51], v[52:53], v[18:19]
	v_add_f64 v[44:45], v[44:45], v[48:49]
	v_fma_f64 v[48:49], v[24:25], v[16:17], -v[0:1]
	v_mul_f64 v[24:25], v[24:25], v[18:19]
	v_fmac_f64_e32 v[50:51], v[54:55], v[16:17]
	v_add_f64 v[46:47], v[2:3], v[46:47]
	v_fmac_f64_e32 v[24:25], v[26:27], v[16:17]
	ds_read_b128 v[0:3], v35 offset:64
	ds_read_b128 v[16:19], v34 offset:2048
	v_add_f64 v[40:41], v[50:51], v[40:41]
	v_add_f64 v[48:49], v[20:21], v[48:49]
	v_add_f64 v[50:51], v[24:25], v[22:23]
	ds_read_b128 v[20:23], v34 offset:2304
	ds_read_b128 v[24:27], v35 offset:80
	s_waitcnt lgkmcnt(2)
	v_mul_f64 v[52:53], v[2:3], v[18:19]
	v_add_f64 v[28:29], v[56:57], v[28:29]
	v_fma_f64 v[52:53], v[0:1], v[16:17], -v[52:53]
	v_mul_f64 v[54:55], v[0:1], v[18:19]
	v_add_f64 v[30:31], v[30:31], v[58:59]
	v_fmac_f64_e32 v[54:55], v[2:3], v[16:17]
	v_add_f64 v[52:53], v[28:29], v[52:53]
	s_waitcnt lgkmcnt(1)
	v_mul_f64 v[28:29], v[2:3], v[22:23]
	v_add_f64 v[54:55], v[54:55], v[30:31]
	v_fma_f64 v[56:57], v[0:1], v[20:21], -v[28:29]
	ds_read_b128 v[28:31], v35 offset:2112
	v_mul_f64 v[0:1], v[0:1], v[22:23]
	v_fmac_f64_e32 v[0:1], v[2:3], v[20:21]
	v_add_f64 v[42:43], v[42:43], v[56:57]
	v_add_f64 v[40:41], v[0:1], v[40:41]
	ds_read_b128 v[0:3], v35 offset:2128
	s_waitcnt lgkmcnt(1)
	v_mul_f64 v[56:57], v[30:31], v[18:19]
	v_mul_f64 v[18:19], v[28:29], v[18:19]
	v_fma_f64 v[56:57], v[28:29], v[16:17], -v[56:57]
	v_fmac_f64_e32 v[18:19], v[30:31], v[16:17]
	v_mul_f64 v[16:17], v[30:31], v[22:23]
	v_add_f64 v[44:45], v[44:45], v[56:57]
	v_add_f64 v[46:47], v[18:19], v[46:47]
	v_fma_f64 v[56:57], v[28:29], v[20:21], -v[16:17]
	v_mul_f64 v[22:23], v[28:29], v[22:23]
	ds_read_b128 v[16:19], v34 offset:2560
	v_fmac_f64_e32 v[22:23], v[30:31], v[20:21]
	v_add_f64 v[30:31], v[22:23], v[50:51]
	ds_read_b128 v[20:23], v34 offset:2816
	v_add_f64 v[28:29], v[48:49], v[56:57]
	s_waitcnt lgkmcnt(1)
	v_mul_f64 v[48:49], v[26:27], v[18:19]
	v_fma_f64 v[48:49], v[24:25], v[16:17], -v[48:49]
	v_add_f64 v[48:49], v[52:53], v[48:49]
	s_waitcnt lgkmcnt(0)
	v_mul_f64 v[52:53], v[26:27], v[22:23]
	v_mul_f64 v[50:51], v[24:25], v[18:19]
	v_fma_f64 v[52:53], v[24:25], v[20:21], -v[52:53]
	v_mul_f64 v[24:25], v[24:25], v[22:23]
	v_fmac_f64_e32 v[24:25], v[26:27], v[20:21]
	v_add_f64 v[40:41], v[24:25], v[40:41]
	v_mul_f64 v[24:25], v[2:3], v[18:19]
	v_mul_f64 v[18:19], v[0:1], v[18:19]
	v_fmac_f64_e32 v[50:51], v[26:27], v[16:17]
	v_fma_f64 v[24:25], v[0:1], v[16:17], -v[24:25]
	v_fmac_f64_e32 v[18:19], v[2:3], v[16:17]
	v_mul_f64 v[16:17], v[2:3], v[22:23]
	v_mul_f64 v[22:23], v[0:1], v[22:23]
	v_add_f64 v[44:45], v[44:45], v[24:25]
	v_add_f64 v[46:47], v[18:19], v[46:47]
	v_fma_f64 v[24:25], v[0:1], v[20:21], -v[16:17]
	v_fmac_f64_e32 v[22:23], v[2:3], v[20:21]
	ds_read_b128 v[0:3], v35 offset:96
	ds_read_b128 v[16:19], v34 offset:3072
	v_add_f64 v[50:51], v[50:51], v[54:55]
	v_add_f64 v[42:43], v[42:43], v[52:53]
	;; [unrolled: 1-line block ×4, first 2 shown]
	ds_read_b128 v[20:23], v34 offset:3328
	ds_read_b128 v[24:27], v35 offset:112
	s_waitcnt lgkmcnt(2)
	v_mul_f64 v[28:29], v[2:3], v[18:19]
	v_fma_f64 v[28:29], v[0:1], v[16:17], -v[28:29]
	v_mul_f64 v[30:31], v[0:1], v[18:19]
	v_fmac_f64_e32 v[30:31], v[2:3], v[16:17]
	v_add_f64 v[48:49], v[48:49], v[28:29]
	s_waitcnt lgkmcnt(1)
	v_mul_f64 v[28:29], v[2:3], v[22:23]
	v_add_f64 v[50:51], v[30:31], v[50:51]
	v_fma_f64 v[56:57], v[0:1], v[20:21], -v[28:29]
	ds_read_b128 v[28:31], v35 offset:2144
	v_mul_f64 v[0:1], v[0:1], v[22:23]
	v_fmac_f64_e32 v[0:1], v[2:3], v[20:21]
	v_add_f64 v[58:59], v[0:1], v[40:41]
	ds_read_b128 v[0:3], v35 offset:2160
	s_waitcnt lgkmcnt(1)
	v_mul_f64 v[40:41], v[30:31], v[18:19]
	v_mul_f64 v[18:19], v[28:29], v[18:19]
	v_fma_f64 v[40:41], v[28:29], v[16:17], -v[40:41]
	v_fmac_f64_e32 v[18:19], v[30:31], v[16:17]
	v_mul_f64 v[16:17], v[30:31], v[22:23]
	v_add_f64 v[44:45], v[44:45], v[40:41]
	v_add_f64 v[46:47], v[18:19], v[46:47]
	v_fma_f64 v[40:41], v[28:29], v[20:21], -v[16:17]
	ds_read_b128 v[16:19], v34 offset:3584
	v_add_f64 v[56:57], v[42:43], v[56:57]
	v_add_f64 v[52:53], v[52:53], v[40:41]
	ds_read_b128 v[40:43], v34 offset:3840
	v_mul_f64 v[22:23], v[28:29], v[22:23]
	v_fmac_f64_e32 v[22:23], v[30:31], v[20:21]
	s_waitcnt lgkmcnt(1)
	v_mul_f64 v[20:21], v[26:27], v[18:19]
	v_fma_f64 v[20:21], v[24:25], v[16:17], -v[20:21]
	v_add_f64 v[54:55], v[22:23], v[54:55]
	v_mul_f64 v[22:23], v[24:25], v[18:19]
	v_add_f64 v[28:29], v[48:49], v[20:21]
	s_waitcnt lgkmcnt(0)
	v_mul_f64 v[20:21], v[26:27], v[42:43]
	v_fmac_f64_e32 v[22:23], v[26:27], v[16:17]
	v_fma_f64 v[20:21], v[24:25], v[40:41], -v[20:21]
	v_add_f64 v[30:31], v[22:23], v[50:51]
	v_mul_f64 v[22:23], v[24:25], v[42:43]
	v_add_f64 v[24:25], v[56:57], v[20:21]
	v_mul_f64 v[20:21], v[2:3], v[18:19]
	v_mul_f64 v[18:19], v[0:1], v[18:19]
	v_fma_f64 v[20:21], v[0:1], v[16:17], -v[20:21]
	v_fmac_f64_e32 v[18:19], v[2:3], v[16:17]
	v_mul_f64 v[16:17], v[2:3], v[42:43]
	v_fma_f64 v[16:17], v[0:1], v[40:41], -v[16:17]
	v_mul_f64 v[0:1], v[0:1], v[42:43]
	v_fmac_f64_e32 v[22:23], v[26:27], v[40:41]
	v_fmac_f64_e32 v[0:1], v[2:3], v[40:41]
	s_addc_u32 s13, s13, 0
	v_add_f64 v[26:27], v[22:23], v[58:59]
	v_add_f64 v[22:23], v[18:19], v[46:47]
	;; [unrolled: 1-line block ×4, first 2 shown]
	v_mov_b64_e32 v[0:1], s[12:13]
	v_cmp_gt_i64_e32 vcc, s[8:9], v[0:1]
	v_add_f64 v[20:21], v[44:45], v[20:21]
	s_barrier
	s_cbranch_vccz .LBB257_16
.LBB257_8:                              ; =>This Inner Loop Header: Depth=1
	s_mov_b64 s[18:19], s[10:11]
	s_mov_b64 s[14:15], 0
	s_and_saveexec_b64 s[16:17], s[0:1]
	s_cbranch_execnz .LBB257_14
; %bb.9:                                ;   in Loop: Header=BB257_8 Depth=1
	s_or_b64 exec, exec, s[16:17]
	s_and_saveexec_b64 s[16:17], s[18:19]
	s_xor_b64 s[16:17], exec, s[16:17]
	s_cbranch_execnz .LBB257_15
.LBB257_10:                             ;   in Loop: Header=BB257_8 Depth=1
	s_or_b64 exec, exec, s[16:17]
	s_and_saveexec_b64 s[16:17], s[14:15]
	s_cbranch_execz .LBB257_12
.LBB257_11:                             ;   in Loop: Header=BB257_8 Depth=1
	v_lshl_add_u64 v[0:1], v[14:15], 4, v[8:9]
	global_load_dwordx4 v[0:3], v[0:1], off
	s_waitcnt vmcnt(0)
	ds_write2_b64 v32, v[0:1], v[2:3] offset1:1
.LBB257_12:                             ;   in Loop: Header=BB257_8 Depth=1
	s_or_b64 exec, exec, s[16:17]
	v_add_u32_e32 v12, s12, v4
	v_cmp_gt_u64_e32 vcc, s[8:9], v[12:13]
	s_and_b64 s[16:17], vcc, s[2:3]
	v_mov_b64_e32 v[0:1], 0
	v_mov_b64_e32 v[2:3], 0
	s_and_saveexec_b64 s[14:15], s[16:17]
	s_cbranch_execz .LBB257_7
; %bb.13:                               ;   in Loop: Header=BB257_8 Depth=1
	v_mad_u64_u32 v[0:1], s[16:17], s20, v12, 0
	v_mov_b32_e32 v2, v1
	v_mad_u64_u32 v[2:3], s[16:17], s21, v12, v[2:3]
	v_mov_b32_e32 v1, v2
	v_lshl_add_u64 v[0:1], v[0:1], 4, v[10:11]
	global_load_dwordx4 v[0:3], v[0:1], off
	s_waitcnt vmcnt(0)
	v_xor_b32_e32 v3, 0x80000000, v3
	s_branch .LBB257_7
.LBB257_14:                             ;   in Loop: Header=BB257_8 Depth=1
	v_add_u32_e32 v12, s12, v6
	v_cmp_le_u64_e32 vcc, s[8:9], v[12:13]
	s_andn2_b64 s[18:19], s[10:11], exec
	s_and_b64 s[22:23], vcc, exec
	s_mov_b64 s[14:15], exec
	s_or_b64 s[18:19], s[18:19], s[22:23]
	v_mov_b64_e32 v[14:15], v[12:13]
	s_or_b64 exec, exec, s[16:17]
	s_and_saveexec_b64 s[16:17], s[18:19]
	s_xor_b64 s[16:17], exec, s[16:17]
	s_cbranch_execz .LBB257_10
.LBB257_15:                             ;   in Loop: Header=BB257_8 Depth=1
	ds_write_b128 v32, v[36:39]
	s_andn2_b64 s[14:15], s[14:15], exec
	s_or_b64 exec, exec, s[16:17]
	s_and_saveexec_b64 s[16:17], s[14:15]
	s_cbranch_execnz .LBB257_11
	s_branch .LBB257_12
.LBB257_16:
	s_mul_i32 s0, s31, s4
	s_mul_hi_u32 s1, s30, s4
	s_add_i32 s1, s1, s0
	s_mul_i32 s0, s30, s4
	s_lshl_b64 s[0:1], s[0:1], 4
	v_add_u32_e32 v10, s33, v7
	s_add_u32 s4, s26, s0
	v_ashrrev_i32_e32 v0, 31, v10
	s_addc_u32 s5, s27, s1
	v_cmp_neq_f64_e64 s[0:1], s[36:37], 0
	s_xor_b64 s[6:7], s[6:7], -1
	v_mul_lo_u32 v2, s28, v0
	v_mul_lo_u32 v3, s29, v10
	v_mad_u64_u32 v[0:1], s[8:9], s28, v10, 0
	v_add_u32_e32 v4, s25, v5
	v_add3_u32 v1, v1, v2, v3
	s_or_b64 s[0:1], s[0:1], s[6:7]
	s_waitcnt lgkmcnt(0)
	v_cmp_gt_i32_e64 s[2:3], s24, v10
	v_lshl_add_u64 v[8:9], v[0:1], 4, s[4:5]
	v_cmp_le_i32_e32 vcc, v4, v10
	v_cndmask_b32_e64 v0, 0, 1, s[0:1]
	s_and_b64 s[8:9], s[2:3], vcc
	v_ashrrev_i32_e32 v5, 31, v4
	v_cmp_ne_u32_e64 s[0:1], 1, v0
	s_and_saveexec_b64 s[6:7], s[8:9]
	s_cbranch_execz .LBB257_20
; %bb.17:
	v_mul_f64 v[0:1], s[42:43], v[30:31]
	v_mul_f64 v[2:3], s[40:41], v[30:31]
	v_fma_f64 v[0:1], s[40:41], v[28:29], -v[0:1]
	v_fmac_f64_e32 v[2:3], s[42:43], v[28:29]
	s_and_b64 vcc, exec, s[0:1]
	v_lshl_add_u64 v[6:7], v[4:5], 4, v[8:9]
	s_cbranch_vccnz .LBB257_19
; %bb.18:
	global_load_dwordx4 v[12:15], v[6:7], off
	s_waitcnt vmcnt(0)
	v_mul_f64 v[28:29], s[38:39], v[14:15]
	v_mul_f64 v[14:15], s[36:37], v[14:15]
	v_fma_f64 v[28:29], s[36:37], v[12:13], -v[28:29]
	v_fmac_f64_e32 v[14:15], s[38:39], v[12:13]
	v_add_f64 v[0:1], v[0:1], v[28:29]
	v_add_f64 v[2:3], v[2:3], v[14:15]
.LBB257_19:
	global_store_dwordx4 v[6:7], v[0:3], off
.LBB257_20:
	s_or_b64 exec, exec, s[6:7]
	v_add_u32_e32 v6, 16, v4
	v_cmp_le_i32_e32 vcc, v6, v10
	s_and_b64 s[6:7], s[2:3], vcc
	v_ashrrev_i32_e32 v7, 31, v6
	s_and_saveexec_b64 s[2:3], s[6:7]
	s_cbranch_execz .LBB257_24
; %bb.21:
	v_mul_f64 v[0:1], s[42:43], v[26:27]
	v_mul_f64 v[2:3], s[40:41], v[26:27]
	v_fma_f64 v[0:1], s[40:41], v[24:25], -v[0:1]
	v_fmac_f64_e32 v[2:3], s[42:43], v[24:25]
	s_and_b64 vcc, exec, s[0:1]
	v_lshl_add_u64 v[8:9], v[6:7], 4, v[8:9]
	s_cbranch_vccnz .LBB257_23
; %bb.22:
	global_load_dwordx4 v[12:15], v[8:9], off
	s_waitcnt vmcnt(0)
	v_mul_f64 v[24:25], s[38:39], v[14:15]
	v_mul_f64 v[14:15], s[36:37], v[14:15]
	v_fma_f64 v[24:25], s[36:37], v[12:13], -v[24:25]
	v_fmac_f64_e32 v[14:15], s[38:39], v[12:13]
	v_add_f64 v[0:1], v[0:1], v[24:25]
	v_add_f64 v[2:3], v[2:3], v[14:15]
.LBB257_23:
	global_store_dwordx4 v[8:9], v[0:3], off
.LBB257_24:
	s_or_b64 exec, exec, s[2:3]
	v_add_u32_e32 v10, 16, v10
	v_ashrrev_i32_e32 v0, 31, v10
	v_mul_lo_u32 v2, s28, v0
	v_mul_lo_u32 v3, s29, v10
	v_mad_u64_u32 v[0:1], s[6:7], s28, v10, 0
	v_cmp_gt_i32_e64 s[2:3], s24, v10
	v_add3_u32 v1, v1, v2, v3
	v_cmp_le_i32_e32 vcc, v4, v10
	v_lshl_add_u64 v[8:9], v[0:1], 4, s[4:5]
	s_and_b64 s[6:7], s[2:3], vcc
	s_and_saveexec_b64 s[4:5], s[6:7]
	s_cbranch_execz .LBB257_28
; %bb.25:
	v_mul_f64 v[0:1], s[42:43], v[22:23]
	v_mul_f64 v[2:3], s[40:41], v[22:23]
	v_fma_f64 v[0:1], s[40:41], v[20:21], -v[0:1]
	v_fmac_f64_e32 v[2:3], s[42:43], v[20:21]
	s_and_b64 vcc, exec, s[0:1]
	v_lshl_add_u64 v[4:5], v[4:5], 4, v[8:9]
	s_cbranch_vccnz .LBB257_27
; %bb.26:
	global_load_dwordx4 v[12:15], v[4:5], off
	s_waitcnt vmcnt(0)
	v_mul_f64 v[20:21], s[38:39], v[14:15]
	v_mul_f64 v[14:15], s[36:37], v[14:15]
	v_fma_f64 v[20:21], s[36:37], v[12:13], -v[20:21]
	v_fmac_f64_e32 v[14:15], s[38:39], v[12:13]
	v_add_f64 v[0:1], v[0:1], v[20:21]
	v_add_f64 v[2:3], v[2:3], v[14:15]
.LBB257_27:
	global_store_dwordx4 v[4:5], v[0:3], off
.LBB257_28:
	s_or_b64 exec, exec, s[4:5]
	v_cmp_le_i32_e32 vcc, v6, v10
	s_and_b64 s[2:3], s[2:3], vcc
	s_and_saveexec_b64 s[4:5], s[2:3]
	s_cbranch_execz .LBB257_32
; %bb.29:
	v_mul_f64 v[0:1], s[42:43], v[16:17]
	v_mul_f64 v[2:3], s[40:41], v[16:17]
	v_fma_f64 v[0:1], s[40:41], v[18:19], -v[0:1]
	v_fmac_f64_e32 v[2:3], s[42:43], v[18:19]
	s_and_b64 vcc, exec, s[0:1]
	v_lshl_add_u64 v[4:5], v[6:7], 4, v[8:9]
	s_cbranch_vccnz .LBB257_31
; %bb.30:
	global_load_dwordx4 v[6:9], v[4:5], off
	s_waitcnt vmcnt(0)
	v_mul_f64 v[10:11], s[38:39], v[8:9]
	v_mul_f64 v[8:9], s[36:37], v[8:9]
	v_fma_f64 v[10:11], s[36:37], v[6:7], -v[10:11]
	v_fmac_f64_e32 v[8:9], s[38:39], v[6:7]
	v_add_f64 v[0:1], v[0:1], v[10:11]
	v_add_f64 v[2:3], v[2:3], v[8:9]
.LBB257_31:
	global_store_dwordx4 v[4:5], v[0:3], off
.LBB257_32:
	s_endpgm
	.section	.rodata,"a",@progbits
	.p2align	6, 0x0
	.amdhsa_kernel _ZL29rocblas_internal_gemmt_kernelIlLi16ELi32ELi8ELc84ELc67ELc85ELb0ELb1E19rocblas_complex_numIdEPKS1_S3_PS1_EviT_T9_T10_S5_lS7_S5_lS6_T11_S5_li
		.amdhsa_group_segment_fixed_size 8192
		.amdhsa_private_segment_fixed_size 0
		.amdhsa_kernarg_size 108
		.amdhsa_user_sgpr_count 2
		.amdhsa_user_sgpr_dispatch_ptr 0
		.amdhsa_user_sgpr_queue_ptr 0
		.amdhsa_user_sgpr_kernarg_segment_ptr 1
		.amdhsa_user_sgpr_dispatch_id 0
		.amdhsa_user_sgpr_kernarg_preload_length 0
		.amdhsa_user_sgpr_kernarg_preload_offset 0
		.amdhsa_user_sgpr_private_segment_size 0
		.amdhsa_uses_dynamic_stack 0
		.amdhsa_enable_private_segment 0
		.amdhsa_system_sgpr_workgroup_id_x 1
		.amdhsa_system_sgpr_workgroup_id_y 1
		.amdhsa_system_sgpr_workgroup_id_z 1
		.amdhsa_system_sgpr_workgroup_info 0
		.amdhsa_system_vgpr_workitem_id 1
		.amdhsa_next_free_vgpr 66
		.amdhsa_next_free_sgpr 44
		.amdhsa_accum_offset 68
		.amdhsa_reserve_vcc 1
		.amdhsa_float_round_mode_32 0
		.amdhsa_float_round_mode_16_64 0
		.amdhsa_float_denorm_mode_32 3
		.amdhsa_float_denorm_mode_16_64 3
		.amdhsa_dx10_clamp 1
		.amdhsa_ieee_mode 1
		.amdhsa_fp16_overflow 0
		.amdhsa_tg_split 0
		.amdhsa_exception_fp_ieee_invalid_op 0
		.amdhsa_exception_fp_denorm_src 0
		.amdhsa_exception_fp_ieee_div_zero 0
		.amdhsa_exception_fp_ieee_overflow 0
		.amdhsa_exception_fp_ieee_underflow 0
		.amdhsa_exception_fp_ieee_inexact 0
		.amdhsa_exception_int_div_zero 0
	.end_amdhsa_kernel
	.section	.text._ZL29rocblas_internal_gemmt_kernelIlLi16ELi32ELi8ELc84ELc67ELc85ELb0ELb1E19rocblas_complex_numIdEPKS1_S3_PS1_EviT_T9_T10_S5_lS7_S5_lS6_T11_S5_li,"axG",@progbits,_ZL29rocblas_internal_gemmt_kernelIlLi16ELi32ELi8ELc84ELc67ELc85ELb0ELb1E19rocblas_complex_numIdEPKS1_S3_PS1_EviT_T9_T10_S5_lS7_S5_lS6_T11_S5_li,comdat
.Lfunc_end257:
	.size	_ZL29rocblas_internal_gemmt_kernelIlLi16ELi32ELi8ELc84ELc67ELc85ELb0ELb1E19rocblas_complex_numIdEPKS1_S3_PS1_EviT_T9_T10_S5_lS7_S5_lS6_T11_S5_li, .Lfunc_end257-_ZL29rocblas_internal_gemmt_kernelIlLi16ELi32ELi8ELc84ELc67ELc85ELb0ELb1E19rocblas_complex_numIdEPKS1_S3_PS1_EviT_T9_T10_S5_lS7_S5_lS6_T11_S5_li
                                        ; -- End function
	.set _ZL29rocblas_internal_gemmt_kernelIlLi16ELi32ELi8ELc84ELc67ELc85ELb0ELb1E19rocblas_complex_numIdEPKS1_S3_PS1_EviT_T9_T10_S5_lS7_S5_lS6_T11_S5_li.num_vgpr, 66
	.set _ZL29rocblas_internal_gemmt_kernelIlLi16ELi32ELi8ELc84ELc67ELc85ELb0ELb1E19rocblas_complex_numIdEPKS1_S3_PS1_EviT_T9_T10_S5_lS7_S5_lS6_T11_S5_li.num_agpr, 0
	.set _ZL29rocblas_internal_gemmt_kernelIlLi16ELi32ELi8ELc84ELc67ELc85ELb0ELb1E19rocblas_complex_numIdEPKS1_S3_PS1_EviT_T9_T10_S5_lS7_S5_lS6_T11_S5_li.numbered_sgpr, 44
	.set _ZL29rocblas_internal_gemmt_kernelIlLi16ELi32ELi8ELc84ELc67ELc85ELb0ELb1E19rocblas_complex_numIdEPKS1_S3_PS1_EviT_T9_T10_S5_lS7_S5_lS6_T11_S5_li.num_named_barrier, 0
	.set _ZL29rocblas_internal_gemmt_kernelIlLi16ELi32ELi8ELc84ELc67ELc85ELb0ELb1E19rocblas_complex_numIdEPKS1_S3_PS1_EviT_T9_T10_S5_lS7_S5_lS6_T11_S5_li.private_seg_size, 0
	.set _ZL29rocblas_internal_gemmt_kernelIlLi16ELi32ELi8ELc84ELc67ELc85ELb0ELb1E19rocblas_complex_numIdEPKS1_S3_PS1_EviT_T9_T10_S5_lS7_S5_lS6_T11_S5_li.uses_vcc, 1
	.set _ZL29rocblas_internal_gemmt_kernelIlLi16ELi32ELi8ELc84ELc67ELc85ELb0ELb1E19rocblas_complex_numIdEPKS1_S3_PS1_EviT_T9_T10_S5_lS7_S5_lS6_T11_S5_li.uses_flat_scratch, 0
	.set _ZL29rocblas_internal_gemmt_kernelIlLi16ELi32ELi8ELc84ELc67ELc85ELb0ELb1E19rocblas_complex_numIdEPKS1_S3_PS1_EviT_T9_T10_S5_lS7_S5_lS6_T11_S5_li.has_dyn_sized_stack, 0
	.set _ZL29rocblas_internal_gemmt_kernelIlLi16ELi32ELi8ELc84ELc67ELc85ELb0ELb1E19rocblas_complex_numIdEPKS1_S3_PS1_EviT_T9_T10_S5_lS7_S5_lS6_T11_S5_li.has_recursion, 0
	.set _ZL29rocblas_internal_gemmt_kernelIlLi16ELi32ELi8ELc84ELc67ELc85ELb0ELb1E19rocblas_complex_numIdEPKS1_S3_PS1_EviT_T9_T10_S5_lS7_S5_lS6_T11_S5_li.has_indirect_call, 0
	.section	.AMDGPU.csdata,"",@progbits
; Kernel info:
; codeLenInByte = 3224
; TotalNumSgprs: 50
; NumVgprs: 66
; NumAgprs: 0
; TotalNumVgprs: 66
; ScratchSize: 0
; MemoryBound: 1
; FloatMode: 240
; IeeeMode: 1
; LDSByteSize: 8192 bytes/workgroup (compile time only)
; SGPRBlocks: 6
; VGPRBlocks: 8
; NumSGPRsForWavesPerEU: 50
; NumVGPRsForWavesPerEU: 66
; AccumOffset: 68
; Occupancy: 7
; WaveLimiterHint : 0
; COMPUTE_PGM_RSRC2:SCRATCH_EN: 0
; COMPUTE_PGM_RSRC2:USER_SGPR: 2
; COMPUTE_PGM_RSRC2:TRAP_HANDLER: 0
; COMPUTE_PGM_RSRC2:TGID_X_EN: 1
; COMPUTE_PGM_RSRC2:TGID_Y_EN: 1
; COMPUTE_PGM_RSRC2:TGID_Z_EN: 1
; COMPUTE_PGM_RSRC2:TIDIG_COMP_CNT: 1
; COMPUTE_PGM_RSRC3_GFX90A:ACCUM_OFFSET: 16
; COMPUTE_PGM_RSRC3_GFX90A:TG_SPLIT: 0
	.section	.text._ZL29rocblas_internal_gemmt_kernelIlLi16ELi32ELi8ELc67ELc78ELc85ELb1ELb0E19rocblas_complex_numIdEPKS1_S3_PS1_EviT_T9_T10_S5_lS7_S5_lS6_T11_S5_li,"axG",@progbits,_ZL29rocblas_internal_gemmt_kernelIlLi16ELi32ELi8ELc67ELc78ELc85ELb1ELb0E19rocblas_complex_numIdEPKS1_S3_PS1_EviT_T9_T10_S5_lS7_S5_lS6_T11_S5_li,comdat
	.globl	_ZL29rocblas_internal_gemmt_kernelIlLi16ELi32ELi8ELc67ELc78ELc85ELb1ELb0E19rocblas_complex_numIdEPKS1_S3_PS1_EviT_T9_T10_S5_lS7_S5_lS6_T11_S5_li ; -- Begin function _ZL29rocblas_internal_gemmt_kernelIlLi16ELi32ELi8ELc67ELc78ELc85ELb1ELb0E19rocblas_complex_numIdEPKS1_S3_PS1_EviT_T9_T10_S5_lS7_S5_lS6_T11_S5_li
	.p2align	8
	.type	_ZL29rocblas_internal_gemmt_kernelIlLi16ELi32ELi8ELc67ELc78ELc85ELb1ELb0E19rocblas_complex_numIdEPKS1_S3_PS1_EviT_T9_T10_S5_lS7_S5_lS6_T11_S5_li,@function
_ZL29rocblas_internal_gemmt_kernelIlLi16ELi32ELi8ELc67ELc78ELc85ELb1ELb0E19rocblas_complex_numIdEPKS1_S3_PS1_EviT_T9_T10_S5_lS7_S5_lS6_T11_S5_li: ; @_ZL29rocblas_internal_gemmt_kernelIlLi16ELi32ELi8ELc67ELc78ELc85ELb1ELb0E19rocblas_complex_numIdEPKS1_S3_PS1_EviT_T9_T10_S5_lS7_S5_lS6_T11_S5_li
; %bb.0:
	s_load_dwordx8 s[24:31], s[0:1], 0x48
	s_load_dwordx16 s[8:23], s[0:1], 0x8
	s_waitcnt lgkmcnt(0)
	s_load_dwordx4 s[36:39], s[24:25], 0x0
	s_load_dwordx4 s[40:43], s[10:11], 0x0
	s_mov_b64 s[24:25], 0
	s_waitcnt lgkmcnt(0)
	v_cmp_eq_f64_e64 s[10:11], s[36:37], 1.0
	v_cmp_eq_f64_e64 s[6:7], s[38:39], 0
	s_and_b64 s[10:11], s[10:11], s[6:7]
	s_andn2_b64 vcc, exec, s[10:11]
	s_mov_b64 s[10:11], -1
	s_cbranch_vccnz .LBB258_4
; %bb.1:
	s_cmp_lg_u64 s[8:9], 0
	s_cbranch_scc0 .LBB258_3
; %bb.2:
	v_cmp_neq_f64_e64 s[10:11], s[40:41], 0
	v_cmp_neq_f64_e64 s[24:25], s[42:43], 0
	s_or_b64 s[24:25], s[10:11], s[24:25]
.LBB258_3:
	s_mov_b64 s[10:11], s[24:25]
.LBB258_4:
	s_and_b64 vcc, exec, s[10:11]
	s_cbranch_vccz .LBB258_32
; %bb.5:
	s_load_dword s24, s[0:1], 0x0
	s_lshl_b32 s25, s2, 5
	s_lshl_b32 s33, s3, 5
	v_cmp_eq_f64_e64 s[0:1], s[40:41], 0
	v_cmp_eq_f64_e64 s[2:3], s[42:43], 0
	s_and_b64 s[0:1], s[0:1], s[2:3]
	v_cmp_lt_i64_e64 s[2:3], s[8:9], 1
	s_or_b64 s[0:1], s[0:1], s[2:3]
	v_and_b32_e32 v5, 0x3ff, v0
	v_bfe_u32 v7, v0, 10, 10
	v_mov_b64_e32 v[26:27], 0
	s_and_b64 vcc, exec, s[0:1]
	v_mov_b64_e32 v[28:29], 0
	v_mov_b64_e32 v[22:23], 0
	;; [unrolled: 1-line block ×7, first 2 shown]
	s_cbranch_vccnz .LBB258_16
; %bb.6:
	s_mul_i32 s0, s23, s4
	s_mul_hi_u32 s1, s22, s4
	s_add_i32 s1, s1, s0
	s_mul_i32 s0, s22, s4
	s_lshl_b64 s[0:1], s[0:1], 4
	s_add_u32 s2, s18, s0
	s_addc_u32 s3, s19, s1
	s_mul_i32 s0, s17, s4
	s_mul_hi_u32 s1, s16, s4
	s_add_i32 s1, s1, s0
	s_mul_i32 s0, s16, s4
	v_lshl_add_u32 v0, v7, 4, v5
	s_lshl_b64 s[0:1], s[0:1], 4
	v_lshrrev_b32_e32 v6, 5, v0
	v_lshrrev_b32_e32 v2, 3, v0
	v_and_b32_e32 v0, 31, v0
	s_add_u32 s10, s12, s0
	v_or_b32_e32 v1, s25, v0
	s_addc_u32 s11, s13, s1
	v_lshlrev_b32_e32 v0, 4, v0
	s_ashr_i32 s5, s25, 31
	s_waitcnt lgkmcnt(0)
	v_cmp_gt_i32_e64 s[0:1], s24, v1
	v_lshl_or_b32 v30, v6, 9, v0
	v_mul_lo_u32 v8, s15, v1
	v_mad_u64_u32 v[0:1], s[12:13], s14, v1, 0
	s_mul_i32 s5, s14, s5
	v_and_b32_e32 v4, 7, v5
	v_add3_u32 v1, v1, s5, v8
	v_lshl_add_u64 v[8:9], v[0:1], 4, s[10:11]
	v_lshlrev_b32_e32 v0, 4, v4
	v_add_u32_e32 v3, s33, v2
	v_lshl_or_b32 v0, v2, 7, v0
	v_add_u32_e32 v31, 0x1000, v0
	v_ashrrev_i32_e32 v0, 31, v3
	v_mul_lo_u32 v2, s20, v0
	v_mul_lo_u32 v10, s21, v3
	v_mad_u64_u32 v[0:1], s[10:11], s20, v3, 0
	v_add3_u32 v1, v1, v2, v10
	v_cmp_gt_i32_e32 vcc, s24, v3
	v_lshl_add_u64 v[10:11], v[0:1], 4, s[2:3]
	v_mov_b32_e32 v0, 0x1000
	v_mov_b32_e32 v13, 0
	v_lshlrev_b32_e32 v32, 4, v5
	v_lshl_add_u32 v33, v7, 7, v0
	v_mov_b64_e32 v[14:15], 0
	s_mov_b64 s[2:3], 0
	s_xor_b64 s[10:11], vcc, -1
	v_mov_b32_e32 v34, v13
	v_mov_b32_e32 v35, v13
	;; [unrolled: 1-line block ×4, first 2 shown]
	v_mov_b64_e32 v[16:17], 0
	v_mov_b64_e32 v[20:21], 0
	;; [unrolled: 1-line block ×7, first 2 shown]
	s_branch .LBB258_8
.LBB258_7:                              ;   in Loop: Header=BB258_8 Depth=1
	s_or_b64 exec, exec, s[12:13]
	s_waitcnt lgkmcnt(0)
	s_barrier
	ds_read_b128 v[0:3], v32
	ds_read_b128 v[38:41], v33
	ds_read_b128 v[42:45], v33 offset:16
	ds_read_b128 v[46:49], v33 offset:32
	;; [unrolled: 1-line block ×4, first 2 shown]
	s_waitcnt lgkmcnt(4)
	v_mul_f64 v[58:59], v[40:41], v[2:3]
	v_fma_f64 v[58:59], v[38:39], v[0:1], -v[58:59]
	v_mul_f64 v[60:61], v[38:39], v[2:3]
	v_fmac_f64_e32 v[60:61], v[40:41], v[0:1]
	v_add_f64 v[58:59], v[26:27], v[58:59]
	s_waitcnt lgkmcnt(0)
	v_mul_f64 v[26:27], v[40:41], v[56:57]
	v_add_f64 v[60:61], v[60:61], v[28:29]
	v_fma_f64 v[62:63], v[38:39], v[54:55], -v[26:27]
	ds_read_b128 v[26:29], v33 offset:2048
	v_mul_f64 v[38:39], v[38:39], v[56:57]
	v_fmac_f64_e32 v[38:39], v[40:41], v[54:55]
	v_add_f64 v[40:41], v[22:23], v[62:63]
	v_add_f64 v[38:39], v[38:39], v[24:25]
	ds_read_b128 v[22:25], v33 offset:2064
	s_waitcnt lgkmcnt(1)
	v_mul_f64 v[62:63], v[28:29], v[2:3]
	v_mul_f64 v[2:3], v[26:27], v[2:3]
	v_fma_f64 v[62:63], v[26:27], v[0:1], -v[62:63]
	v_fmac_f64_e32 v[2:3], v[28:29], v[0:1]
	v_mul_f64 v[0:1], v[28:29], v[56:57]
	v_add_f64 v[18:19], v[18:19], v[62:63]
	v_add_f64 v[20:21], v[2:3], v[20:21]
	v_fma_f64 v[62:63], v[26:27], v[54:55], -v[0:1]
	v_mul_f64 v[26:27], v[26:27], v[56:57]
	ds_read_b128 v[0:3], v32 offset:512
	v_fmac_f64_e32 v[26:27], v[28:29], v[54:55]
	v_add_f64 v[28:29], v[16:17], v[62:63]
	v_add_f64 v[26:27], v[26:27], v[14:15]
	ds_read_b128 v[14:17], v32 offset:768
	s_waitcnt lgkmcnt(1)
	v_mul_f64 v[54:55], v[44:45], v[2:3]
	v_fma_f64 v[54:55], v[42:43], v[0:1], -v[54:55]
	v_add_f64 v[54:55], v[58:59], v[54:55]
	v_mul_f64 v[56:57], v[42:43], v[2:3]
	s_waitcnt lgkmcnt(0)
	v_mul_f64 v[58:59], v[44:45], v[16:17]
	v_fma_f64 v[58:59], v[42:43], v[14:15], -v[58:59]
	v_mul_f64 v[42:43], v[42:43], v[16:17]
	v_fmac_f64_e32 v[42:43], v[44:45], v[14:15]
	v_add_f64 v[38:39], v[42:43], v[38:39]
	v_mul_f64 v[42:43], v[24:25], v[2:3]
	v_mul_f64 v[2:3], v[22:23], v[2:3]
	v_fmac_f64_e32 v[56:57], v[44:45], v[0:1]
	v_fma_f64 v[42:43], v[22:23], v[0:1], -v[42:43]
	v_fmac_f64_e32 v[2:3], v[24:25], v[0:1]
	v_mul_f64 v[0:1], v[24:25], v[16:17]
	v_add_f64 v[42:43], v[18:19], v[42:43]
	v_add_f64 v[44:45], v[2:3], v[20:21]
	v_fma_f64 v[18:19], v[22:23], v[14:15], -v[0:1]
	v_mul_f64 v[16:17], v[22:23], v[16:17]
	ds_read_b128 v[0:3], v32 offset:1024
	v_fmac_f64_e32 v[16:17], v[24:25], v[14:15]
	v_add_f64 v[26:27], v[16:17], v[26:27]
	ds_read_b128 v[14:17], v32 offset:1280
	v_add_f64 v[28:29], v[28:29], v[18:19]
	s_waitcnt lgkmcnt(1)
	v_mul_f64 v[18:19], v[48:49], v[2:3]
	v_fma_f64 v[18:19], v[46:47], v[0:1], -v[18:19]
	v_mul_f64 v[20:21], v[46:47], v[2:3]
	v_add_f64 v[56:57], v[56:57], v[60:61]
	v_fmac_f64_e32 v[20:21], v[48:49], v[0:1]
	v_add_f64 v[54:55], v[54:55], v[18:19]
	s_waitcnt lgkmcnt(0)
	v_mul_f64 v[18:19], v[48:49], v[16:17]
	v_add_f64 v[56:57], v[20:21], v[56:57]
	v_fma_f64 v[22:23], v[46:47], v[14:15], -v[18:19]
	ds_read_b128 v[18:21], v33 offset:2080
	v_mul_f64 v[24:25], v[46:47], v[16:17]
	v_add_f64 v[40:41], v[40:41], v[58:59]
	v_fmac_f64_e32 v[24:25], v[48:49], v[14:15]
	v_add_f64 v[40:41], v[40:41], v[22:23]
	v_add_f64 v[38:39], v[24:25], v[38:39]
	ds_read_b128 v[22:25], v33 offset:2096
	s_waitcnt lgkmcnt(1)
	v_mul_f64 v[46:47], v[20:21], v[2:3]
	v_mul_f64 v[2:3], v[18:19], v[2:3]
	v_fma_f64 v[46:47], v[18:19], v[0:1], -v[46:47]
	v_fmac_f64_e32 v[2:3], v[20:21], v[0:1]
	v_mul_f64 v[0:1], v[20:21], v[16:17]
	v_mul_f64 v[16:17], v[18:19], v[16:17]
	v_fmac_f64_e32 v[16:17], v[20:21], v[14:15]
	v_add_f64 v[42:43], v[42:43], v[46:47]
	v_add_f64 v[44:45], v[2:3], v[44:45]
	v_fma_f64 v[46:47], v[18:19], v[14:15], -v[0:1]
	ds_read_b128 v[0:3], v32 offset:1536
	v_add_f64 v[20:21], v[16:17], v[26:27]
	ds_read_b128 v[14:17], v32 offset:1792
	v_add_f64 v[18:19], v[28:29], v[46:47]
	s_add_u32 s2, s2, 8
	s_waitcnt lgkmcnt(1)
	v_mul_f64 v[26:27], v[52:53], v[2:3]
	v_mul_f64 v[28:29], v[50:51], v[2:3]
	s_waitcnt lgkmcnt(0)
	v_mul_f64 v[46:47], v[52:53], v[16:17]
	v_fma_f64 v[46:47], v[50:51], v[14:15], -v[46:47]
	v_add_f64 v[40:41], v[40:41], v[46:47]
	v_mul_f64 v[46:47], v[24:25], v[2:3]
	v_mul_f64 v[2:3], v[22:23], v[2:3]
	v_fma_f64 v[26:27], v[50:51], v[0:1], -v[26:27]
	v_fmac_f64_e32 v[28:29], v[52:53], v[0:1]
	v_fma_f64 v[46:47], v[22:23], v[0:1], -v[46:47]
	v_fmac_f64_e32 v[2:3], v[24:25], v[0:1]
	v_mul_f64 v[0:1], v[24:25], v[16:17]
	v_mul_f64 v[48:49], v[50:51], v[16:17]
	v_add_f64 v[42:43], v[42:43], v[46:47]
	v_fma_f64 v[46:47], v[22:23], v[14:15], -v[0:1]
	v_mul_f64 v[22:23], v[22:23], v[16:17]
	v_fmac_f64_e32 v[48:49], v[52:53], v[14:15]
	v_add_f64 v[44:45], v[2:3], v[44:45]
	v_fmac_f64_e32 v[22:23], v[24:25], v[14:15]
	ds_read_b128 v[0:3], v33 offset:64
	ds_read_b128 v[14:17], v32 offset:2048
	v_add_f64 v[38:39], v[48:49], v[38:39]
	v_add_f64 v[46:47], v[18:19], v[46:47]
	;; [unrolled: 1-line block ×3, first 2 shown]
	ds_read_b128 v[18:21], v32 offset:2304
	ds_read_b128 v[22:25], v33 offset:80
	s_waitcnt lgkmcnt(2)
	v_mul_f64 v[50:51], v[2:3], v[16:17]
	v_add_f64 v[26:27], v[54:55], v[26:27]
	v_fma_f64 v[50:51], v[0:1], v[14:15], -v[50:51]
	v_mul_f64 v[52:53], v[0:1], v[16:17]
	v_add_f64 v[28:29], v[28:29], v[56:57]
	v_fmac_f64_e32 v[52:53], v[2:3], v[14:15]
	v_add_f64 v[50:51], v[26:27], v[50:51]
	s_waitcnt lgkmcnt(1)
	v_mul_f64 v[26:27], v[2:3], v[20:21]
	v_add_f64 v[52:53], v[52:53], v[28:29]
	v_fma_f64 v[54:55], v[0:1], v[18:19], -v[26:27]
	ds_read_b128 v[26:29], v33 offset:2112
	v_mul_f64 v[0:1], v[0:1], v[20:21]
	v_fmac_f64_e32 v[0:1], v[2:3], v[18:19]
	v_add_f64 v[40:41], v[40:41], v[54:55]
	v_add_f64 v[38:39], v[0:1], v[38:39]
	ds_read_b128 v[0:3], v33 offset:2128
	s_waitcnt lgkmcnt(1)
	v_mul_f64 v[54:55], v[28:29], v[16:17]
	v_mul_f64 v[16:17], v[26:27], v[16:17]
	v_fma_f64 v[54:55], v[26:27], v[14:15], -v[54:55]
	v_fmac_f64_e32 v[16:17], v[28:29], v[14:15]
	v_mul_f64 v[14:15], v[28:29], v[20:21]
	v_add_f64 v[42:43], v[42:43], v[54:55]
	v_add_f64 v[44:45], v[16:17], v[44:45]
	v_fma_f64 v[54:55], v[26:27], v[18:19], -v[14:15]
	v_mul_f64 v[20:21], v[26:27], v[20:21]
	ds_read_b128 v[14:17], v32 offset:2560
	v_fmac_f64_e32 v[20:21], v[28:29], v[18:19]
	v_add_f64 v[28:29], v[20:21], v[48:49]
	ds_read_b128 v[18:21], v32 offset:2816
	v_add_f64 v[26:27], v[46:47], v[54:55]
	s_waitcnt lgkmcnt(1)
	v_mul_f64 v[46:47], v[24:25], v[16:17]
	v_fma_f64 v[46:47], v[22:23], v[14:15], -v[46:47]
	v_add_f64 v[46:47], v[50:51], v[46:47]
	s_waitcnt lgkmcnt(0)
	v_mul_f64 v[50:51], v[24:25], v[20:21]
	v_mul_f64 v[48:49], v[22:23], v[16:17]
	v_fma_f64 v[50:51], v[22:23], v[18:19], -v[50:51]
	v_mul_f64 v[22:23], v[22:23], v[20:21]
	v_fmac_f64_e32 v[22:23], v[24:25], v[18:19]
	v_add_f64 v[38:39], v[22:23], v[38:39]
	v_mul_f64 v[22:23], v[2:3], v[16:17]
	v_mul_f64 v[16:17], v[0:1], v[16:17]
	v_fmac_f64_e32 v[48:49], v[24:25], v[14:15]
	v_fma_f64 v[22:23], v[0:1], v[14:15], -v[22:23]
	v_fmac_f64_e32 v[16:17], v[2:3], v[14:15]
	v_mul_f64 v[14:15], v[2:3], v[20:21]
	v_mul_f64 v[20:21], v[0:1], v[20:21]
	v_add_f64 v[42:43], v[42:43], v[22:23]
	v_add_f64 v[44:45], v[16:17], v[44:45]
	v_fma_f64 v[22:23], v[0:1], v[18:19], -v[14:15]
	v_fmac_f64_e32 v[20:21], v[2:3], v[18:19]
	ds_read_b128 v[0:3], v33 offset:96
	ds_read_b128 v[14:17], v32 offset:3072
	v_add_f64 v[48:49], v[48:49], v[52:53]
	v_add_f64 v[40:41], v[40:41], v[50:51]
	;; [unrolled: 1-line block ×4, first 2 shown]
	ds_read_b128 v[18:21], v32 offset:3328
	ds_read_b128 v[22:25], v33 offset:112
	s_waitcnt lgkmcnt(2)
	v_mul_f64 v[26:27], v[2:3], v[16:17]
	v_fma_f64 v[26:27], v[0:1], v[14:15], -v[26:27]
	v_mul_f64 v[28:29], v[0:1], v[16:17]
	v_fmac_f64_e32 v[28:29], v[2:3], v[14:15]
	v_add_f64 v[46:47], v[46:47], v[26:27]
	s_waitcnt lgkmcnt(1)
	v_mul_f64 v[26:27], v[2:3], v[20:21]
	v_add_f64 v[48:49], v[28:29], v[48:49]
	v_fma_f64 v[54:55], v[0:1], v[18:19], -v[26:27]
	ds_read_b128 v[26:29], v33 offset:2144
	v_mul_f64 v[0:1], v[0:1], v[20:21]
	v_fmac_f64_e32 v[0:1], v[2:3], v[18:19]
	v_add_f64 v[56:57], v[0:1], v[38:39]
	ds_read_b128 v[0:3], v33 offset:2160
	s_waitcnt lgkmcnt(1)
	v_mul_f64 v[38:39], v[28:29], v[16:17]
	v_mul_f64 v[16:17], v[26:27], v[16:17]
	v_fma_f64 v[38:39], v[26:27], v[14:15], -v[38:39]
	v_fmac_f64_e32 v[16:17], v[28:29], v[14:15]
	v_mul_f64 v[14:15], v[28:29], v[20:21]
	v_add_f64 v[42:43], v[42:43], v[38:39]
	v_add_f64 v[44:45], v[16:17], v[44:45]
	v_fma_f64 v[38:39], v[26:27], v[18:19], -v[14:15]
	ds_read_b128 v[14:17], v32 offset:3584
	v_add_f64 v[54:55], v[40:41], v[54:55]
	v_add_f64 v[50:51], v[50:51], v[38:39]
	ds_read_b128 v[38:41], v32 offset:3840
	v_mul_f64 v[20:21], v[26:27], v[20:21]
	v_fmac_f64_e32 v[20:21], v[28:29], v[18:19]
	s_waitcnt lgkmcnt(1)
	v_mul_f64 v[18:19], v[24:25], v[16:17]
	v_fma_f64 v[18:19], v[22:23], v[14:15], -v[18:19]
	v_add_f64 v[52:53], v[20:21], v[52:53]
	v_mul_f64 v[20:21], v[22:23], v[16:17]
	v_add_f64 v[26:27], v[46:47], v[18:19]
	s_waitcnt lgkmcnt(0)
	v_mul_f64 v[18:19], v[24:25], v[40:41]
	v_fmac_f64_e32 v[20:21], v[24:25], v[14:15]
	v_fma_f64 v[18:19], v[22:23], v[38:39], -v[18:19]
	v_add_f64 v[28:29], v[20:21], v[48:49]
	v_mul_f64 v[20:21], v[22:23], v[40:41]
	v_add_f64 v[22:23], v[54:55], v[18:19]
	v_mul_f64 v[18:19], v[2:3], v[16:17]
	v_mul_f64 v[16:17], v[0:1], v[16:17]
	v_fma_f64 v[18:19], v[0:1], v[14:15], -v[18:19]
	v_fmac_f64_e32 v[16:17], v[2:3], v[14:15]
	v_mul_f64 v[14:15], v[2:3], v[40:41]
	v_fma_f64 v[14:15], v[0:1], v[38:39], -v[14:15]
	v_mul_f64 v[0:1], v[0:1], v[40:41]
	v_fmac_f64_e32 v[20:21], v[24:25], v[38:39]
	v_fmac_f64_e32 v[0:1], v[2:3], v[38:39]
	s_addc_u32 s3, s3, 0
	v_add_f64 v[24:25], v[20:21], v[56:57]
	v_add_f64 v[20:21], v[16:17], v[44:45]
	;; [unrolled: 1-line block ×4, first 2 shown]
	v_mov_b64_e32 v[0:1], s[2:3]
	v_cmp_gt_i64_e32 vcc, s[8:9], v[0:1]
	v_add_f64 v[18:19], v[42:43], v[18:19]
	s_barrier
	s_cbranch_vccz .LBB258_16
.LBB258_8:                              ; =>This Inner Loop Header: Depth=1
	v_mov_b64_e32 v[0:1], 0
	v_mov_b64_e32 v[2:3], 0
	s_and_saveexec_b64 s[12:13], s[0:1]
	s_cbranch_execz .LBB258_12
; %bb.9:                                ;   in Loop: Header=BB258_8 Depth=1
	v_add_u32_e32 v12, s2, v6
	v_cmp_gt_u64_e32 vcc, s[8:9], v[12:13]
	v_mov_b64_e32 v[2:3], 0
	v_mov_b64_e32 v[0:1], 0
	s_and_saveexec_b64 s[14:15], vcc
	s_cbranch_execz .LBB258_11
; %bb.10:                               ;   in Loop: Header=BB258_8 Depth=1
	v_lshl_add_u64 v[0:1], v[12:13], 4, v[8:9]
	global_load_dwordx4 v[0:3], v[0:1], off
	s_waitcnt vmcnt(0)
	v_xor_b32_e32 v3, 0x80000000, v3
.LBB258_11:                             ;   in Loop: Header=BB258_8 Depth=1
	s_or_b64 exec, exec, s[14:15]
.LBB258_12:                             ;   in Loop: Header=BB258_8 Depth=1
	s_or_b64 exec, exec, s[12:13]
	v_add_u32_e32 v12, s2, v4
	v_cmp_le_u64_e32 vcc, s[8:9], v[12:13]
	s_or_b64 s[12:13], vcc, s[10:11]
	ds_write_b128 v30, v[0:3]
	s_and_saveexec_b64 s[14:15], s[12:13]
	s_xor_b64 s[12:13], exec, s[14:15]
; %bb.13:                               ;   in Loop: Header=BB258_8 Depth=1
	ds_write_b128 v31, v[34:37]
; %bb.14:                               ;   in Loop: Header=BB258_8 Depth=1
	s_andn2_saveexec_b64 s[12:13], s[12:13]
	s_cbranch_execz .LBB258_7
; %bb.15:                               ;   in Loop: Header=BB258_8 Depth=1
	v_lshl_add_u64 v[0:1], v[12:13], 4, v[10:11]
	global_load_dwordx4 v[0:3], v[0:1], off
	s_waitcnt vmcnt(0)
	ds_write2_b64 v31, v[0:1], v[2:3] offset1:1
	s_branch .LBB258_7
.LBB258_16:
	s_mul_i32 s0, s31, s4
	s_mul_hi_u32 s1, s30, s4
	s_add_i32 s1, s1, s0
	s_mul_i32 s0, s30, s4
	s_lshl_b64 s[0:1], s[0:1], 4
	v_add_u32_e32 v10, s33, v7
	s_add_u32 s4, s26, s0
	v_ashrrev_i32_e32 v0, 31, v10
	s_addc_u32 s5, s27, s1
	v_cmp_neq_f64_e64 s[0:1], s[36:37], 0
	s_xor_b64 s[6:7], s[6:7], -1
	v_mul_lo_u32 v2, s28, v0
	v_mul_lo_u32 v3, s29, v10
	v_mad_u64_u32 v[0:1], s[8:9], s28, v10, 0
	v_add_u32_e32 v4, s25, v5
	v_add3_u32 v1, v1, v2, v3
	s_or_b64 s[0:1], s[0:1], s[6:7]
	s_waitcnt lgkmcnt(0)
	v_cmp_gt_i32_e64 s[2:3], s24, v10
	v_lshl_add_u64 v[8:9], v[0:1], 4, s[4:5]
	v_cmp_le_i32_e32 vcc, v4, v10
	v_cndmask_b32_e64 v0, 0, 1, s[0:1]
	s_and_b64 s[8:9], s[2:3], vcc
	v_ashrrev_i32_e32 v5, 31, v4
	v_cmp_ne_u32_e64 s[0:1], 1, v0
	s_and_saveexec_b64 s[6:7], s[8:9]
	s_cbranch_execz .LBB258_20
; %bb.17:
	v_mul_f64 v[0:1], s[42:43], v[28:29]
	v_mul_f64 v[2:3], s[40:41], v[28:29]
	v_fma_f64 v[0:1], s[40:41], v[26:27], -v[0:1]
	v_fmac_f64_e32 v[2:3], s[42:43], v[26:27]
	s_and_b64 vcc, exec, s[0:1]
	v_lshl_add_u64 v[6:7], v[4:5], 4, v[8:9]
	s_cbranch_vccnz .LBB258_19
; %bb.18:
	global_load_dwordx4 v[26:29], v[6:7], off
	s_waitcnt vmcnt(0)
	v_mul_f64 v[12:13], s[38:39], v[28:29]
	v_mul_f64 v[28:29], s[36:37], v[28:29]
	v_fma_f64 v[12:13], s[36:37], v[26:27], -v[12:13]
	v_fmac_f64_e32 v[28:29], s[38:39], v[26:27]
	v_add_f64 v[0:1], v[0:1], v[12:13]
	v_add_f64 v[2:3], v[2:3], v[28:29]
.LBB258_19:
	global_store_dwordx4 v[6:7], v[0:3], off
.LBB258_20:
	s_or_b64 exec, exec, s[6:7]
	v_add_u32_e32 v6, 16, v4
	v_cmp_le_i32_e32 vcc, v6, v10
	s_and_b64 s[6:7], s[2:3], vcc
	v_ashrrev_i32_e32 v7, 31, v6
	s_and_saveexec_b64 s[2:3], s[6:7]
	s_cbranch_execz .LBB258_24
; %bb.21:
	v_mul_f64 v[0:1], s[42:43], v[24:25]
	v_mul_f64 v[2:3], s[40:41], v[24:25]
	v_fma_f64 v[0:1], s[40:41], v[22:23], -v[0:1]
	v_fmac_f64_e32 v[2:3], s[42:43], v[22:23]
	s_and_b64 vcc, exec, s[0:1]
	v_lshl_add_u64 v[8:9], v[6:7], 4, v[8:9]
	s_cbranch_vccnz .LBB258_23
; %bb.22:
	global_load_dwordx4 v[22:25], v[8:9], off
	s_waitcnt vmcnt(0)
	v_mul_f64 v[12:13], s[38:39], v[24:25]
	v_mul_f64 v[24:25], s[36:37], v[24:25]
	v_fma_f64 v[12:13], s[36:37], v[22:23], -v[12:13]
	v_fmac_f64_e32 v[24:25], s[38:39], v[22:23]
	v_add_f64 v[0:1], v[0:1], v[12:13]
	v_add_f64 v[2:3], v[2:3], v[24:25]
.LBB258_23:
	global_store_dwordx4 v[8:9], v[0:3], off
.LBB258_24:
	s_or_b64 exec, exec, s[2:3]
	v_add_u32_e32 v10, 16, v10
	v_ashrrev_i32_e32 v0, 31, v10
	v_mul_lo_u32 v2, s28, v0
	v_mul_lo_u32 v3, s29, v10
	v_mad_u64_u32 v[0:1], s[6:7], s28, v10, 0
	v_cmp_gt_i32_e64 s[2:3], s24, v10
	v_add3_u32 v1, v1, v2, v3
	v_cmp_le_i32_e32 vcc, v4, v10
	v_lshl_add_u64 v[8:9], v[0:1], 4, s[4:5]
	s_and_b64 s[6:7], s[2:3], vcc
	s_and_saveexec_b64 s[4:5], s[6:7]
	s_cbranch_execz .LBB258_28
; %bb.25:
	v_mul_f64 v[0:1], s[42:43], v[20:21]
	v_mul_f64 v[2:3], s[40:41], v[20:21]
	v_fma_f64 v[0:1], s[40:41], v[18:19], -v[0:1]
	v_fmac_f64_e32 v[2:3], s[42:43], v[18:19]
	s_and_b64 vcc, exec, s[0:1]
	v_lshl_add_u64 v[4:5], v[4:5], 4, v[8:9]
	s_cbranch_vccnz .LBB258_27
; %bb.26:
	global_load_dwordx4 v[18:21], v[4:5], off
	s_waitcnt vmcnt(0)
	v_mul_f64 v[12:13], s[38:39], v[20:21]
	v_mul_f64 v[20:21], s[36:37], v[20:21]
	v_fma_f64 v[12:13], s[36:37], v[18:19], -v[12:13]
	v_fmac_f64_e32 v[20:21], s[38:39], v[18:19]
	v_add_f64 v[0:1], v[0:1], v[12:13]
	v_add_f64 v[2:3], v[2:3], v[20:21]
.LBB258_27:
	global_store_dwordx4 v[4:5], v[0:3], off
.LBB258_28:
	s_or_b64 exec, exec, s[4:5]
	v_cmp_le_i32_e32 vcc, v6, v10
	s_and_b64 s[2:3], s[2:3], vcc
	s_and_saveexec_b64 s[4:5], s[2:3]
	s_cbranch_execz .LBB258_32
; %bb.29:
	v_mul_f64 v[0:1], s[42:43], v[14:15]
	v_mul_f64 v[2:3], s[40:41], v[14:15]
	v_fma_f64 v[0:1], s[40:41], v[16:17], -v[0:1]
	v_fmac_f64_e32 v[2:3], s[42:43], v[16:17]
	s_and_b64 vcc, exec, s[0:1]
	v_lshl_add_u64 v[4:5], v[6:7], 4, v[8:9]
	s_cbranch_vccnz .LBB258_31
; %bb.30:
	global_load_dwordx4 v[6:9], v[4:5], off
	s_waitcnt vmcnt(0)
	v_mul_f64 v[10:11], s[38:39], v[8:9]
	v_mul_f64 v[8:9], s[36:37], v[8:9]
	v_fma_f64 v[10:11], s[36:37], v[6:7], -v[10:11]
	v_fmac_f64_e32 v[8:9], s[38:39], v[6:7]
	v_add_f64 v[0:1], v[0:1], v[10:11]
	v_add_f64 v[2:3], v[2:3], v[8:9]
.LBB258_31:
	global_store_dwordx4 v[4:5], v[0:3], off
.LBB258_32:
	s_endpgm
	.section	.rodata,"a",@progbits
	.p2align	6, 0x0
	.amdhsa_kernel _ZL29rocblas_internal_gemmt_kernelIlLi16ELi32ELi8ELc67ELc78ELc85ELb1ELb0E19rocblas_complex_numIdEPKS1_S3_PS1_EviT_T9_T10_S5_lS7_S5_lS6_T11_S5_li
		.amdhsa_group_segment_fixed_size 8192
		.amdhsa_private_segment_fixed_size 0
		.amdhsa_kernarg_size 108
		.amdhsa_user_sgpr_count 2
		.amdhsa_user_sgpr_dispatch_ptr 0
		.amdhsa_user_sgpr_queue_ptr 0
		.amdhsa_user_sgpr_kernarg_segment_ptr 1
		.amdhsa_user_sgpr_dispatch_id 0
		.amdhsa_user_sgpr_kernarg_preload_length 0
		.amdhsa_user_sgpr_kernarg_preload_offset 0
		.amdhsa_user_sgpr_private_segment_size 0
		.amdhsa_uses_dynamic_stack 0
		.amdhsa_enable_private_segment 0
		.amdhsa_system_sgpr_workgroup_id_x 1
		.amdhsa_system_sgpr_workgroup_id_y 1
		.amdhsa_system_sgpr_workgroup_id_z 1
		.amdhsa_system_sgpr_workgroup_info 0
		.amdhsa_system_vgpr_workitem_id 1
		.amdhsa_next_free_vgpr 64
		.amdhsa_next_free_sgpr 44
		.amdhsa_accum_offset 64
		.amdhsa_reserve_vcc 1
		.amdhsa_float_round_mode_32 0
		.amdhsa_float_round_mode_16_64 0
		.amdhsa_float_denorm_mode_32 3
		.amdhsa_float_denorm_mode_16_64 3
		.amdhsa_dx10_clamp 1
		.amdhsa_ieee_mode 1
		.amdhsa_fp16_overflow 0
		.amdhsa_tg_split 0
		.amdhsa_exception_fp_ieee_invalid_op 0
		.amdhsa_exception_fp_denorm_src 0
		.amdhsa_exception_fp_ieee_div_zero 0
		.amdhsa_exception_fp_ieee_overflow 0
		.amdhsa_exception_fp_ieee_underflow 0
		.amdhsa_exception_fp_ieee_inexact 0
		.amdhsa_exception_int_div_zero 0
	.end_amdhsa_kernel
	.section	.text._ZL29rocblas_internal_gemmt_kernelIlLi16ELi32ELi8ELc67ELc78ELc85ELb1ELb0E19rocblas_complex_numIdEPKS1_S3_PS1_EviT_T9_T10_S5_lS7_S5_lS6_T11_S5_li,"axG",@progbits,_ZL29rocblas_internal_gemmt_kernelIlLi16ELi32ELi8ELc67ELc78ELc85ELb1ELb0E19rocblas_complex_numIdEPKS1_S3_PS1_EviT_T9_T10_S5_lS7_S5_lS6_T11_S5_li,comdat
.Lfunc_end258:
	.size	_ZL29rocblas_internal_gemmt_kernelIlLi16ELi32ELi8ELc67ELc78ELc85ELb1ELb0E19rocblas_complex_numIdEPKS1_S3_PS1_EviT_T9_T10_S5_lS7_S5_lS6_T11_S5_li, .Lfunc_end258-_ZL29rocblas_internal_gemmt_kernelIlLi16ELi32ELi8ELc67ELc78ELc85ELb1ELb0E19rocblas_complex_numIdEPKS1_S3_PS1_EviT_T9_T10_S5_lS7_S5_lS6_T11_S5_li
                                        ; -- End function
	.set _ZL29rocblas_internal_gemmt_kernelIlLi16ELi32ELi8ELc67ELc78ELc85ELb1ELb0E19rocblas_complex_numIdEPKS1_S3_PS1_EviT_T9_T10_S5_lS7_S5_lS6_T11_S5_li.num_vgpr, 64
	.set _ZL29rocblas_internal_gemmt_kernelIlLi16ELi32ELi8ELc67ELc78ELc85ELb1ELb0E19rocblas_complex_numIdEPKS1_S3_PS1_EviT_T9_T10_S5_lS7_S5_lS6_T11_S5_li.num_agpr, 0
	.set _ZL29rocblas_internal_gemmt_kernelIlLi16ELi32ELi8ELc67ELc78ELc85ELb1ELb0E19rocblas_complex_numIdEPKS1_S3_PS1_EviT_T9_T10_S5_lS7_S5_lS6_T11_S5_li.numbered_sgpr, 44
	.set _ZL29rocblas_internal_gemmt_kernelIlLi16ELi32ELi8ELc67ELc78ELc85ELb1ELb0E19rocblas_complex_numIdEPKS1_S3_PS1_EviT_T9_T10_S5_lS7_S5_lS6_T11_S5_li.num_named_barrier, 0
	.set _ZL29rocblas_internal_gemmt_kernelIlLi16ELi32ELi8ELc67ELc78ELc85ELb1ELb0E19rocblas_complex_numIdEPKS1_S3_PS1_EviT_T9_T10_S5_lS7_S5_lS6_T11_S5_li.private_seg_size, 0
	.set _ZL29rocblas_internal_gemmt_kernelIlLi16ELi32ELi8ELc67ELc78ELc85ELb1ELb0E19rocblas_complex_numIdEPKS1_S3_PS1_EviT_T9_T10_S5_lS7_S5_lS6_T11_S5_li.uses_vcc, 1
	.set _ZL29rocblas_internal_gemmt_kernelIlLi16ELi32ELi8ELc67ELc78ELc85ELb1ELb0E19rocblas_complex_numIdEPKS1_S3_PS1_EviT_T9_T10_S5_lS7_S5_lS6_T11_S5_li.uses_flat_scratch, 0
	.set _ZL29rocblas_internal_gemmt_kernelIlLi16ELi32ELi8ELc67ELc78ELc85ELb1ELb0E19rocblas_complex_numIdEPKS1_S3_PS1_EviT_T9_T10_S5_lS7_S5_lS6_T11_S5_li.has_dyn_sized_stack, 0
	.set _ZL29rocblas_internal_gemmt_kernelIlLi16ELi32ELi8ELc67ELc78ELc85ELb1ELb0E19rocblas_complex_numIdEPKS1_S3_PS1_EviT_T9_T10_S5_lS7_S5_lS6_T11_S5_li.has_recursion, 0
	.set _ZL29rocblas_internal_gemmt_kernelIlLi16ELi32ELi8ELc67ELc78ELc85ELb1ELb0E19rocblas_complex_numIdEPKS1_S3_PS1_EviT_T9_T10_S5_lS7_S5_lS6_T11_S5_li.has_indirect_call, 0
	.section	.AMDGPU.csdata,"",@progbits
; Kernel info:
; codeLenInByte = 3160
; TotalNumSgprs: 50
; NumVgprs: 64
; NumAgprs: 0
; TotalNumVgprs: 64
; ScratchSize: 0
; MemoryBound: 1
; FloatMode: 240
; IeeeMode: 1
; LDSByteSize: 8192 bytes/workgroup (compile time only)
; SGPRBlocks: 6
; VGPRBlocks: 7
; NumSGPRsForWavesPerEU: 50
; NumVGPRsForWavesPerEU: 64
; AccumOffset: 64
; Occupancy: 8
; WaveLimiterHint : 0
; COMPUTE_PGM_RSRC2:SCRATCH_EN: 0
; COMPUTE_PGM_RSRC2:USER_SGPR: 2
; COMPUTE_PGM_RSRC2:TRAP_HANDLER: 0
; COMPUTE_PGM_RSRC2:TGID_X_EN: 1
; COMPUTE_PGM_RSRC2:TGID_Y_EN: 1
; COMPUTE_PGM_RSRC2:TGID_Z_EN: 1
; COMPUTE_PGM_RSRC2:TIDIG_COMP_CNT: 1
; COMPUTE_PGM_RSRC3_GFX90A:ACCUM_OFFSET: 15
; COMPUTE_PGM_RSRC3_GFX90A:TG_SPLIT: 0
	.section	.text._ZL29rocblas_internal_gemmt_kernelIlLi16ELi32ELi8ELc67ELc84ELc85ELb1ELb0E19rocblas_complex_numIdEPKS1_S3_PS1_EviT_T9_T10_S5_lS7_S5_lS6_T11_S5_li,"axG",@progbits,_ZL29rocblas_internal_gemmt_kernelIlLi16ELi32ELi8ELc67ELc84ELc85ELb1ELb0E19rocblas_complex_numIdEPKS1_S3_PS1_EviT_T9_T10_S5_lS7_S5_lS6_T11_S5_li,comdat
	.globl	_ZL29rocblas_internal_gemmt_kernelIlLi16ELi32ELi8ELc67ELc84ELc85ELb1ELb0E19rocblas_complex_numIdEPKS1_S3_PS1_EviT_T9_T10_S5_lS7_S5_lS6_T11_S5_li ; -- Begin function _ZL29rocblas_internal_gemmt_kernelIlLi16ELi32ELi8ELc67ELc84ELc85ELb1ELb0E19rocblas_complex_numIdEPKS1_S3_PS1_EviT_T9_T10_S5_lS7_S5_lS6_T11_S5_li
	.p2align	8
	.type	_ZL29rocblas_internal_gemmt_kernelIlLi16ELi32ELi8ELc67ELc84ELc85ELb1ELb0E19rocblas_complex_numIdEPKS1_S3_PS1_EviT_T9_T10_S5_lS7_S5_lS6_T11_S5_li,@function
_ZL29rocblas_internal_gemmt_kernelIlLi16ELi32ELi8ELc67ELc84ELc85ELb1ELb0E19rocblas_complex_numIdEPKS1_S3_PS1_EviT_T9_T10_S5_lS7_S5_lS6_T11_S5_li: ; @_ZL29rocblas_internal_gemmt_kernelIlLi16ELi32ELi8ELc67ELc84ELc85ELb1ELb0E19rocblas_complex_numIdEPKS1_S3_PS1_EviT_T9_T10_S5_lS7_S5_lS6_T11_S5_li
; %bb.0:
	s_load_dwordx8 s[24:31], s[0:1], 0x48
	s_load_dwordx16 s[8:23], s[0:1], 0x8
	s_waitcnt lgkmcnt(0)
	s_load_dwordx4 s[36:39], s[24:25], 0x0
	s_load_dwordx4 s[40:43], s[10:11], 0x0
	s_mov_b64 s[24:25], 0
	s_waitcnt lgkmcnt(0)
	v_cmp_eq_f64_e64 s[10:11], s[36:37], 1.0
	v_cmp_eq_f64_e64 s[6:7], s[38:39], 0
	s_and_b64 s[10:11], s[10:11], s[6:7]
	s_andn2_b64 vcc, exec, s[10:11]
	s_mov_b64 s[10:11], -1
	s_cbranch_vccnz .LBB259_4
; %bb.1:
	s_cmp_lg_u64 s[8:9], 0
	s_cbranch_scc0 .LBB259_3
; %bb.2:
	v_cmp_neq_f64_e64 s[10:11], s[40:41], 0
	v_cmp_neq_f64_e64 s[24:25], s[42:43], 0
	s_or_b64 s[24:25], s[10:11], s[24:25]
.LBB259_3:
	s_mov_b64 s[10:11], s[24:25]
.LBB259_4:
	s_and_b64 vcc, exec, s[10:11]
	s_cbranch_vccz .LBB259_32
; %bb.5:
	s_load_dword s24, s[0:1], 0x0
	s_lshl_b32 s25, s2, 5
	s_lshl_b32 s33, s3, 5
	v_cmp_eq_f64_e64 s[0:1], s[40:41], 0
	v_cmp_eq_f64_e64 s[2:3], s[42:43], 0
	s_and_b64 s[0:1], s[0:1], s[2:3]
	v_cmp_lt_i64_e64 s[2:3], s[8:9], 1
	s_or_b64 s[0:1], s[0:1], s[2:3]
	v_and_b32_e32 v5, 0x3ff, v0
	v_bfe_u32 v7, v0, 10, 10
	v_mov_b64_e32 v[26:27], 0
	s_and_b64 vcc, exec, s[0:1]
	v_mov_b64_e32 v[28:29], 0
	v_mov_b64_e32 v[22:23], 0
	;; [unrolled: 1-line block ×7, first 2 shown]
	s_cbranch_vccnz .LBB259_16
; %bb.6:
	s_mul_i32 s0, s23, s4
	s_mul_hi_u32 s1, s22, s4
	s_add_i32 s1, s1, s0
	s_mul_i32 s0, s22, s4
	s_lshl_b64 s[0:1], s[0:1], 4
	s_add_u32 s2, s18, s0
	s_addc_u32 s3, s19, s1
	s_mul_i32 s0, s17, s4
	s_mul_hi_u32 s1, s16, s4
	s_add_i32 s1, s1, s0
	s_mul_i32 s0, s16, s4
	v_lshl_add_u32 v1, v7, 4, v5
	s_lshl_b64 s[0:1], s[0:1], 4
	v_lshrrev_b32_e32 v6, 5, v1
	v_lshrrev_b32_e32 v10, 3, v1
	v_and_b32_e32 v1, 31, v1
	s_add_u32 s10, s12, s0
	v_or_b32_e32 v2, s25, v1
	s_addc_u32 s11, s13, s1
	v_lshlrev_b32_e32 v1, 4, v1
	s_ashr_i32 s5, s25, 31
	v_and_b32_e32 v4, 7, v5
	s_waitcnt lgkmcnt(0)
	v_cmp_gt_i32_e64 s[0:1], s24, v2
	v_lshl_or_b32 v30, v6, 9, v1
	v_mul_lo_u32 v1, s15, v2
	v_mad_u64_u32 v[2:3], s[12:13], s14, v2, 0
	s_mul_i32 s5, s14, s5
	v_add3_u32 v3, v3, s5, v1
	v_lshlrev_b32_e32 v1, 4, v4
	v_add_u32_e32 v0, s33, v10
	v_lshl_or_b32 v1, v10, 7, v1
	v_add_u32_e32 v31, 0x1000, v1
	v_ashrrev_i32_e32 v1, 31, v0
	v_cmp_gt_i32_e32 vcc, s24, v0
	v_lshl_add_u64 v[10:11], v[0:1], 4, s[2:3]
	v_mov_b32_e32 v0, 0x1000
	v_mov_b32_e32 v13, 0
	v_lshl_add_u64 v[8:9], v[2:3], 4, s[10:11]
	v_lshlrev_b32_e32 v32, 4, v5
	v_lshl_add_u32 v33, v7, 7, v0
	v_mov_b64_e32 v[14:15], 0
	s_mov_b64 s[2:3], 0
	s_xor_b64 s[10:11], vcc, -1
	v_mov_b32_e32 v34, v13
	v_mov_b32_e32 v35, v13
	;; [unrolled: 1-line block ×4, first 2 shown]
	v_mov_b64_e32 v[16:17], 0
	v_mov_b64_e32 v[20:21], 0
	;; [unrolled: 1-line block ×7, first 2 shown]
	s_branch .LBB259_8
.LBB259_7:                              ;   in Loop: Header=BB259_8 Depth=1
	s_or_b64 exec, exec, s[12:13]
	s_waitcnt lgkmcnt(0)
	s_barrier
	ds_read_b128 v[0:3], v32
	ds_read_b128 v[38:41], v33
	ds_read_b128 v[42:45], v33 offset:16
	ds_read_b128 v[46:49], v33 offset:32
	;; [unrolled: 1-line block ×4, first 2 shown]
	s_waitcnt lgkmcnt(4)
	v_mul_f64 v[58:59], v[40:41], v[2:3]
	v_fma_f64 v[58:59], v[38:39], v[0:1], -v[58:59]
	v_mul_f64 v[60:61], v[38:39], v[2:3]
	v_fmac_f64_e32 v[60:61], v[40:41], v[0:1]
	v_add_f64 v[58:59], v[26:27], v[58:59]
	s_waitcnt lgkmcnt(0)
	v_mul_f64 v[26:27], v[40:41], v[56:57]
	v_add_f64 v[60:61], v[60:61], v[28:29]
	v_fma_f64 v[62:63], v[38:39], v[54:55], -v[26:27]
	ds_read_b128 v[26:29], v33 offset:2048
	v_mul_f64 v[38:39], v[38:39], v[56:57]
	v_fmac_f64_e32 v[38:39], v[40:41], v[54:55]
	v_add_f64 v[40:41], v[22:23], v[62:63]
	v_add_f64 v[38:39], v[38:39], v[24:25]
	ds_read_b128 v[22:25], v33 offset:2064
	s_waitcnt lgkmcnt(1)
	v_mul_f64 v[62:63], v[28:29], v[2:3]
	v_mul_f64 v[2:3], v[26:27], v[2:3]
	v_fma_f64 v[62:63], v[26:27], v[0:1], -v[62:63]
	v_fmac_f64_e32 v[2:3], v[28:29], v[0:1]
	v_mul_f64 v[0:1], v[28:29], v[56:57]
	v_add_f64 v[18:19], v[18:19], v[62:63]
	v_add_f64 v[20:21], v[2:3], v[20:21]
	v_fma_f64 v[62:63], v[26:27], v[54:55], -v[0:1]
	v_mul_f64 v[26:27], v[26:27], v[56:57]
	ds_read_b128 v[0:3], v32 offset:512
	v_fmac_f64_e32 v[26:27], v[28:29], v[54:55]
	v_add_f64 v[28:29], v[16:17], v[62:63]
	v_add_f64 v[26:27], v[26:27], v[14:15]
	ds_read_b128 v[14:17], v32 offset:768
	s_waitcnt lgkmcnt(1)
	v_mul_f64 v[54:55], v[44:45], v[2:3]
	v_fma_f64 v[54:55], v[42:43], v[0:1], -v[54:55]
	v_add_f64 v[54:55], v[58:59], v[54:55]
	v_mul_f64 v[56:57], v[42:43], v[2:3]
	s_waitcnt lgkmcnt(0)
	v_mul_f64 v[58:59], v[44:45], v[16:17]
	v_fma_f64 v[58:59], v[42:43], v[14:15], -v[58:59]
	v_mul_f64 v[42:43], v[42:43], v[16:17]
	v_fmac_f64_e32 v[42:43], v[44:45], v[14:15]
	v_add_f64 v[38:39], v[42:43], v[38:39]
	v_mul_f64 v[42:43], v[24:25], v[2:3]
	v_mul_f64 v[2:3], v[22:23], v[2:3]
	v_fmac_f64_e32 v[56:57], v[44:45], v[0:1]
	v_fma_f64 v[42:43], v[22:23], v[0:1], -v[42:43]
	v_fmac_f64_e32 v[2:3], v[24:25], v[0:1]
	v_mul_f64 v[0:1], v[24:25], v[16:17]
	v_add_f64 v[42:43], v[18:19], v[42:43]
	v_add_f64 v[44:45], v[2:3], v[20:21]
	v_fma_f64 v[18:19], v[22:23], v[14:15], -v[0:1]
	v_mul_f64 v[16:17], v[22:23], v[16:17]
	ds_read_b128 v[0:3], v32 offset:1024
	v_fmac_f64_e32 v[16:17], v[24:25], v[14:15]
	v_add_f64 v[26:27], v[16:17], v[26:27]
	ds_read_b128 v[14:17], v32 offset:1280
	v_add_f64 v[28:29], v[28:29], v[18:19]
	s_waitcnt lgkmcnt(1)
	v_mul_f64 v[18:19], v[48:49], v[2:3]
	v_fma_f64 v[18:19], v[46:47], v[0:1], -v[18:19]
	v_mul_f64 v[20:21], v[46:47], v[2:3]
	v_add_f64 v[56:57], v[56:57], v[60:61]
	v_fmac_f64_e32 v[20:21], v[48:49], v[0:1]
	v_add_f64 v[54:55], v[54:55], v[18:19]
	s_waitcnt lgkmcnt(0)
	v_mul_f64 v[18:19], v[48:49], v[16:17]
	v_add_f64 v[56:57], v[20:21], v[56:57]
	v_fma_f64 v[22:23], v[46:47], v[14:15], -v[18:19]
	ds_read_b128 v[18:21], v33 offset:2080
	v_mul_f64 v[24:25], v[46:47], v[16:17]
	v_add_f64 v[40:41], v[40:41], v[58:59]
	v_fmac_f64_e32 v[24:25], v[48:49], v[14:15]
	v_add_f64 v[40:41], v[40:41], v[22:23]
	v_add_f64 v[38:39], v[24:25], v[38:39]
	ds_read_b128 v[22:25], v33 offset:2096
	s_waitcnt lgkmcnt(1)
	v_mul_f64 v[46:47], v[20:21], v[2:3]
	v_mul_f64 v[2:3], v[18:19], v[2:3]
	v_fma_f64 v[46:47], v[18:19], v[0:1], -v[46:47]
	v_fmac_f64_e32 v[2:3], v[20:21], v[0:1]
	v_mul_f64 v[0:1], v[20:21], v[16:17]
	v_mul_f64 v[16:17], v[18:19], v[16:17]
	v_fmac_f64_e32 v[16:17], v[20:21], v[14:15]
	v_add_f64 v[42:43], v[42:43], v[46:47]
	v_add_f64 v[44:45], v[2:3], v[44:45]
	v_fma_f64 v[46:47], v[18:19], v[14:15], -v[0:1]
	ds_read_b128 v[0:3], v32 offset:1536
	v_add_f64 v[20:21], v[16:17], v[26:27]
	ds_read_b128 v[14:17], v32 offset:1792
	v_add_f64 v[18:19], v[28:29], v[46:47]
	s_add_u32 s2, s2, 8
	s_waitcnt lgkmcnt(1)
	v_mul_f64 v[26:27], v[52:53], v[2:3]
	v_mul_f64 v[28:29], v[50:51], v[2:3]
	s_waitcnt lgkmcnt(0)
	v_mul_f64 v[46:47], v[52:53], v[16:17]
	v_fma_f64 v[46:47], v[50:51], v[14:15], -v[46:47]
	v_add_f64 v[40:41], v[40:41], v[46:47]
	v_mul_f64 v[46:47], v[24:25], v[2:3]
	v_mul_f64 v[2:3], v[22:23], v[2:3]
	v_fma_f64 v[26:27], v[50:51], v[0:1], -v[26:27]
	v_fmac_f64_e32 v[28:29], v[52:53], v[0:1]
	v_fma_f64 v[46:47], v[22:23], v[0:1], -v[46:47]
	v_fmac_f64_e32 v[2:3], v[24:25], v[0:1]
	v_mul_f64 v[0:1], v[24:25], v[16:17]
	v_mul_f64 v[48:49], v[50:51], v[16:17]
	v_add_f64 v[42:43], v[42:43], v[46:47]
	v_fma_f64 v[46:47], v[22:23], v[14:15], -v[0:1]
	v_mul_f64 v[22:23], v[22:23], v[16:17]
	v_fmac_f64_e32 v[48:49], v[52:53], v[14:15]
	v_add_f64 v[44:45], v[2:3], v[44:45]
	v_fmac_f64_e32 v[22:23], v[24:25], v[14:15]
	ds_read_b128 v[0:3], v33 offset:64
	ds_read_b128 v[14:17], v32 offset:2048
	v_add_f64 v[38:39], v[48:49], v[38:39]
	v_add_f64 v[46:47], v[18:19], v[46:47]
	;; [unrolled: 1-line block ×3, first 2 shown]
	ds_read_b128 v[18:21], v32 offset:2304
	ds_read_b128 v[22:25], v33 offset:80
	s_waitcnt lgkmcnt(2)
	v_mul_f64 v[50:51], v[2:3], v[16:17]
	v_add_f64 v[26:27], v[54:55], v[26:27]
	v_fma_f64 v[50:51], v[0:1], v[14:15], -v[50:51]
	v_mul_f64 v[52:53], v[0:1], v[16:17]
	v_add_f64 v[28:29], v[28:29], v[56:57]
	v_fmac_f64_e32 v[52:53], v[2:3], v[14:15]
	v_add_f64 v[50:51], v[26:27], v[50:51]
	s_waitcnt lgkmcnt(1)
	v_mul_f64 v[26:27], v[2:3], v[20:21]
	v_add_f64 v[52:53], v[52:53], v[28:29]
	v_fma_f64 v[54:55], v[0:1], v[18:19], -v[26:27]
	ds_read_b128 v[26:29], v33 offset:2112
	v_mul_f64 v[0:1], v[0:1], v[20:21]
	v_fmac_f64_e32 v[0:1], v[2:3], v[18:19]
	v_add_f64 v[40:41], v[40:41], v[54:55]
	v_add_f64 v[38:39], v[0:1], v[38:39]
	ds_read_b128 v[0:3], v33 offset:2128
	s_waitcnt lgkmcnt(1)
	v_mul_f64 v[54:55], v[28:29], v[16:17]
	v_mul_f64 v[16:17], v[26:27], v[16:17]
	v_fma_f64 v[54:55], v[26:27], v[14:15], -v[54:55]
	v_fmac_f64_e32 v[16:17], v[28:29], v[14:15]
	v_mul_f64 v[14:15], v[28:29], v[20:21]
	v_add_f64 v[42:43], v[42:43], v[54:55]
	v_add_f64 v[44:45], v[16:17], v[44:45]
	v_fma_f64 v[54:55], v[26:27], v[18:19], -v[14:15]
	v_mul_f64 v[20:21], v[26:27], v[20:21]
	ds_read_b128 v[14:17], v32 offset:2560
	v_fmac_f64_e32 v[20:21], v[28:29], v[18:19]
	v_add_f64 v[28:29], v[20:21], v[48:49]
	ds_read_b128 v[18:21], v32 offset:2816
	v_add_f64 v[26:27], v[46:47], v[54:55]
	s_waitcnt lgkmcnt(1)
	v_mul_f64 v[46:47], v[24:25], v[16:17]
	v_fma_f64 v[46:47], v[22:23], v[14:15], -v[46:47]
	v_add_f64 v[46:47], v[50:51], v[46:47]
	s_waitcnt lgkmcnt(0)
	v_mul_f64 v[50:51], v[24:25], v[20:21]
	v_mul_f64 v[48:49], v[22:23], v[16:17]
	v_fma_f64 v[50:51], v[22:23], v[18:19], -v[50:51]
	v_mul_f64 v[22:23], v[22:23], v[20:21]
	v_fmac_f64_e32 v[22:23], v[24:25], v[18:19]
	v_add_f64 v[38:39], v[22:23], v[38:39]
	v_mul_f64 v[22:23], v[2:3], v[16:17]
	v_mul_f64 v[16:17], v[0:1], v[16:17]
	v_fmac_f64_e32 v[48:49], v[24:25], v[14:15]
	v_fma_f64 v[22:23], v[0:1], v[14:15], -v[22:23]
	v_fmac_f64_e32 v[16:17], v[2:3], v[14:15]
	v_mul_f64 v[14:15], v[2:3], v[20:21]
	v_mul_f64 v[20:21], v[0:1], v[20:21]
	v_add_f64 v[42:43], v[42:43], v[22:23]
	v_add_f64 v[44:45], v[16:17], v[44:45]
	v_fma_f64 v[22:23], v[0:1], v[18:19], -v[14:15]
	v_fmac_f64_e32 v[20:21], v[2:3], v[18:19]
	ds_read_b128 v[0:3], v33 offset:96
	ds_read_b128 v[14:17], v32 offset:3072
	v_add_f64 v[48:49], v[48:49], v[52:53]
	v_add_f64 v[40:41], v[40:41], v[50:51]
	;; [unrolled: 1-line block ×4, first 2 shown]
	ds_read_b128 v[18:21], v32 offset:3328
	ds_read_b128 v[22:25], v33 offset:112
	s_waitcnt lgkmcnt(2)
	v_mul_f64 v[26:27], v[2:3], v[16:17]
	v_fma_f64 v[26:27], v[0:1], v[14:15], -v[26:27]
	v_mul_f64 v[28:29], v[0:1], v[16:17]
	v_fmac_f64_e32 v[28:29], v[2:3], v[14:15]
	v_add_f64 v[46:47], v[46:47], v[26:27]
	s_waitcnt lgkmcnt(1)
	v_mul_f64 v[26:27], v[2:3], v[20:21]
	v_add_f64 v[48:49], v[28:29], v[48:49]
	v_fma_f64 v[54:55], v[0:1], v[18:19], -v[26:27]
	ds_read_b128 v[26:29], v33 offset:2144
	v_mul_f64 v[0:1], v[0:1], v[20:21]
	v_fmac_f64_e32 v[0:1], v[2:3], v[18:19]
	v_add_f64 v[56:57], v[0:1], v[38:39]
	ds_read_b128 v[0:3], v33 offset:2160
	s_waitcnt lgkmcnt(1)
	v_mul_f64 v[38:39], v[28:29], v[16:17]
	v_mul_f64 v[16:17], v[26:27], v[16:17]
	v_fma_f64 v[38:39], v[26:27], v[14:15], -v[38:39]
	v_fmac_f64_e32 v[16:17], v[28:29], v[14:15]
	v_mul_f64 v[14:15], v[28:29], v[20:21]
	v_add_f64 v[42:43], v[42:43], v[38:39]
	v_add_f64 v[44:45], v[16:17], v[44:45]
	v_fma_f64 v[38:39], v[26:27], v[18:19], -v[14:15]
	ds_read_b128 v[14:17], v32 offset:3584
	v_add_f64 v[54:55], v[40:41], v[54:55]
	v_add_f64 v[50:51], v[50:51], v[38:39]
	ds_read_b128 v[38:41], v32 offset:3840
	v_mul_f64 v[20:21], v[26:27], v[20:21]
	v_fmac_f64_e32 v[20:21], v[28:29], v[18:19]
	s_waitcnt lgkmcnt(1)
	v_mul_f64 v[18:19], v[24:25], v[16:17]
	v_fma_f64 v[18:19], v[22:23], v[14:15], -v[18:19]
	v_add_f64 v[52:53], v[20:21], v[52:53]
	v_mul_f64 v[20:21], v[22:23], v[16:17]
	v_add_f64 v[26:27], v[46:47], v[18:19]
	s_waitcnt lgkmcnt(0)
	v_mul_f64 v[18:19], v[24:25], v[40:41]
	v_fmac_f64_e32 v[20:21], v[24:25], v[14:15]
	v_fma_f64 v[18:19], v[22:23], v[38:39], -v[18:19]
	v_add_f64 v[28:29], v[20:21], v[48:49]
	v_mul_f64 v[20:21], v[22:23], v[40:41]
	v_add_f64 v[22:23], v[54:55], v[18:19]
	v_mul_f64 v[18:19], v[2:3], v[16:17]
	v_mul_f64 v[16:17], v[0:1], v[16:17]
	v_fma_f64 v[18:19], v[0:1], v[14:15], -v[18:19]
	v_fmac_f64_e32 v[16:17], v[2:3], v[14:15]
	v_mul_f64 v[14:15], v[2:3], v[40:41]
	v_fma_f64 v[14:15], v[0:1], v[38:39], -v[14:15]
	v_mul_f64 v[0:1], v[0:1], v[40:41]
	v_fmac_f64_e32 v[20:21], v[24:25], v[38:39]
	v_fmac_f64_e32 v[0:1], v[2:3], v[38:39]
	s_addc_u32 s3, s3, 0
	v_add_f64 v[24:25], v[20:21], v[56:57]
	v_add_f64 v[20:21], v[16:17], v[44:45]
	;; [unrolled: 1-line block ×4, first 2 shown]
	v_mov_b64_e32 v[0:1], s[2:3]
	v_cmp_gt_i64_e32 vcc, s[8:9], v[0:1]
	v_add_f64 v[18:19], v[42:43], v[18:19]
	s_barrier
	s_cbranch_vccz .LBB259_16
.LBB259_8:                              ; =>This Inner Loop Header: Depth=1
	v_mov_b64_e32 v[0:1], 0
	v_mov_b64_e32 v[2:3], 0
	s_and_saveexec_b64 s[12:13], s[0:1]
	s_cbranch_execz .LBB259_12
; %bb.9:                                ;   in Loop: Header=BB259_8 Depth=1
	v_add_u32_e32 v12, s2, v6
	v_cmp_gt_u64_e32 vcc, s[8:9], v[12:13]
	v_mov_b64_e32 v[2:3], 0
	v_mov_b64_e32 v[0:1], 0
	s_and_saveexec_b64 s[14:15], vcc
	s_cbranch_execz .LBB259_11
; %bb.10:                               ;   in Loop: Header=BB259_8 Depth=1
	v_lshl_add_u64 v[0:1], v[12:13], 4, v[8:9]
	global_load_dwordx4 v[0:3], v[0:1], off
	s_waitcnt vmcnt(0)
	v_xor_b32_e32 v3, 0x80000000, v3
.LBB259_11:                             ;   in Loop: Header=BB259_8 Depth=1
	s_or_b64 exec, exec, s[14:15]
.LBB259_12:                             ;   in Loop: Header=BB259_8 Depth=1
	s_or_b64 exec, exec, s[12:13]
	v_add_u32_e32 v12, s2, v4
	v_cmp_le_u64_e32 vcc, s[8:9], v[12:13]
	s_or_b64 s[12:13], vcc, s[10:11]
	ds_write_b128 v30, v[0:3]
	s_and_saveexec_b64 s[14:15], s[12:13]
	s_xor_b64 s[12:13], exec, s[14:15]
; %bb.13:                               ;   in Loop: Header=BB259_8 Depth=1
	ds_write_b128 v31, v[34:37]
; %bb.14:                               ;   in Loop: Header=BB259_8 Depth=1
	s_andn2_saveexec_b64 s[12:13], s[12:13]
	s_cbranch_execz .LBB259_7
; %bb.15:                               ;   in Loop: Header=BB259_8 Depth=1
	v_mad_u64_u32 v[0:1], s[14:15], s20, v12, 0
	v_mov_b32_e32 v2, v1
	v_mad_u64_u32 v[2:3], s[14:15], s21, v12, v[2:3]
	v_mov_b32_e32 v1, v2
	v_lshl_add_u64 v[0:1], v[0:1], 4, v[10:11]
	global_load_dwordx4 v[0:3], v[0:1], off
	s_waitcnt vmcnt(0)
	ds_write2_b64 v31, v[0:1], v[2:3] offset1:1
	s_branch .LBB259_7
.LBB259_16:
	s_mul_i32 s0, s31, s4
	s_mul_hi_u32 s1, s30, s4
	s_add_i32 s1, s1, s0
	s_mul_i32 s0, s30, s4
	s_lshl_b64 s[0:1], s[0:1], 4
	v_add_u32_e32 v10, s33, v7
	s_add_u32 s4, s26, s0
	v_ashrrev_i32_e32 v0, 31, v10
	s_addc_u32 s5, s27, s1
	v_cmp_neq_f64_e64 s[0:1], s[36:37], 0
	s_xor_b64 s[6:7], s[6:7], -1
	v_mul_lo_u32 v2, s28, v0
	v_mul_lo_u32 v3, s29, v10
	v_mad_u64_u32 v[0:1], s[8:9], s28, v10, 0
	v_add_u32_e32 v4, s25, v5
	v_add3_u32 v1, v1, v2, v3
	s_or_b64 s[0:1], s[0:1], s[6:7]
	s_waitcnt lgkmcnt(0)
	v_cmp_gt_i32_e64 s[2:3], s24, v10
	v_lshl_add_u64 v[8:9], v[0:1], 4, s[4:5]
	v_cmp_le_i32_e32 vcc, v4, v10
	v_cndmask_b32_e64 v0, 0, 1, s[0:1]
	s_and_b64 s[8:9], s[2:3], vcc
	v_ashrrev_i32_e32 v5, 31, v4
	v_cmp_ne_u32_e64 s[0:1], 1, v0
	s_and_saveexec_b64 s[6:7], s[8:9]
	s_cbranch_execz .LBB259_20
; %bb.17:
	v_mul_f64 v[0:1], s[42:43], v[28:29]
	v_mul_f64 v[2:3], s[40:41], v[28:29]
	v_fma_f64 v[0:1], s[40:41], v[26:27], -v[0:1]
	v_fmac_f64_e32 v[2:3], s[42:43], v[26:27]
	s_and_b64 vcc, exec, s[0:1]
	v_lshl_add_u64 v[6:7], v[4:5], 4, v[8:9]
	s_cbranch_vccnz .LBB259_19
; %bb.18:
	global_load_dwordx4 v[26:29], v[6:7], off
	s_waitcnt vmcnt(0)
	v_mul_f64 v[12:13], s[38:39], v[28:29]
	v_mul_f64 v[28:29], s[36:37], v[28:29]
	v_fma_f64 v[12:13], s[36:37], v[26:27], -v[12:13]
	v_fmac_f64_e32 v[28:29], s[38:39], v[26:27]
	v_add_f64 v[0:1], v[0:1], v[12:13]
	v_add_f64 v[2:3], v[2:3], v[28:29]
.LBB259_19:
	global_store_dwordx4 v[6:7], v[0:3], off
.LBB259_20:
	s_or_b64 exec, exec, s[6:7]
	v_add_u32_e32 v6, 16, v4
	v_cmp_le_i32_e32 vcc, v6, v10
	s_and_b64 s[6:7], s[2:3], vcc
	v_ashrrev_i32_e32 v7, 31, v6
	s_and_saveexec_b64 s[2:3], s[6:7]
	s_cbranch_execz .LBB259_24
; %bb.21:
	v_mul_f64 v[0:1], s[42:43], v[24:25]
	v_mul_f64 v[2:3], s[40:41], v[24:25]
	v_fma_f64 v[0:1], s[40:41], v[22:23], -v[0:1]
	v_fmac_f64_e32 v[2:3], s[42:43], v[22:23]
	s_and_b64 vcc, exec, s[0:1]
	v_lshl_add_u64 v[8:9], v[6:7], 4, v[8:9]
	s_cbranch_vccnz .LBB259_23
; %bb.22:
	global_load_dwordx4 v[22:25], v[8:9], off
	s_waitcnt vmcnt(0)
	v_mul_f64 v[12:13], s[38:39], v[24:25]
	v_mul_f64 v[24:25], s[36:37], v[24:25]
	v_fma_f64 v[12:13], s[36:37], v[22:23], -v[12:13]
	v_fmac_f64_e32 v[24:25], s[38:39], v[22:23]
	v_add_f64 v[0:1], v[0:1], v[12:13]
	v_add_f64 v[2:3], v[2:3], v[24:25]
.LBB259_23:
	global_store_dwordx4 v[8:9], v[0:3], off
.LBB259_24:
	s_or_b64 exec, exec, s[2:3]
	v_add_u32_e32 v10, 16, v10
	v_ashrrev_i32_e32 v0, 31, v10
	v_mul_lo_u32 v2, s28, v0
	v_mul_lo_u32 v3, s29, v10
	v_mad_u64_u32 v[0:1], s[6:7], s28, v10, 0
	v_cmp_gt_i32_e64 s[2:3], s24, v10
	v_add3_u32 v1, v1, v2, v3
	v_cmp_le_i32_e32 vcc, v4, v10
	v_lshl_add_u64 v[8:9], v[0:1], 4, s[4:5]
	s_and_b64 s[6:7], s[2:3], vcc
	s_and_saveexec_b64 s[4:5], s[6:7]
	s_cbranch_execz .LBB259_28
; %bb.25:
	v_mul_f64 v[0:1], s[42:43], v[20:21]
	v_mul_f64 v[2:3], s[40:41], v[20:21]
	v_fma_f64 v[0:1], s[40:41], v[18:19], -v[0:1]
	v_fmac_f64_e32 v[2:3], s[42:43], v[18:19]
	s_and_b64 vcc, exec, s[0:1]
	v_lshl_add_u64 v[4:5], v[4:5], 4, v[8:9]
	s_cbranch_vccnz .LBB259_27
; %bb.26:
	global_load_dwordx4 v[18:21], v[4:5], off
	s_waitcnt vmcnt(0)
	v_mul_f64 v[12:13], s[38:39], v[20:21]
	v_mul_f64 v[20:21], s[36:37], v[20:21]
	v_fma_f64 v[12:13], s[36:37], v[18:19], -v[12:13]
	v_fmac_f64_e32 v[20:21], s[38:39], v[18:19]
	v_add_f64 v[0:1], v[0:1], v[12:13]
	v_add_f64 v[2:3], v[2:3], v[20:21]
.LBB259_27:
	global_store_dwordx4 v[4:5], v[0:3], off
.LBB259_28:
	s_or_b64 exec, exec, s[4:5]
	v_cmp_le_i32_e32 vcc, v6, v10
	s_and_b64 s[2:3], s[2:3], vcc
	s_and_saveexec_b64 s[4:5], s[2:3]
	s_cbranch_execz .LBB259_32
; %bb.29:
	v_mul_f64 v[0:1], s[42:43], v[14:15]
	v_mul_f64 v[2:3], s[40:41], v[14:15]
	v_fma_f64 v[0:1], s[40:41], v[16:17], -v[0:1]
	v_fmac_f64_e32 v[2:3], s[42:43], v[16:17]
	s_and_b64 vcc, exec, s[0:1]
	v_lshl_add_u64 v[4:5], v[6:7], 4, v[8:9]
	s_cbranch_vccnz .LBB259_31
; %bb.30:
	global_load_dwordx4 v[6:9], v[4:5], off
	s_waitcnt vmcnt(0)
	v_mul_f64 v[10:11], s[38:39], v[8:9]
	v_mul_f64 v[8:9], s[36:37], v[8:9]
	v_fma_f64 v[10:11], s[36:37], v[6:7], -v[10:11]
	v_fmac_f64_e32 v[8:9], s[38:39], v[6:7]
	v_add_f64 v[0:1], v[0:1], v[10:11]
	v_add_f64 v[2:3], v[2:3], v[8:9]
.LBB259_31:
	global_store_dwordx4 v[4:5], v[0:3], off
.LBB259_32:
	s_endpgm
	.section	.rodata,"a",@progbits
	.p2align	6, 0x0
	.amdhsa_kernel _ZL29rocblas_internal_gemmt_kernelIlLi16ELi32ELi8ELc67ELc84ELc85ELb1ELb0E19rocblas_complex_numIdEPKS1_S3_PS1_EviT_T9_T10_S5_lS7_S5_lS6_T11_S5_li
		.amdhsa_group_segment_fixed_size 8192
		.amdhsa_private_segment_fixed_size 0
		.amdhsa_kernarg_size 108
		.amdhsa_user_sgpr_count 2
		.amdhsa_user_sgpr_dispatch_ptr 0
		.amdhsa_user_sgpr_queue_ptr 0
		.amdhsa_user_sgpr_kernarg_segment_ptr 1
		.amdhsa_user_sgpr_dispatch_id 0
		.amdhsa_user_sgpr_kernarg_preload_length 0
		.amdhsa_user_sgpr_kernarg_preload_offset 0
		.amdhsa_user_sgpr_private_segment_size 0
		.amdhsa_uses_dynamic_stack 0
		.amdhsa_enable_private_segment 0
		.amdhsa_system_sgpr_workgroup_id_x 1
		.amdhsa_system_sgpr_workgroup_id_y 1
		.amdhsa_system_sgpr_workgroup_id_z 1
		.amdhsa_system_sgpr_workgroup_info 0
		.amdhsa_system_vgpr_workitem_id 1
		.amdhsa_next_free_vgpr 64
		.amdhsa_next_free_sgpr 44
		.amdhsa_accum_offset 64
		.amdhsa_reserve_vcc 1
		.amdhsa_float_round_mode_32 0
		.amdhsa_float_round_mode_16_64 0
		.amdhsa_float_denorm_mode_32 3
		.amdhsa_float_denorm_mode_16_64 3
		.amdhsa_dx10_clamp 1
		.amdhsa_ieee_mode 1
		.amdhsa_fp16_overflow 0
		.amdhsa_tg_split 0
		.amdhsa_exception_fp_ieee_invalid_op 0
		.amdhsa_exception_fp_denorm_src 0
		.amdhsa_exception_fp_ieee_div_zero 0
		.amdhsa_exception_fp_ieee_overflow 0
		.amdhsa_exception_fp_ieee_underflow 0
		.amdhsa_exception_fp_ieee_inexact 0
		.amdhsa_exception_int_div_zero 0
	.end_amdhsa_kernel
	.section	.text._ZL29rocblas_internal_gemmt_kernelIlLi16ELi32ELi8ELc67ELc84ELc85ELb1ELb0E19rocblas_complex_numIdEPKS1_S3_PS1_EviT_T9_T10_S5_lS7_S5_lS6_T11_S5_li,"axG",@progbits,_ZL29rocblas_internal_gemmt_kernelIlLi16ELi32ELi8ELc67ELc84ELc85ELb1ELb0E19rocblas_complex_numIdEPKS1_S3_PS1_EviT_T9_T10_S5_lS7_S5_lS6_T11_S5_li,comdat
.Lfunc_end259:
	.size	_ZL29rocblas_internal_gemmt_kernelIlLi16ELi32ELi8ELc67ELc84ELc85ELb1ELb0E19rocblas_complex_numIdEPKS1_S3_PS1_EviT_T9_T10_S5_lS7_S5_lS6_T11_S5_li, .Lfunc_end259-_ZL29rocblas_internal_gemmt_kernelIlLi16ELi32ELi8ELc67ELc84ELc85ELb1ELb0E19rocblas_complex_numIdEPKS1_S3_PS1_EviT_T9_T10_S5_lS7_S5_lS6_T11_S5_li
                                        ; -- End function
	.set _ZL29rocblas_internal_gemmt_kernelIlLi16ELi32ELi8ELc67ELc84ELc85ELb1ELb0E19rocblas_complex_numIdEPKS1_S3_PS1_EviT_T9_T10_S5_lS7_S5_lS6_T11_S5_li.num_vgpr, 64
	.set _ZL29rocblas_internal_gemmt_kernelIlLi16ELi32ELi8ELc67ELc84ELc85ELb1ELb0E19rocblas_complex_numIdEPKS1_S3_PS1_EviT_T9_T10_S5_lS7_S5_lS6_T11_S5_li.num_agpr, 0
	.set _ZL29rocblas_internal_gemmt_kernelIlLi16ELi32ELi8ELc67ELc84ELc85ELb1ELb0E19rocblas_complex_numIdEPKS1_S3_PS1_EviT_T9_T10_S5_lS7_S5_lS6_T11_S5_li.numbered_sgpr, 44
	.set _ZL29rocblas_internal_gemmt_kernelIlLi16ELi32ELi8ELc67ELc84ELc85ELb1ELb0E19rocblas_complex_numIdEPKS1_S3_PS1_EviT_T9_T10_S5_lS7_S5_lS6_T11_S5_li.num_named_barrier, 0
	.set _ZL29rocblas_internal_gemmt_kernelIlLi16ELi32ELi8ELc67ELc84ELc85ELb1ELb0E19rocblas_complex_numIdEPKS1_S3_PS1_EviT_T9_T10_S5_lS7_S5_lS6_T11_S5_li.private_seg_size, 0
	.set _ZL29rocblas_internal_gemmt_kernelIlLi16ELi32ELi8ELc67ELc84ELc85ELb1ELb0E19rocblas_complex_numIdEPKS1_S3_PS1_EviT_T9_T10_S5_lS7_S5_lS6_T11_S5_li.uses_vcc, 1
	.set _ZL29rocblas_internal_gemmt_kernelIlLi16ELi32ELi8ELc67ELc84ELc85ELb1ELb0E19rocblas_complex_numIdEPKS1_S3_PS1_EviT_T9_T10_S5_lS7_S5_lS6_T11_S5_li.uses_flat_scratch, 0
	.set _ZL29rocblas_internal_gemmt_kernelIlLi16ELi32ELi8ELc67ELc84ELc85ELb1ELb0E19rocblas_complex_numIdEPKS1_S3_PS1_EviT_T9_T10_S5_lS7_S5_lS6_T11_S5_li.has_dyn_sized_stack, 0
	.set _ZL29rocblas_internal_gemmt_kernelIlLi16ELi32ELi8ELc67ELc84ELc85ELb1ELb0E19rocblas_complex_numIdEPKS1_S3_PS1_EviT_T9_T10_S5_lS7_S5_lS6_T11_S5_li.has_recursion, 0
	.set _ZL29rocblas_internal_gemmt_kernelIlLi16ELi32ELi8ELc67ELc84ELc85ELb1ELb0E19rocblas_complex_numIdEPKS1_S3_PS1_EviT_T9_T10_S5_lS7_S5_lS6_T11_S5_li.has_indirect_call, 0
	.section	.AMDGPU.csdata,"",@progbits
; Kernel info:
; codeLenInByte = 3152
; TotalNumSgprs: 50
; NumVgprs: 64
; NumAgprs: 0
; TotalNumVgprs: 64
; ScratchSize: 0
; MemoryBound: 1
; FloatMode: 240
; IeeeMode: 1
; LDSByteSize: 8192 bytes/workgroup (compile time only)
; SGPRBlocks: 6
; VGPRBlocks: 7
; NumSGPRsForWavesPerEU: 50
; NumVGPRsForWavesPerEU: 64
; AccumOffset: 64
; Occupancy: 8
; WaveLimiterHint : 0
; COMPUTE_PGM_RSRC2:SCRATCH_EN: 0
; COMPUTE_PGM_RSRC2:USER_SGPR: 2
; COMPUTE_PGM_RSRC2:TRAP_HANDLER: 0
; COMPUTE_PGM_RSRC2:TGID_X_EN: 1
; COMPUTE_PGM_RSRC2:TGID_Y_EN: 1
; COMPUTE_PGM_RSRC2:TGID_Z_EN: 1
; COMPUTE_PGM_RSRC2:TIDIG_COMP_CNT: 1
; COMPUTE_PGM_RSRC3_GFX90A:ACCUM_OFFSET: 15
; COMPUTE_PGM_RSRC3_GFX90A:TG_SPLIT: 0
	.section	.text._ZL29rocblas_internal_gemmt_kernelIlLi16ELi32ELi8ELc67ELc67ELc85ELb1ELb1E19rocblas_complex_numIdEPKS1_S3_PS1_EviT_T9_T10_S5_lS7_S5_lS6_T11_S5_li,"axG",@progbits,_ZL29rocblas_internal_gemmt_kernelIlLi16ELi32ELi8ELc67ELc67ELc85ELb1ELb1E19rocblas_complex_numIdEPKS1_S3_PS1_EviT_T9_T10_S5_lS7_S5_lS6_T11_S5_li,comdat
	.globl	_ZL29rocblas_internal_gemmt_kernelIlLi16ELi32ELi8ELc67ELc67ELc85ELb1ELb1E19rocblas_complex_numIdEPKS1_S3_PS1_EviT_T9_T10_S5_lS7_S5_lS6_T11_S5_li ; -- Begin function _ZL29rocblas_internal_gemmt_kernelIlLi16ELi32ELi8ELc67ELc67ELc85ELb1ELb1E19rocblas_complex_numIdEPKS1_S3_PS1_EviT_T9_T10_S5_lS7_S5_lS6_T11_S5_li
	.p2align	8
	.type	_ZL29rocblas_internal_gemmt_kernelIlLi16ELi32ELi8ELc67ELc67ELc85ELb1ELb1E19rocblas_complex_numIdEPKS1_S3_PS1_EviT_T9_T10_S5_lS7_S5_lS6_T11_S5_li,@function
_ZL29rocblas_internal_gemmt_kernelIlLi16ELi32ELi8ELc67ELc67ELc85ELb1ELb1E19rocblas_complex_numIdEPKS1_S3_PS1_EviT_T9_T10_S5_lS7_S5_lS6_T11_S5_li: ; @_ZL29rocblas_internal_gemmt_kernelIlLi16ELi32ELi8ELc67ELc67ELc85ELb1ELb1E19rocblas_complex_numIdEPKS1_S3_PS1_EviT_T9_T10_S5_lS7_S5_lS6_T11_S5_li
; %bb.0:
	s_load_dwordx8 s[24:31], s[0:1], 0x48
	s_load_dwordx16 s[8:23], s[0:1], 0x8
	s_waitcnt lgkmcnt(0)
	s_load_dwordx4 s[36:39], s[24:25], 0x0
	s_load_dwordx4 s[40:43], s[10:11], 0x0
	s_mov_b64 s[24:25], 0
	s_waitcnt lgkmcnt(0)
	v_cmp_eq_f64_e64 s[10:11], s[36:37], 1.0
	v_cmp_eq_f64_e64 s[6:7], s[38:39], 0
	s_and_b64 s[10:11], s[10:11], s[6:7]
	s_andn2_b64 vcc, exec, s[10:11]
	s_mov_b64 s[10:11], -1
	s_cbranch_vccnz .LBB260_4
; %bb.1:
	s_cmp_lg_u64 s[8:9], 0
	s_cbranch_scc0 .LBB260_3
; %bb.2:
	v_cmp_neq_f64_e64 s[10:11], s[40:41], 0
	v_cmp_neq_f64_e64 s[24:25], s[42:43], 0
	s_or_b64 s[24:25], s[10:11], s[24:25]
.LBB260_3:
	s_mov_b64 s[10:11], s[24:25]
.LBB260_4:
	s_and_b64 vcc, exec, s[10:11]
	s_cbranch_vccz .LBB260_30
; %bb.5:
	s_load_dword s24, s[0:1], 0x0
	s_lshl_b32 s25, s2, 5
	s_lshl_b32 s33, s3, 5
	v_cmp_eq_f64_e64 s[0:1], s[40:41], 0
	v_cmp_eq_f64_e64 s[2:3], s[42:43], 0
	s_and_b64 s[0:1], s[0:1], s[2:3]
	v_cmp_lt_i64_e64 s[2:3], s[8:9], 1
	s_or_b64 s[0:1], s[0:1], s[2:3]
	v_and_b32_e32 v5, 0x3ff, v0
	v_bfe_u32 v7, v0, 10, 10
	v_mov_b64_e32 v[26:27], 0
	s_and_b64 vcc, exec, s[0:1]
	v_mov_b64_e32 v[28:29], 0
	v_mov_b64_e32 v[22:23], 0
	;; [unrolled: 1-line block ×7, first 2 shown]
	s_cbranch_vccnz .LBB260_14
; %bb.6:
	s_mul_i32 s0, s23, s4
	s_mul_hi_u32 s1, s22, s4
	s_add_i32 s1, s1, s0
	s_mul_i32 s0, s22, s4
	s_lshl_b64 s[0:1], s[0:1], 4
	s_add_u32 s10, s18, s0
	s_addc_u32 s11, s19, s1
	s_mul_i32 s0, s17, s4
	s_mul_hi_u32 s1, s16, s4
	s_add_i32 s1, s1, s0
	s_mul_i32 s0, s16, s4
	v_lshl_add_u32 v1, v7, 4, v5
	s_lshl_b64 s[0:1], s[0:1], 4
	v_lshrrev_b32_e32 v6, 5, v1
	v_lshrrev_b32_e32 v10, 3, v1
	v_and_b32_e32 v1, 31, v1
	s_add_u32 s2, s12, s0
	v_or_b32_e32 v2, s25, v1
	s_addc_u32 s3, s13, s1
	v_lshlrev_b32_e32 v1, 4, v1
	s_ashr_i32 s5, s25, 31
	v_and_b32_e32 v4, 7, v5
	s_waitcnt lgkmcnt(0)
	v_cmp_gt_i32_e64 s[0:1], s24, v2
	v_lshl_or_b32 v30, v6, 9, v1
	v_mul_lo_u32 v1, s15, v2
	v_mad_u64_u32 v[2:3], s[12:13], s14, v2, 0
	s_mul_i32 s5, s14, s5
	v_add3_u32 v3, v3, s5, v1
	v_lshlrev_b32_e32 v1, 4, v4
	v_add_u32_e32 v0, s33, v10
	v_lshl_or_b32 v1, v10, 7, v1
	v_add_u32_e32 v31, 0x1000, v1
	v_ashrrev_i32_e32 v1, 31, v0
	v_lshl_add_u64 v[8:9], v[2:3], 4, s[2:3]
	v_cmp_gt_i32_e64 s[2:3], s24, v0
	v_lshl_add_u64 v[10:11], v[0:1], 4, s[10:11]
	v_mov_b32_e32 v0, 0x1000
	v_lshlrev_b32_e32 v32, 4, v5
	v_lshl_add_u32 v33, v7, 7, v0
	v_mov_b32_e32 v13, 0
	v_mov_b64_e32 v[14:15], 0
	s_mov_b64 s[10:11], 0
	v_mov_b64_e32 v[16:17], 0
	v_mov_b64_e32 v[20:21], 0
	v_mov_b64_e32 v[18:19], 0
	v_mov_b64_e32 v[24:25], 0
	v_mov_b64_e32 v[22:23], 0
	v_mov_b64_e32 v[28:29], 0
	v_mov_b64_e32 v[26:27], 0
	s_branch .LBB260_8
.LBB260_7:                              ;   in Loop: Header=BB260_8 Depth=1
	s_or_b64 exec, exec, s[12:13]
	ds_write_b128 v31, v[0:3]
	s_waitcnt lgkmcnt(0)
	s_barrier
	ds_read_b128 v[0:3], v32
	ds_read_b128 v[34:37], v33
	ds_read_b128 v[38:41], v33 offset:16
	ds_read_b128 v[42:45], v33 offset:32
	;; [unrolled: 1-line block ×4, first 2 shown]
	s_waitcnt lgkmcnt(4)
	v_mul_f64 v[54:55], v[36:37], v[2:3]
	v_fma_f64 v[54:55], v[34:35], v[0:1], -v[54:55]
	v_mul_f64 v[56:57], v[34:35], v[2:3]
	v_fmac_f64_e32 v[56:57], v[36:37], v[0:1]
	v_add_f64 v[54:55], v[26:27], v[54:55]
	s_waitcnt lgkmcnt(0)
	v_mul_f64 v[26:27], v[36:37], v[52:53]
	v_add_f64 v[56:57], v[56:57], v[28:29]
	v_fma_f64 v[58:59], v[34:35], v[50:51], -v[26:27]
	ds_read_b128 v[26:29], v33 offset:2048
	v_mul_f64 v[34:35], v[34:35], v[52:53]
	v_fmac_f64_e32 v[34:35], v[36:37], v[50:51]
	v_add_f64 v[36:37], v[22:23], v[58:59]
	v_add_f64 v[34:35], v[34:35], v[24:25]
	ds_read_b128 v[22:25], v33 offset:2064
	s_waitcnt lgkmcnt(1)
	v_mul_f64 v[58:59], v[28:29], v[2:3]
	v_mul_f64 v[2:3], v[26:27], v[2:3]
	v_fma_f64 v[58:59], v[26:27], v[0:1], -v[58:59]
	v_fmac_f64_e32 v[2:3], v[28:29], v[0:1]
	v_mul_f64 v[0:1], v[28:29], v[52:53]
	v_add_f64 v[18:19], v[18:19], v[58:59]
	v_add_f64 v[20:21], v[2:3], v[20:21]
	v_fma_f64 v[58:59], v[26:27], v[50:51], -v[0:1]
	v_mul_f64 v[26:27], v[26:27], v[52:53]
	ds_read_b128 v[0:3], v32 offset:512
	v_fmac_f64_e32 v[26:27], v[28:29], v[50:51]
	v_add_f64 v[28:29], v[16:17], v[58:59]
	v_add_f64 v[26:27], v[26:27], v[14:15]
	ds_read_b128 v[14:17], v32 offset:768
	s_waitcnt lgkmcnt(1)
	v_mul_f64 v[50:51], v[40:41], v[2:3]
	v_fma_f64 v[50:51], v[38:39], v[0:1], -v[50:51]
	v_add_f64 v[50:51], v[54:55], v[50:51]
	v_mul_f64 v[52:53], v[38:39], v[2:3]
	s_waitcnt lgkmcnt(0)
	v_mul_f64 v[54:55], v[40:41], v[16:17]
	v_fma_f64 v[54:55], v[38:39], v[14:15], -v[54:55]
	v_mul_f64 v[38:39], v[38:39], v[16:17]
	v_fmac_f64_e32 v[38:39], v[40:41], v[14:15]
	v_add_f64 v[34:35], v[38:39], v[34:35]
	v_mul_f64 v[38:39], v[24:25], v[2:3]
	v_mul_f64 v[2:3], v[22:23], v[2:3]
	v_fmac_f64_e32 v[52:53], v[40:41], v[0:1]
	v_fma_f64 v[38:39], v[22:23], v[0:1], -v[38:39]
	v_fmac_f64_e32 v[2:3], v[24:25], v[0:1]
	v_mul_f64 v[0:1], v[24:25], v[16:17]
	v_add_f64 v[38:39], v[18:19], v[38:39]
	v_add_f64 v[40:41], v[2:3], v[20:21]
	v_fma_f64 v[18:19], v[22:23], v[14:15], -v[0:1]
	v_mul_f64 v[16:17], v[22:23], v[16:17]
	ds_read_b128 v[0:3], v32 offset:1024
	v_fmac_f64_e32 v[16:17], v[24:25], v[14:15]
	v_add_f64 v[26:27], v[16:17], v[26:27]
	ds_read_b128 v[14:17], v32 offset:1280
	v_add_f64 v[28:29], v[28:29], v[18:19]
	s_waitcnt lgkmcnt(1)
	v_mul_f64 v[18:19], v[44:45], v[2:3]
	v_fma_f64 v[18:19], v[42:43], v[0:1], -v[18:19]
	v_mul_f64 v[20:21], v[42:43], v[2:3]
	v_add_f64 v[52:53], v[52:53], v[56:57]
	v_fmac_f64_e32 v[20:21], v[44:45], v[0:1]
	v_add_f64 v[50:51], v[50:51], v[18:19]
	s_waitcnt lgkmcnt(0)
	v_mul_f64 v[18:19], v[44:45], v[16:17]
	v_add_f64 v[52:53], v[20:21], v[52:53]
	v_fma_f64 v[22:23], v[42:43], v[14:15], -v[18:19]
	ds_read_b128 v[18:21], v33 offset:2080
	v_mul_f64 v[24:25], v[42:43], v[16:17]
	v_add_f64 v[36:37], v[36:37], v[54:55]
	v_fmac_f64_e32 v[24:25], v[44:45], v[14:15]
	v_add_f64 v[36:37], v[36:37], v[22:23]
	v_add_f64 v[34:35], v[24:25], v[34:35]
	ds_read_b128 v[22:25], v33 offset:2096
	s_waitcnt lgkmcnt(1)
	v_mul_f64 v[42:43], v[20:21], v[2:3]
	v_mul_f64 v[2:3], v[18:19], v[2:3]
	v_fma_f64 v[42:43], v[18:19], v[0:1], -v[42:43]
	v_fmac_f64_e32 v[2:3], v[20:21], v[0:1]
	v_mul_f64 v[0:1], v[20:21], v[16:17]
	v_mul_f64 v[16:17], v[18:19], v[16:17]
	v_fmac_f64_e32 v[16:17], v[20:21], v[14:15]
	v_add_f64 v[38:39], v[38:39], v[42:43]
	v_add_f64 v[40:41], v[2:3], v[40:41]
	v_fma_f64 v[42:43], v[18:19], v[14:15], -v[0:1]
	ds_read_b128 v[0:3], v32 offset:1536
	v_add_f64 v[20:21], v[16:17], v[26:27]
	ds_read_b128 v[14:17], v32 offset:1792
	v_add_f64 v[18:19], v[28:29], v[42:43]
	s_add_u32 s10, s10, 8
	s_waitcnt lgkmcnt(1)
	v_mul_f64 v[26:27], v[48:49], v[2:3]
	v_mul_f64 v[28:29], v[46:47], v[2:3]
	s_waitcnt lgkmcnt(0)
	v_mul_f64 v[42:43], v[48:49], v[16:17]
	v_fma_f64 v[42:43], v[46:47], v[14:15], -v[42:43]
	v_add_f64 v[36:37], v[36:37], v[42:43]
	v_mul_f64 v[42:43], v[24:25], v[2:3]
	v_mul_f64 v[2:3], v[22:23], v[2:3]
	v_fma_f64 v[26:27], v[46:47], v[0:1], -v[26:27]
	v_fmac_f64_e32 v[28:29], v[48:49], v[0:1]
	v_fma_f64 v[42:43], v[22:23], v[0:1], -v[42:43]
	v_fmac_f64_e32 v[2:3], v[24:25], v[0:1]
	v_mul_f64 v[0:1], v[24:25], v[16:17]
	v_mul_f64 v[44:45], v[46:47], v[16:17]
	v_add_f64 v[38:39], v[38:39], v[42:43]
	v_fma_f64 v[42:43], v[22:23], v[14:15], -v[0:1]
	v_mul_f64 v[22:23], v[22:23], v[16:17]
	v_fmac_f64_e32 v[44:45], v[48:49], v[14:15]
	v_add_f64 v[40:41], v[2:3], v[40:41]
	v_fmac_f64_e32 v[22:23], v[24:25], v[14:15]
	ds_read_b128 v[0:3], v33 offset:64
	ds_read_b128 v[14:17], v32 offset:2048
	v_add_f64 v[34:35], v[44:45], v[34:35]
	v_add_f64 v[42:43], v[18:19], v[42:43]
	;; [unrolled: 1-line block ×3, first 2 shown]
	ds_read_b128 v[18:21], v32 offset:2304
	ds_read_b128 v[22:25], v33 offset:80
	s_waitcnt lgkmcnt(2)
	v_mul_f64 v[46:47], v[2:3], v[16:17]
	v_add_f64 v[26:27], v[50:51], v[26:27]
	v_fma_f64 v[46:47], v[0:1], v[14:15], -v[46:47]
	v_mul_f64 v[48:49], v[0:1], v[16:17]
	v_add_f64 v[28:29], v[28:29], v[52:53]
	v_fmac_f64_e32 v[48:49], v[2:3], v[14:15]
	v_add_f64 v[46:47], v[26:27], v[46:47]
	s_waitcnt lgkmcnt(1)
	v_mul_f64 v[26:27], v[2:3], v[20:21]
	v_add_f64 v[48:49], v[48:49], v[28:29]
	v_fma_f64 v[50:51], v[0:1], v[18:19], -v[26:27]
	ds_read_b128 v[26:29], v33 offset:2112
	v_mul_f64 v[0:1], v[0:1], v[20:21]
	v_fmac_f64_e32 v[0:1], v[2:3], v[18:19]
	v_add_f64 v[36:37], v[36:37], v[50:51]
	v_add_f64 v[34:35], v[0:1], v[34:35]
	ds_read_b128 v[0:3], v33 offset:2128
	s_waitcnt lgkmcnt(1)
	v_mul_f64 v[50:51], v[28:29], v[16:17]
	v_mul_f64 v[16:17], v[26:27], v[16:17]
	v_fma_f64 v[50:51], v[26:27], v[14:15], -v[50:51]
	v_fmac_f64_e32 v[16:17], v[28:29], v[14:15]
	v_mul_f64 v[14:15], v[28:29], v[20:21]
	v_add_f64 v[38:39], v[38:39], v[50:51]
	v_add_f64 v[40:41], v[16:17], v[40:41]
	v_fma_f64 v[50:51], v[26:27], v[18:19], -v[14:15]
	v_mul_f64 v[20:21], v[26:27], v[20:21]
	ds_read_b128 v[14:17], v32 offset:2560
	v_fmac_f64_e32 v[20:21], v[28:29], v[18:19]
	v_add_f64 v[28:29], v[20:21], v[44:45]
	ds_read_b128 v[18:21], v32 offset:2816
	v_add_f64 v[26:27], v[42:43], v[50:51]
	s_waitcnt lgkmcnt(1)
	v_mul_f64 v[42:43], v[24:25], v[16:17]
	v_fma_f64 v[42:43], v[22:23], v[14:15], -v[42:43]
	v_add_f64 v[42:43], v[46:47], v[42:43]
	s_waitcnt lgkmcnt(0)
	v_mul_f64 v[46:47], v[24:25], v[20:21]
	v_mul_f64 v[44:45], v[22:23], v[16:17]
	v_fma_f64 v[46:47], v[22:23], v[18:19], -v[46:47]
	v_mul_f64 v[22:23], v[22:23], v[20:21]
	v_fmac_f64_e32 v[22:23], v[24:25], v[18:19]
	v_add_f64 v[34:35], v[22:23], v[34:35]
	v_mul_f64 v[22:23], v[2:3], v[16:17]
	v_mul_f64 v[16:17], v[0:1], v[16:17]
	v_fmac_f64_e32 v[44:45], v[24:25], v[14:15]
	v_fma_f64 v[22:23], v[0:1], v[14:15], -v[22:23]
	v_fmac_f64_e32 v[16:17], v[2:3], v[14:15]
	v_mul_f64 v[14:15], v[2:3], v[20:21]
	v_mul_f64 v[20:21], v[0:1], v[20:21]
	v_add_f64 v[38:39], v[38:39], v[22:23]
	v_add_f64 v[40:41], v[16:17], v[40:41]
	v_fma_f64 v[22:23], v[0:1], v[18:19], -v[14:15]
	v_fmac_f64_e32 v[20:21], v[2:3], v[18:19]
	ds_read_b128 v[0:3], v33 offset:96
	ds_read_b128 v[14:17], v32 offset:3072
	v_add_f64 v[44:45], v[44:45], v[48:49]
	v_add_f64 v[36:37], v[36:37], v[46:47]
	;; [unrolled: 1-line block ×4, first 2 shown]
	ds_read_b128 v[18:21], v32 offset:3328
	ds_read_b128 v[22:25], v33 offset:112
	s_waitcnt lgkmcnt(2)
	v_mul_f64 v[26:27], v[2:3], v[16:17]
	v_fma_f64 v[26:27], v[0:1], v[14:15], -v[26:27]
	v_mul_f64 v[28:29], v[0:1], v[16:17]
	v_fmac_f64_e32 v[28:29], v[2:3], v[14:15]
	v_add_f64 v[42:43], v[42:43], v[26:27]
	s_waitcnt lgkmcnt(1)
	v_mul_f64 v[26:27], v[2:3], v[20:21]
	v_add_f64 v[44:45], v[28:29], v[44:45]
	v_fma_f64 v[50:51], v[0:1], v[18:19], -v[26:27]
	ds_read_b128 v[26:29], v33 offset:2144
	v_mul_f64 v[0:1], v[0:1], v[20:21]
	v_fmac_f64_e32 v[0:1], v[2:3], v[18:19]
	v_add_f64 v[52:53], v[0:1], v[34:35]
	ds_read_b128 v[0:3], v33 offset:2160
	s_waitcnt lgkmcnt(1)
	v_mul_f64 v[34:35], v[28:29], v[16:17]
	v_mul_f64 v[16:17], v[26:27], v[16:17]
	v_fma_f64 v[34:35], v[26:27], v[14:15], -v[34:35]
	v_fmac_f64_e32 v[16:17], v[28:29], v[14:15]
	v_mul_f64 v[14:15], v[28:29], v[20:21]
	v_add_f64 v[38:39], v[38:39], v[34:35]
	v_add_f64 v[40:41], v[16:17], v[40:41]
	v_fma_f64 v[34:35], v[26:27], v[18:19], -v[14:15]
	ds_read_b128 v[14:17], v32 offset:3584
	v_add_f64 v[50:51], v[36:37], v[50:51]
	v_add_f64 v[46:47], v[46:47], v[34:35]
	ds_read_b128 v[34:37], v32 offset:3840
	v_mul_f64 v[20:21], v[26:27], v[20:21]
	v_fmac_f64_e32 v[20:21], v[28:29], v[18:19]
	s_waitcnt lgkmcnt(1)
	v_mul_f64 v[18:19], v[24:25], v[16:17]
	v_fma_f64 v[18:19], v[22:23], v[14:15], -v[18:19]
	v_add_f64 v[48:49], v[20:21], v[48:49]
	v_mul_f64 v[20:21], v[22:23], v[16:17]
	v_add_f64 v[26:27], v[42:43], v[18:19]
	s_waitcnt lgkmcnt(0)
	v_mul_f64 v[18:19], v[24:25], v[36:37]
	v_fmac_f64_e32 v[20:21], v[24:25], v[14:15]
	v_fma_f64 v[18:19], v[22:23], v[34:35], -v[18:19]
	v_add_f64 v[28:29], v[20:21], v[44:45]
	v_mul_f64 v[20:21], v[22:23], v[36:37]
	v_add_f64 v[22:23], v[50:51], v[18:19]
	v_mul_f64 v[18:19], v[2:3], v[16:17]
	v_mul_f64 v[16:17], v[0:1], v[16:17]
	v_fma_f64 v[18:19], v[0:1], v[14:15], -v[18:19]
	v_fmac_f64_e32 v[16:17], v[2:3], v[14:15]
	v_mul_f64 v[14:15], v[2:3], v[36:37]
	v_fma_f64 v[14:15], v[0:1], v[34:35], -v[14:15]
	v_mul_f64 v[0:1], v[0:1], v[36:37]
	v_fmac_f64_e32 v[20:21], v[24:25], v[34:35]
	v_fmac_f64_e32 v[0:1], v[2:3], v[34:35]
	s_addc_u32 s11, s11, 0
	v_add_f64 v[24:25], v[20:21], v[52:53]
	v_add_f64 v[20:21], v[16:17], v[40:41]
	;; [unrolled: 1-line block ×4, first 2 shown]
	v_mov_b64_e32 v[0:1], s[10:11]
	v_cmp_gt_i64_e32 vcc, s[8:9], v[0:1]
	v_add_f64 v[18:19], v[38:39], v[18:19]
	s_barrier
	s_cbranch_vccz .LBB260_14
.LBB260_8:                              ; =>This Inner Loop Header: Depth=1
	v_mov_b64_e32 v[0:1], 0
	v_mov_b64_e32 v[2:3], 0
	s_and_saveexec_b64 s[12:13], s[0:1]
	s_cbranch_execz .LBB260_12
; %bb.9:                                ;   in Loop: Header=BB260_8 Depth=1
	v_add_u32_e32 v12, s10, v6
	v_cmp_gt_u64_e32 vcc, s[8:9], v[12:13]
	v_mov_b64_e32 v[2:3], 0
	v_mov_b64_e32 v[0:1], 0
	s_and_saveexec_b64 s[14:15], vcc
	s_cbranch_execz .LBB260_11
; %bb.10:                               ;   in Loop: Header=BB260_8 Depth=1
	v_lshl_add_u64 v[0:1], v[12:13], 4, v[8:9]
	global_load_dwordx4 v[0:3], v[0:1], off
	s_waitcnt vmcnt(0)
	v_xor_b32_e32 v3, 0x80000000, v3
.LBB260_11:                             ;   in Loop: Header=BB260_8 Depth=1
	s_or_b64 exec, exec, s[14:15]
.LBB260_12:                             ;   in Loop: Header=BB260_8 Depth=1
	s_or_b64 exec, exec, s[12:13]
	v_add_u32_e32 v12, s10, v4
	v_cmp_gt_u64_e32 vcc, s[8:9], v[12:13]
	ds_write_b128 v30, v[0:3]
	s_and_b64 s[14:15], vcc, s[2:3]
	v_mov_b64_e32 v[0:1], 0
	v_mov_b64_e32 v[2:3], 0
	s_and_saveexec_b64 s[12:13], s[14:15]
	s_cbranch_execz .LBB260_7
; %bb.13:                               ;   in Loop: Header=BB260_8 Depth=1
	v_mad_u64_u32 v[0:1], s[14:15], s20, v12, 0
	v_mov_b32_e32 v2, v1
	v_mad_u64_u32 v[2:3], s[14:15], s21, v12, v[2:3]
	v_mov_b32_e32 v1, v2
	v_lshl_add_u64 v[0:1], v[0:1], 4, v[10:11]
	global_load_dwordx4 v[0:3], v[0:1], off
	s_waitcnt vmcnt(0)
	v_xor_b32_e32 v3, 0x80000000, v3
	s_branch .LBB260_7
.LBB260_14:
	s_mul_i32 s0, s31, s4
	s_mul_hi_u32 s1, s30, s4
	s_add_i32 s1, s1, s0
	s_mul_i32 s0, s30, s4
	s_lshl_b64 s[0:1], s[0:1], 4
	v_add_u32_e32 v10, s33, v7
	s_add_u32 s4, s26, s0
	v_ashrrev_i32_e32 v0, 31, v10
	s_addc_u32 s5, s27, s1
	v_cmp_neq_f64_e64 s[0:1], s[36:37], 0
	s_xor_b64 s[6:7], s[6:7], -1
	v_mul_lo_u32 v2, s28, v0
	v_mul_lo_u32 v3, s29, v10
	v_mad_u64_u32 v[0:1], s[8:9], s28, v10, 0
	v_add_u32_e32 v4, s25, v5
	v_add3_u32 v1, v1, v2, v3
	s_or_b64 s[0:1], s[0:1], s[6:7]
	s_waitcnt lgkmcnt(0)
	v_cmp_gt_i32_e64 s[2:3], s24, v10
	v_lshl_add_u64 v[8:9], v[0:1], 4, s[4:5]
	v_cmp_le_i32_e32 vcc, v4, v10
	v_cndmask_b32_e64 v0, 0, 1, s[0:1]
	s_and_b64 s[8:9], s[2:3], vcc
	v_ashrrev_i32_e32 v5, 31, v4
	v_cmp_ne_u32_e64 s[0:1], 1, v0
	s_and_saveexec_b64 s[6:7], s[8:9]
	s_cbranch_execz .LBB260_18
; %bb.15:
	v_mul_f64 v[0:1], s[42:43], v[28:29]
	v_mul_f64 v[2:3], s[40:41], v[28:29]
	v_fma_f64 v[0:1], s[40:41], v[26:27], -v[0:1]
	v_fmac_f64_e32 v[2:3], s[42:43], v[26:27]
	s_and_b64 vcc, exec, s[0:1]
	v_lshl_add_u64 v[6:7], v[4:5], 4, v[8:9]
	s_cbranch_vccnz .LBB260_17
; %bb.16:
	global_load_dwordx4 v[26:29], v[6:7], off
	s_waitcnt vmcnt(0)
	v_mul_f64 v[12:13], s[38:39], v[28:29]
	v_mul_f64 v[28:29], s[36:37], v[28:29]
	v_fma_f64 v[12:13], s[36:37], v[26:27], -v[12:13]
	v_fmac_f64_e32 v[28:29], s[38:39], v[26:27]
	v_add_f64 v[0:1], v[0:1], v[12:13]
	v_add_f64 v[2:3], v[2:3], v[28:29]
.LBB260_17:
	global_store_dwordx4 v[6:7], v[0:3], off
.LBB260_18:
	s_or_b64 exec, exec, s[6:7]
	v_add_u32_e32 v6, 16, v4
	v_cmp_le_i32_e32 vcc, v6, v10
	s_and_b64 s[6:7], s[2:3], vcc
	v_ashrrev_i32_e32 v7, 31, v6
	s_and_saveexec_b64 s[2:3], s[6:7]
	s_cbranch_execz .LBB260_22
; %bb.19:
	v_mul_f64 v[0:1], s[42:43], v[24:25]
	v_mul_f64 v[2:3], s[40:41], v[24:25]
	v_fma_f64 v[0:1], s[40:41], v[22:23], -v[0:1]
	v_fmac_f64_e32 v[2:3], s[42:43], v[22:23]
	s_and_b64 vcc, exec, s[0:1]
	v_lshl_add_u64 v[8:9], v[6:7], 4, v[8:9]
	s_cbranch_vccnz .LBB260_21
; %bb.20:
	global_load_dwordx4 v[22:25], v[8:9], off
	s_waitcnt vmcnt(0)
	v_mul_f64 v[12:13], s[38:39], v[24:25]
	v_mul_f64 v[24:25], s[36:37], v[24:25]
	v_fma_f64 v[12:13], s[36:37], v[22:23], -v[12:13]
	v_fmac_f64_e32 v[24:25], s[38:39], v[22:23]
	v_add_f64 v[0:1], v[0:1], v[12:13]
	v_add_f64 v[2:3], v[2:3], v[24:25]
.LBB260_21:
	global_store_dwordx4 v[8:9], v[0:3], off
.LBB260_22:
	s_or_b64 exec, exec, s[2:3]
	v_add_u32_e32 v10, 16, v10
	v_ashrrev_i32_e32 v0, 31, v10
	v_mul_lo_u32 v2, s28, v0
	v_mul_lo_u32 v3, s29, v10
	v_mad_u64_u32 v[0:1], s[6:7], s28, v10, 0
	v_cmp_gt_i32_e64 s[2:3], s24, v10
	v_add3_u32 v1, v1, v2, v3
	v_cmp_le_i32_e32 vcc, v4, v10
	v_lshl_add_u64 v[8:9], v[0:1], 4, s[4:5]
	s_and_b64 s[6:7], s[2:3], vcc
	s_and_saveexec_b64 s[4:5], s[6:7]
	s_cbranch_execz .LBB260_26
; %bb.23:
	v_mul_f64 v[0:1], s[42:43], v[20:21]
	v_mul_f64 v[2:3], s[40:41], v[20:21]
	v_fma_f64 v[0:1], s[40:41], v[18:19], -v[0:1]
	v_fmac_f64_e32 v[2:3], s[42:43], v[18:19]
	s_and_b64 vcc, exec, s[0:1]
	v_lshl_add_u64 v[4:5], v[4:5], 4, v[8:9]
	s_cbranch_vccnz .LBB260_25
; %bb.24:
	global_load_dwordx4 v[18:21], v[4:5], off
	s_waitcnt vmcnt(0)
	v_mul_f64 v[12:13], s[38:39], v[20:21]
	v_mul_f64 v[20:21], s[36:37], v[20:21]
	v_fma_f64 v[12:13], s[36:37], v[18:19], -v[12:13]
	v_fmac_f64_e32 v[20:21], s[38:39], v[18:19]
	v_add_f64 v[0:1], v[0:1], v[12:13]
	v_add_f64 v[2:3], v[2:3], v[20:21]
.LBB260_25:
	global_store_dwordx4 v[4:5], v[0:3], off
.LBB260_26:
	s_or_b64 exec, exec, s[4:5]
	v_cmp_le_i32_e32 vcc, v6, v10
	s_and_b64 s[2:3], s[2:3], vcc
	s_and_saveexec_b64 s[4:5], s[2:3]
	s_cbranch_execz .LBB260_30
; %bb.27:
	v_mul_f64 v[0:1], s[42:43], v[14:15]
	v_mul_f64 v[2:3], s[40:41], v[14:15]
	v_fma_f64 v[0:1], s[40:41], v[16:17], -v[0:1]
	v_fmac_f64_e32 v[2:3], s[42:43], v[16:17]
	s_and_b64 vcc, exec, s[0:1]
	v_lshl_add_u64 v[4:5], v[6:7], 4, v[8:9]
	s_cbranch_vccnz .LBB260_29
; %bb.28:
	global_load_dwordx4 v[6:9], v[4:5], off
	s_waitcnt vmcnt(0)
	v_mul_f64 v[10:11], s[38:39], v[8:9]
	v_mul_f64 v[8:9], s[36:37], v[8:9]
	v_fma_f64 v[10:11], s[36:37], v[6:7], -v[10:11]
	v_fmac_f64_e32 v[8:9], s[38:39], v[6:7]
	v_add_f64 v[0:1], v[0:1], v[10:11]
	v_add_f64 v[2:3], v[2:3], v[8:9]
.LBB260_29:
	global_store_dwordx4 v[4:5], v[0:3], off
.LBB260_30:
	s_endpgm
	.section	.rodata,"a",@progbits
	.p2align	6, 0x0
	.amdhsa_kernel _ZL29rocblas_internal_gemmt_kernelIlLi16ELi32ELi8ELc67ELc67ELc85ELb1ELb1E19rocblas_complex_numIdEPKS1_S3_PS1_EviT_T9_T10_S5_lS7_S5_lS6_T11_S5_li
		.amdhsa_group_segment_fixed_size 8192
		.amdhsa_private_segment_fixed_size 0
		.amdhsa_kernarg_size 108
		.amdhsa_user_sgpr_count 2
		.amdhsa_user_sgpr_dispatch_ptr 0
		.amdhsa_user_sgpr_queue_ptr 0
		.amdhsa_user_sgpr_kernarg_segment_ptr 1
		.amdhsa_user_sgpr_dispatch_id 0
		.amdhsa_user_sgpr_kernarg_preload_length 0
		.amdhsa_user_sgpr_kernarg_preload_offset 0
		.amdhsa_user_sgpr_private_segment_size 0
		.amdhsa_uses_dynamic_stack 0
		.amdhsa_enable_private_segment 0
		.amdhsa_system_sgpr_workgroup_id_x 1
		.amdhsa_system_sgpr_workgroup_id_y 1
		.amdhsa_system_sgpr_workgroup_id_z 1
		.amdhsa_system_sgpr_workgroup_info 0
		.amdhsa_system_vgpr_workitem_id 1
		.amdhsa_next_free_vgpr 60
		.amdhsa_next_free_sgpr 44
		.amdhsa_accum_offset 60
		.amdhsa_reserve_vcc 1
		.amdhsa_float_round_mode_32 0
		.amdhsa_float_round_mode_16_64 0
		.amdhsa_float_denorm_mode_32 3
		.amdhsa_float_denorm_mode_16_64 3
		.amdhsa_dx10_clamp 1
		.amdhsa_ieee_mode 1
		.amdhsa_fp16_overflow 0
		.amdhsa_tg_split 0
		.amdhsa_exception_fp_ieee_invalid_op 0
		.amdhsa_exception_fp_denorm_src 0
		.amdhsa_exception_fp_ieee_div_zero 0
		.amdhsa_exception_fp_ieee_overflow 0
		.amdhsa_exception_fp_ieee_underflow 0
		.amdhsa_exception_fp_ieee_inexact 0
		.amdhsa_exception_int_div_zero 0
	.end_amdhsa_kernel
	.section	.text._ZL29rocblas_internal_gemmt_kernelIlLi16ELi32ELi8ELc67ELc67ELc85ELb1ELb1E19rocblas_complex_numIdEPKS1_S3_PS1_EviT_T9_T10_S5_lS7_S5_lS6_T11_S5_li,"axG",@progbits,_ZL29rocblas_internal_gemmt_kernelIlLi16ELi32ELi8ELc67ELc67ELc85ELb1ELb1E19rocblas_complex_numIdEPKS1_S3_PS1_EviT_T9_T10_S5_lS7_S5_lS6_T11_S5_li,comdat
.Lfunc_end260:
	.size	_ZL29rocblas_internal_gemmt_kernelIlLi16ELi32ELi8ELc67ELc67ELc85ELb1ELb1E19rocblas_complex_numIdEPKS1_S3_PS1_EviT_T9_T10_S5_lS7_S5_lS6_T11_S5_li, .Lfunc_end260-_ZL29rocblas_internal_gemmt_kernelIlLi16ELi32ELi8ELc67ELc67ELc85ELb1ELb1E19rocblas_complex_numIdEPKS1_S3_PS1_EviT_T9_T10_S5_lS7_S5_lS6_T11_S5_li
                                        ; -- End function
	.set _ZL29rocblas_internal_gemmt_kernelIlLi16ELi32ELi8ELc67ELc67ELc85ELb1ELb1E19rocblas_complex_numIdEPKS1_S3_PS1_EviT_T9_T10_S5_lS7_S5_lS6_T11_S5_li.num_vgpr, 60
	.set _ZL29rocblas_internal_gemmt_kernelIlLi16ELi32ELi8ELc67ELc67ELc85ELb1ELb1E19rocblas_complex_numIdEPKS1_S3_PS1_EviT_T9_T10_S5_lS7_S5_lS6_T11_S5_li.num_agpr, 0
	.set _ZL29rocblas_internal_gemmt_kernelIlLi16ELi32ELi8ELc67ELc67ELc85ELb1ELb1E19rocblas_complex_numIdEPKS1_S3_PS1_EviT_T9_T10_S5_lS7_S5_lS6_T11_S5_li.numbered_sgpr, 44
	.set _ZL29rocblas_internal_gemmt_kernelIlLi16ELi32ELi8ELc67ELc67ELc85ELb1ELb1E19rocblas_complex_numIdEPKS1_S3_PS1_EviT_T9_T10_S5_lS7_S5_lS6_T11_S5_li.num_named_barrier, 0
	.set _ZL29rocblas_internal_gemmt_kernelIlLi16ELi32ELi8ELc67ELc67ELc85ELb1ELb1E19rocblas_complex_numIdEPKS1_S3_PS1_EviT_T9_T10_S5_lS7_S5_lS6_T11_S5_li.private_seg_size, 0
	.set _ZL29rocblas_internal_gemmt_kernelIlLi16ELi32ELi8ELc67ELc67ELc85ELb1ELb1E19rocblas_complex_numIdEPKS1_S3_PS1_EviT_T9_T10_S5_lS7_S5_lS6_T11_S5_li.uses_vcc, 1
	.set _ZL29rocblas_internal_gemmt_kernelIlLi16ELi32ELi8ELc67ELc67ELc85ELb1ELb1E19rocblas_complex_numIdEPKS1_S3_PS1_EviT_T9_T10_S5_lS7_S5_lS6_T11_S5_li.uses_flat_scratch, 0
	.set _ZL29rocblas_internal_gemmt_kernelIlLi16ELi32ELi8ELc67ELc67ELc85ELb1ELb1E19rocblas_complex_numIdEPKS1_S3_PS1_EviT_T9_T10_S5_lS7_S5_lS6_T11_S5_li.has_dyn_sized_stack, 0
	.set _ZL29rocblas_internal_gemmt_kernelIlLi16ELi32ELi8ELc67ELc67ELc85ELb1ELb1E19rocblas_complex_numIdEPKS1_S3_PS1_EviT_T9_T10_S5_lS7_S5_lS6_T11_S5_li.has_recursion, 0
	.set _ZL29rocblas_internal_gemmt_kernelIlLi16ELi32ELi8ELc67ELc67ELc85ELb1ELb1E19rocblas_complex_numIdEPKS1_S3_PS1_EviT_T9_T10_S5_lS7_S5_lS6_T11_S5_li.has_indirect_call, 0
	.section	.AMDGPU.csdata,"",@progbits
; Kernel info:
; codeLenInByte = 3136
; TotalNumSgprs: 50
; NumVgprs: 60
; NumAgprs: 0
; TotalNumVgprs: 60
; ScratchSize: 0
; MemoryBound: 1
; FloatMode: 240
; IeeeMode: 1
; LDSByteSize: 8192 bytes/workgroup (compile time only)
; SGPRBlocks: 6
; VGPRBlocks: 7
; NumSGPRsForWavesPerEU: 50
; NumVGPRsForWavesPerEU: 60
; AccumOffset: 60
; Occupancy: 8
; WaveLimiterHint : 0
; COMPUTE_PGM_RSRC2:SCRATCH_EN: 0
; COMPUTE_PGM_RSRC2:USER_SGPR: 2
; COMPUTE_PGM_RSRC2:TRAP_HANDLER: 0
; COMPUTE_PGM_RSRC2:TGID_X_EN: 1
; COMPUTE_PGM_RSRC2:TGID_Y_EN: 1
; COMPUTE_PGM_RSRC2:TGID_Z_EN: 1
; COMPUTE_PGM_RSRC2:TIDIG_COMP_CNT: 1
; COMPUTE_PGM_RSRC3_GFX90A:ACCUM_OFFSET: 14
; COMPUTE_PGM_RSRC3_GFX90A:TG_SPLIT: 0
	.section	.text._ZL29rocblas_internal_gemmt_kernelIlLi16ELi32ELi8ELc78ELc78ELc76ELb0ELb0E19rocblas_complex_numIdEPKS1_S3_PS1_EviT_T9_T10_S5_lS7_S5_lS6_T11_S5_li,"axG",@progbits,_ZL29rocblas_internal_gemmt_kernelIlLi16ELi32ELi8ELc78ELc78ELc76ELb0ELb0E19rocblas_complex_numIdEPKS1_S3_PS1_EviT_T9_T10_S5_lS7_S5_lS6_T11_S5_li,comdat
	.globl	_ZL29rocblas_internal_gemmt_kernelIlLi16ELi32ELi8ELc78ELc78ELc76ELb0ELb0E19rocblas_complex_numIdEPKS1_S3_PS1_EviT_T9_T10_S5_lS7_S5_lS6_T11_S5_li ; -- Begin function _ZL29rocblas_internal_gemmt_kernelIlLi16ELi32ELi8ELc78ELc78ELc76ELb0ELb0E19rocblas_complex_numIdEPKS1_S3_PS1_EviT_T9_T10_S5_lS7_S5_lS6_T11_S5_li
	.p2align	8
	.type	_ZL29rocblas_internal_gemmt_kernelIlLi16ELi32ELi8ELc78ELc78ELc76ELb0ELb0E19rocblas_complex_numIdEPKS1_S3_PS1_EviT_T9_T10_S5_lS7_S5_lS6_T11_S5_li,@function
_ZL29rocblas_internal_gemmt_kernelIlLi16ELi32ELi8ELc78ELc78ELc76ELb0ELb0E19rocblas_complex_numIdEPKS1_S3_PS1_EviT_T9_T10_S5_lS7_S5_lS6_T11_S5_li: ; @_ZL29rocblas_internal_gemmt_kernelIlLi16ELi32ELi8ELc78ELc78ELc76ELb0ELb0E19rocblas_complex_numIdEPKS1_S3_PS1_EviT_T9_T10_S5_lS7_S5_lS6_T11_S5_li
; %bb.0:
	s_load_dwordx8 s[24:31], s[0:1], 0x48
	s_load_dwordx16 s[8:23], s[0:1], 0x8
	s_waitcnt lgkmcnt(0)
	s_load_dwordx4 s[36:39], s[24:25], 0x0
	s_load_dwordx4 s[40:43], s[10:11], 0x0
	s_mov_b64 s[24:25], 0
	s_waitcnt lgkmcnt(0)
	v_cmp_eq_f64_e64 s[10:11], s[36:37], 1.0
	v_cmp_eq_f64_e64 s[6:7], s[38:39], 0
	s_and_b64 s[10:11], s[10:11], s[6:7]
	s_andn2_b64 vcc, exec, s[10:11]
	s_mov_b64 s[10:11], -1
	s_cbranch_vccnz .LBB261_4
; %bb.1:
	s_cmp_lg_u64 s[8:9], 0
	s_cbranch_scc0 .LBB261_3
; %bb.2:
	v_cmp_neq_f64_e64 s[10:11], s[40:41], 0
	v_cmp_neq_f64_e64 s[24:25], s[42:43], 0
	s_or_b64 s[24:25], s[10:11], s[24:25]
.LBB261_3:
	s_mov_b64 s[10:11], s[24:25]
.LBB261_4:
	s_and_b64 vcc, exec, s[10:11]
	s_cbranch_vccz .LBB261_34
; %bb.5:
	s_load_dword s24, s[0:1], 0x0
	s_lshl_b32 s5, s2, 5
	s_lshl_b32 s25, s3, 5
	v_cmp_eq_f64_e64 s[0:1], s[40:41], 0
	v_cmp_eq_f64_e64 s[2:3], s[42:43], 0
	s_and_b64 s[0:1], s[0:1], s[2:3]
	v_cmp_lt_i64_e64 s[2:3], s[8:9], 1
	s_or_b64 s[0:1], s[0:1], s[2:3]
	v_and_b32_e32 v1, 0x3ff, v0
	v_bfe_u32 v3, v0, 10, 10
	v_mov_b64_e32 v[24:25], 0
	s_and_b64 vcc, exec, s[0:1]
	v_mov_b64_e32 v[26:27], 0
	v_mov_b64_e32 v[16:17], 0
	;; [unrolled: 1-line block ×7, first 2 shown]
	s_cbranch_vccnz .LBB261_18
; %bb.6:
	s_mul_i32 s0, s23, s4
	s_mul_hi_u32 s1, s22, s4
	s_add_i32 s1, s1, s0
	s_mul_i32 s0, s22, s4
	s_lshl_b64 s[0:1], s[0:1], 4
	s_add_u32 s10, s18, s0
	s_addc_u32 s11, s19, s1
	s_mul_i32 s0, s17, s4
	s_mul_hi_u32 s1, s16, s4
	v_lshl_add_u32 v4, v3, 4, v1
	v_and_b32_e32 v0, 7, v1
	s_add_i32 s1, s1, s0
	s_mul_i32 s0, s16, s4
	v_lshrrev_b32_e32 v6, 3, v4
	v_and_b32_e32 v5, 31, v4
	s_lshl_b64 s[0:1], s[0:1], 4
	v_lshlrev_b32_e32 v8, 4, v0
	v_lshrrev_b32_e32 v2, 5, v4
	v_add_u32_e32 v7, s25, v6
	v_or_b32_e32 v4, s5, v5
	s_add_u32 s12, s12, s0
	v_lshlrev_b32_e32 v5, 4, v5
	v_lshl_or_b32 v6, v6, 7, v8
	s_addc_u32 s13, s13, s1
	v_lshl_or_b32 v28, v2, 9, v5
	v_ashrrev_i32_e32 v5, 31, v4
	v_add_u32_e32 v29, 0x1000, v6
	v_ashrrev_i32_e32 v6, 31, v7
	s_waitcnt lgkmcnt(0)
	v_cmp_gt_i32_e64 s[0:1], s24, v4
	v_cmp_le_i32_e64 s[2:3], s24, v4
	v_lshl_add_u64 v[4:5], v[4:5], 4, s[12:13]
	v_cmp_gt_i32_e32 vcc, s24, v7
	v_mul_lo_u32 v8, s20, v6
	v_mul_lo_u32 v9, s21, v7
	v_mad_u64_u32 v[6:7], s[12:13], s20, v7, 0
	v_add3_u32 v7, v7, v8, v9
	v_mov_b32_e32 v8, 0x1000
	v_mov_b32_e32 v9, 0
	v_lshl_add_u64 v[6:7], v[6:7], 4, s[10:11]
	v_lshlrev_b32_e32 v30, 4, v1
	v_lshl_add_u32 v31, v3, 7, v8
	v_mov_b64_e32 v[12:13], 0
	s_mov_b64 s[10:11], 0
	s_xor_b64 s[12:13], vcc, -1
	v_mov_b32_e32 v32, v9
	v_mov_b32_e32 v33, v9
	;; [unrolled: 1-line block ×4, first 2 shown]
	v_mov_b64_e32 v[14:15], 0
	v_mov_b64_e32 v[22:23], 0
	;; [unrolled: 1-line block ×7, first 2 shown]
                                        ; implicit-def: $vgpr10_vgpr11
	s_branch .LBB261_8
.LBB261_7:                              ;   in Loop: Header=BB261_8 Depth=1
	s_or_b64 exec, exec, s[16:17]
	s_waitcnt lgkmcnt(0)
	s_barrier
	ds_read_b128 v[36:39], v31
	ds_read_b128 v[40:43], v31 offset:16
	ds_read_b128 v[44:47], v31 offset:32
	;; [unrolled: 1-line block ×3, first 2 shown]
	ds_read_b128 v[52:55], v30
	s_add_u32 s10, s10, 8
	s_addc_u32 s11, s11, 0
	s_waitcnt lgkmcnt(0)
	v_mul_f64 v[56:57], v[38:39], v[54:55]
	v_mul_f64 v[58:59], v[36:37], v[54:55]
	v_fma_f64 v[56:57], v[36:37], v[52:53], -v[56:57]
	v_fmac_f64_e32 v[58:59], v[38:39], v[52:53]
	v_add_f64 v[56:57], v[24:25], v[56:57]
	v_add_f64 v[58:59], v[58:59], v[26:27]
	ds_read_b128 v[24:27], v30 offset:256
	s_waitcnt lgkmcnt(0)
	v_mul_f64 v[60:61], v[38:39], v[26:27]
	v_fma_f64 v[60:61], v[36:37], v[24:25], -v[60:61]
	v_mul_f64 v[36:37], v[36:37], v[26:27]
	v_fmac_f64_e32 v[36:37], v[38:39], v[24:25]
	v_add_f64 v[38:39], v[16:17], v[60:61]
	v_add_f64 v[36:37], v[36:37], v[18:19]
	ds_read_b128 v[16:19], v31 offset:2048
	s_waitcnt lgkmcnt(0)
	v_mul_f64 v[60:61], v[18:19], v[54:55]
	v_fma_f64 v[60:61], v[16:17], v[52:53], -v[60:61]
	v_mul_f64 v[54:55], v[16:17], v[54:55]
	v_fmac_f64_e32 v[54:55], v[18:19], v[52:53]
	v_add_f64 v[52:53], v[20:21], v[60:61]
	v_mul_f64 v[20:21], v[18:19], v[26:27]
	v_fma_f64 v[20:21], v[16:17], v[24:25], -v[20:21]
	v_mul_f64 v[16:17], v[16:17], v[26:27]
	v_fmac_f64_e32 v[16:17], v[18:19], v[24:25]
	v_add_f64 v[24:25], v[14:15], v[20:21]
	v_add_f64 v[26:27], v[16:17], v[12:13]
	ds_read_b128 v[12:15], v30 offset:512
	v_add_f64 v[54:55], v[54:55], v[22:23]
	s_waitcnt lgkmcnt(0)
	v_mul_f64 v[16:17], v[42:43], v[14:15]
	v_mul_f64 v[18:19], v[40:41], v[14:15]
	v_fma_f64 v[16:17], v[40:41], v[12:13], -v[16:17]
	v_fmac_f64_e32 v[18:19], v[42:43], v[12:13]
	v_add_f64 v[56:57], v[56:57], v[16:17]
	v_add_f64 v[58:59], v[18:19], v[58:59]
	ds_read_b128 v[16:19], v30 offset:768
	s_waitcnt lgkmcnt(0)
	v_mul_f64 v[20:21], v[42:43], v[18:19]
	v_mul_f64 v[22:23], v[40:41], v[18:19]
	v_fma_f64 v[20:21], v[40:41], v[16:17], -v[20:21]
	v_fmac_f64_e32 v[22:23], v[42:43], v[16:17]
	v_add_f64 v[38:39], v[38:39], v[20:21]
	v_add_f64 v[36:37], v[22:23], v[36:37]
	ds_read_b128 v[20:23], v31 offset:2064
	s_waitcnt lgkmcnt(0)
	v_mul_f64 v[40:41], v[22:23], v[14:15]
	v_mul_f64 v[14:15], v[20:21], v[14:15]
	v_fmac_f64_e32 v[14:15], v[22:23], v[12:13]
	v_fma_f64 v[40:41], v[20:21], v[12:13], -v[40:41]
	v_add_f64 v[42:43], v[14:15], v[54:55]
	v_mul_f64 v[12:13], v[22:23], v[18:19]
	v_mul_f64 v[14:15], v[20:21], v[18:19]
	v_fma_f64 v[12:13], v[20:21], v[16:17], -v[12:13]
	v_fmac_f64_e32 v[14:15], v[22:23], v[16:17]
	v_add_f64 v[24:25], v[24:25], v[12:13]
	v_add_f64 v[26:27], v[14:15], v[26:27]
	ds_read_b128 v[12:15], v30 offset:1024
	v_add_f64 v[40:41], v[52:53], v[40:41]
	s_waitcnt lgkmcnt(0)
	v_mul_f64 v[16:17], v[46:47], v[14:15]
	v_mul_f64 v[18:19], v[44:45], v[14:15]
	v_fma_f64 v[16:17], v[44:45], v[12:13], -v[16:17]
	v_fmac_f64_e32 v[18:19], v[46:47], v[12:13]
	v_add_f64 v[52:53], v[56:57], v[16:17]
	v_add_f64 v[54:55], v[18:19], v[58:59]
	ds_read_b128 v[16:19], v30 offset:1280
	s_waitcnt lgkmcnt(0)
	v_mul_f64 v[20:21], v[46:47], v[18:19]
	v_mul_f64 v[22:23], v[44:45], v[18:19]
	v_fma_f64 v[20:21], v[44:45], v[16:17], -v[20:21]
	v_fmac_f64_e32 v[22:23], v[46:47], v[16:17]
	v_add_f64 v[38:39], v[38:39], v[20:21]
	v_add_f64 v[36:37], v[22:23], v[36:37]
	ds_read_b128 v[20:23], v31 offset:2080
	s_waitcnt lgkmcnt(0)
	v_mul_f64 v[44:45], v[22:23], v[14:15]
	v_mul_f64 v[14:15], v[20:21], v[14:15]
	v_fmac_f64_e32 v[14:15], v[22:23], v[12:13]
	v_fma_f64 v[44:45], v[20:21], v[12:13], -v[44:45]
	v_add_f64 v[42:43], v[14:15], v[42:43]
	v_mul_f64 v[12:13], v[22:23], v[18:19]
	v_mul_f64 v[14:15], v[20:21], v[18:19]
	v_fma_f64 v[12:13], v[20:21], v[16:17], -v[12:13]
	;; [unrolled: 30-line block ×3, first 2 shown]
	v_fmac_f64_e32 v[14:15], v[22:23], v[16:17]
	v_add_f64 v[24:25], v[24:25], v[12:13]
	v_add_f64 v[26:27], v[14:15], v[26:27]
	ds_read_b128 v[12:15], v31 offset:64
	ds_read_b128 v[16:19], v30 offset:2048
	v_add_f64 v[40:41], v[40:41], v[48:49]
	s_waitcnt lgkmcnt(0)
	v_mul_f64 v[20:21], v[14:15], v[18:19]
	v_mul_f64 v[22:23], v[12:13], v[18:19]
	v_fma_f64 v[20:21], v[12:13], v[16:17], -v[20:21]
	v_fmac_f64_e32 v[22:23], v[14:15], v[16:17]
	v_add_f64 v[44:45], v[44:45], v[20:21]
	v_add_f64 v[46:47], v[22:23], v[46:47]
	ds_read_b128 v[20:23], v30 offset:2304
	s_waitcnt lgkmcnt(0)
	v_mul_f64 v[48:49], v[14:15], v[22:23]
	v_fma_f64 v[48:49], v[12:13], v[20:21], -v[48:49]
	v_mul_f64 v[12:13], v[12:13], v[22:23]
	v_fmac_f64_e32 v[12:13], v[14:15], v[20:21]
	v_add_f64 v[36:37], v[12:13], v[36:37]
	ds_read_b128 v[12:15], v31 offset:2112
	v_add_f64 v[38:39], v[38:39], v[48:49]
	s_waitcnt lgkmcnt(0)
	v_mul_f64 v[48:49], v[14:15], v[18:19]
	v_mul_f64 v[18:19], v[12:13], v[18:19]
	v_fma_f64 v[48:49], v[12:13], v[16:17], -v[48:49]
	v_fmac_f64_e32 v[18:19], v[14:15], v[16:17]
	v_mul_f64 v[16:17], v[14:15], v[22:23]
	v_fma_f64 v[16:17], v[12:13], v[20:21], -v[16:17]
	v_mul_f64 v[12:13], v[12:13], v[22:23]
	v_fmac_f64_e32 v[12:13], v[14:15], v[20:21]
	v_add_f64 v[42:43], v[18:19], v[42:43]
	v_add_f64 v[24:25], v[24:25], v[16:17]
	v_add_f64 v[26:27], v[12:13], v[26:27]
	ds_read_b128 v[12:15], v31 offset:80
	ds_read_b128 v[16:19], v30 offset:2560
	v_add_f64 v[40:41], v[40:41], v[48:49]
	s_waitcnt lgkmcnt(0)
	v_mul_f64 v[20:21], v[14:15], v[18:19]
	v_mul_f64 v[22:23], v[12:13], v[18:19]
	v_fma_f64 v[20:21], v[12:13], v[16:17], -v[20:21]
	v_fmac_f64_e32 v[22:23], v[14:15], v[16:17]
	v_add_f64 v[44:45], v[44:45], v[20:21]
	v_add_f64 v[46:47], v[22:23], v[46:47]
	ds_read_b128 v[20:23], v30 offset:2816
	s_waitcnt lgkmcnt(0)
	v_mul_f64 v[48:49], v[14:15], v[22:23]
	v_fma_f64 v[48:49], v[12:13], v[20:21], -v[48:49]
	v_mul_f64 v[12:13], v[12:13], v[22:23]
	v_fmac_f64_e32 v[12:13], v[14:15], v[20:21]
	v_add_f64 v[36:37], v[12:13], v[36:37]
	ds_read_b128 v[12:15], v31 offset:2128
	v_add_f64 v[38:39], v[38:39], v[48:49]
	s_waitcnt lgkmcnt(0)
	v_mul_f64 v[48:49], v[14:15], v[18:19]
	v_mul_f64 v[18:19], v[12:13], v[18:19]
	v_fma_f64 v[48:49], v[12:13], v[16:17], -v[48:49]
	v_fmac_f64_e32 v[18:19], v[14:15], v[16:17]
	v_mul_f64 v[16:17], v[14:15], v[22:23]
	v_fma_f64 v[16:17], v[12:13], v[20:21], -v[16:17]
	v_mul_f64 v[12:13], v[12:13], v[22:23]
	v_fmac_f64_e32 v[12:13], v[14:15], v[20:21]
	v_add_f64 v[42:43], v[18:19], v[42:43]
	;; [unrolled: 31-line block ×3, first 2 shown]
	ds_read_b128 v[12:15], v31 offset:112
	ds_read_b128 v[20:23], v30 offset:3584
	v_add_f64 v[40:41], v[40:41], v[36:37]
	ds_read_b128 v[36:39], v30 offset:3840
	v_add_f64 v[52:53], v[24:25], v[16:17]
	v_add_f64 v[42:43], v[18:19], v[42:43]
	s_waitcnt lgkmcnt(1)
	v_mul_f64 v[16:17], v[14:15], v[22:23]
	v_fma_f64 v[16:17], v[12:13], v[20:21], -v[16:17]
	v_add_f64 v[24:25], v[44:45], v[16:17]
	s_waitcnt lgkmcnt(0)
	v_mul_f64 v[16:17], v[14:15], v[38:39]
	v_mul_f64 v[18:19], v[12:13], v[22:23]
	v_fma_f64 v[16:17], v[12:13], v[36:37], -v[16:17]
	v_mul_f64 v[12:13], v[12:13], v[38:39]
	v_fmac_f64_e32 v[18:19], v[14:15], v[20:21]
	v_fmac_f64_e32 v[12:13], v[14:15], v[36:37]
	v_add_f64 v[26:27], v[18:19], v[46:47]
	v_add_f64 v[18:19], v[12:13], v[50:51]
	ds_read_b128 v[12:15], v31 offset:2160
	v_add_f64 v[16:17], v[48:49], v[16:17]
	s_waitcnt lgkmcnt(0)
	s_barrier
	v_mul_f64 v[44:45], v[14:15], v[22:23]
	v_fma_f64 v[44:45], v[12:13], v[20:21], -v[44:45]
	v_mul_f64 v[22:23], v[12:13], v[22:23]
	v_fmac_f64_e32 v[22:23], v[14:15], v[20:21]
	v_add_f64 v[20:21], v[40:41], v[44:45]
	v_mul_f64 v[40:41], v[14:15], v[38:39]
	v_fma_f64 v[40:41], v[12:13], v[36:37], -v[40:41]
	v_mul_f64 v[12:13], v[12:13], v[38:39]
	v_fmac_f64_e32 v[12:13], v[14:15], v[36:37]
	v_mov_b64_e32 v[36:37], s[10:11]
	v_cmp_gt_i64_e32 vcc, s[8:9], v[36:37]
	v_add_f64 v[22:23], v[22:23], v[42:43]
	v_add_f64 v[14:15], v[52:53], v[40:41]
	;; [unrolled: 1-line block ×3, first 2 shown]
	s_cbranch_vccz .LBB261_18
.LBB261_8:                              ; =>This Inner Loop Header: Depth=1
	s_mov_b64 s[20:21], s[2:3]
	s_mov_b64 s[16:17], 0
	s_and_saveexec_b64 s[18:19], s[0:1]
	s_cbranch_execnz .LBB261_16
; %bb.9:                                ;   in Loop: Header=BB261_8 Depth=1
	s_or_b64 exec, exec, s[18:19]
	s_and_saveexec_b64 s[18:19], s[20:21]
	s_xor_b64 s[18:19], exec, s[18:19]
	s_cbranch_execnz .LBB261_17
.LBB261_10:                             ;   in Loop: Header=BB261_8 Depth=1
	s_or_b64 exec, exec, s[18:19]
	s_and_saveexec_b64 s[18:19], s[16:17]
	s_cbranch_execz .LBB261_12
.LBB261_11:                             ;   in Loop: Header=BB261_8 Depth=1
	v_mul_lo_u32 v8, s15, v10
	v_mul_lo_u32 v38, s14, v11
	v_mad_u64_u32 v[36:37], s[16:17], s14, v10, 0
	v_add3_u32 v37, v37, v38, v8
	v_lshl_add_u64 v[36:37], v[36:37], 4, v[4:5]
	global_load_dwordx4 v[36:39], v[36:37], off
	s_waitcnt vmcnt(0)
	ds_write2_b64 v28, v[36:37], v[38:39] offset1:1
.LBB261_12:                             ;   in Loop: Header=BB261_8 Depth=1
	s_or_b64 exec, exec, s[18:19]
	v_add_u32_e32 v8, s10, v0
	v_cmp_le_u64_e32 vcc, s[8:9], v[8:9]
	s_or_b64 s[16:17], vcc, s[12:13]
	s_and_saveexec_b64 s[18:19], s[16:17]
	s_xor_b64 s[16:17], exec, s[18:19]
; %bb.13:                               ;   in Loop: Header=BB261_8 Depth=1
	ds_write_b128 v29, v[32:35]
; %bb.14:                               ;   in Loop: Header=BB261_8 Depth=1
	s_andn2_saveexec_b64 s[16:17], s[16:17]
	s_cbranch_execz .LBB261_7
; %bb.15:                               ;   in Loop: Header=BB261_8 Depth=1
	v_lshl_add_u64 v[36:37], v[8:9], 4, v[6:7]
	global_load_dwordx4 v[36:39], v[36:37], off
	s_waitcnt vmcnt(0)
	ds_write2_b64 v29, v[36:37], v[38:39] offset1:1
	s_branch .LBB261_7
.LBB261_16:                             ;   in Loop: Header=BB261_8 Depth=1
	v_add_u32_e32 v8, s10, v2
	v_cmp_le_u64_e32 vcc, s[8:9], v[8:9]
	s_andn2_b64 s[20:21], s[2:3], exec
	s_and_b64 s[22:23], vcc, exec
	s_mov_b64 s[16:17], exec
	s_or_b64 s[20:21], s[20:21], s[22:23]
	v_mov_b64_e32 v[10:11], v[8:9]
	s_or_b64 exec, exec, s[18:19]
	s_and_saveexec_b64 s[18:19], s[20:21]
	s_xor_b64 s[18:19], exec, s[18:19]
	s_cbranch_execz .LBB261_10
.LBB261_17:                             ;   in Loop: Header=BB261_8 Depth=1
	ds_write_b128 v28, v[32:35]
	s_andn2_b64 s[16:17], s[16:17], exec
	s_or_b64 exec, exec, s[18:19]
	s_and_saveexec_b64 s[18:19], s[16:17]
	s_cbranch_execnz .LBB261_11
	s_branch .LBB261_12
.LBB261_18:
	s_mul_i32 s0, s31, s4
	s_mul_hi_u32 s1, s30, s4
	s_add_i32 s1, s1, s0
	s_mul_i32 s0, s30, s4
	s_lshl_b64 s[0:1], s[0:1], 4
	v_add_u32_e32 v10, s25, v3
	s_add_u32 s8, s26, s0
	v_ashrrev_i32_e32 v0, 31, v10
	s_addc_u32 s9, s27, s1
	v_add_u32_e32 v4, s5, v1
	v_cmp_neq_f64_e64 s[0:1], s[36:37], 0
	s_xor_b64 s[4:5], s[6:7], -1
	v_mul_lo_u32 v2, s28, v0
	v_mul_lo_u32 v3, s29, v10
	v_mad_u64_u32 v[0:1], s[2:3], s28, v10, 0
	v_add3_u32 v1, v1, v2, v3
	s_or_b64 s[0:1], s[0:1], s[4:5]
	v_lshl_add_u64 v[8:9], v[0:1], 4, s[8:9]
	v_cmp_le_i32_e32 vcc, v10, v4
	s_waitcnt lgkmcnt(0)
	v_cmp_gt_i32_e64 s[2:3], s24, v4
	v_cndmask_b32_e64 v0, 0, 1, s[0:1]
	s_and_b64 s[6:7], vcc, s[2:3]
	v_ashrrev_i32_e32 v5, 31, v4
	v_cmp_ne_u32_e64 s[0:1], 1, v0
	s_and_saveexec_b64 s[4:5], s[6:7]
	s_cbranch_execz .LBB261_22
; %bb.19:
	v_mul_f64 v[0:1], s[42:43], v[26:27]
	v_mul_f64 v[2:3], s[40:41], v[26:27]
	v_fma_f64 v[0:1], s[40:41], v[24:25], -v[0:1]
	v_fmac_f64_e32 v[2:3], s[42:43], v[24:25]
	s_and_b64 vcc, exec, s[0:1]
	v_lshl_add_u64 v[6:7], v[4:5], 4, v[8:9]
	s_cbranch_vccnz .LBB261_21
; %bb.20:
	global_load_dwordx4 v[24:27], v[6:7], off
	s_waitcnt vmcnt(0)
	v_mul_f64 v[28:29], s[38:39], v[26:27]
	v_mul_f64 v[26:27], s[36:37], v[26:27]
	v_fma_f64 v[28:29], s[36:37], v[24:25], -v[28:29]
	v_fmac_f64_e32 v[26:27], s[38:39], v[24:25]
	v_add_f64 v[0:1], v[0:1], v[28:29]
	v_add_f64 v[2:3], v[2:3], v[26:27]
.LBB261_21:
	global_store_dwordx4 v[6:7], v[0:3], off
.LBB261_22:
	s_or_b64 exec, exec, s[4:5]
	v_add_u32_e32 v6, 16, v4
	v_cmp_le_i32_e32 vcc, v10, v6
	v_cmp_gt_i32_e64 s[4:5], s24, v6
	s_and_b64 s[10:11], vcc, s[4:5]
	v_ashrrev_i32_e32 v7, 31, v6
	s_and_saveexec_b64 s[6:7], s[10:11]
	s_cbranch_execz .LBB261_26
; %bb.23:
	v_mul_f64 v[0:1], s[42:43], v[18:19]
	v_mul_f64 v[2:3], s[40:41], v[18:19]
	v_fma_f64 v[0:1], s[40:41], v[16:17], -v[0:1]
	v_fmac_f64_e32 v[2:3], s[42:43], v[16:17]
	s_and_b64 vcc, exec, s[0:1]
	v_lshl_add_u64 v[8:9], v[6:7], 4, v[8:9]
	s_cbranch_vccnz .LBB261_25
; %bb.24:
	global_load_dwordx4 v[16:19], v[8:9], off
	s_waitcnt vmcnt(0)
	v_mul_f64 v[24:25], s[38:39], v[18:19]
	v_mul_f64 v[18:19], s[36:37], v[18:19]
	v_fma_f64 v[24:25], s[36:37], v[16:17], -v[24:25]
	v_fmac_f64_e32 v[18:19], s[38:39], v[16:17]
	v_add_f64 v[0:1], v[0:1], v[24:25]
	v_add_f64 v[2:3], v[2:3], v[18:19]
.LBB261_25:
	global_store_dwordx4 v[8:9], v[0:3], off
.LBB261_26:
	s_or_b64 exec, exec, s[6:7]
	v_add_u32_e32 v10, 16, v10
	v_ashrrev_i32_e32 v0, 31, v10
	v_mul_lo_u32 v2, s28, v0
	v_mul_lo_u32 v3, s29, v10
	v_mad_u64_u32 v[0:1], s[6:7], s28, v10, 0
	v_add3_u32 v1, v1, v2, v3
	v_cmp_le_i32_e32 vcc, v10, v4
	v_lshl_add_u64 v[8:9], v[0:1], 4, s[8:9]
	s_and_b64 s[6:7], vcc, s[2:3]
	s_and_saveexec_b64 s[2:3], s[6:7]
	s_cbranch_execz .LBB261_30
; %bb.27:
	v_mul_f64 v[0:1], s[42:43], v[22:23]
	v_mul_f64 v[2:3], s[40:41], v[22:23]
	v_fma_f64 v[0:1], s[40:41], v[20:21], -v[0:1]
	v_fmac_f64_e32 v[2:3], s[42:43], v[20:21]
	s_and_b64 vcc, exec, s[0:1]
	v_lshl_add_u64 v[4:5], v[4:5], 4, v[8:9]
	s_cbranch_vccnz .LBB261_29
; %bb.28:
	global_load_dwordx4 v[16:19], v[4:5], off
	s_waitcnt vmcnt(0)
	v_mul_f64 v[20:21], s[38:39], v[18:19]
	v_mul_f64 v[18:19], s[36:37], v[18:19]
	v_fma_f64 v[20:21], s[36:37], v[16:17], -v[20:21]
	v_fmac_f64_e32 v[18:19], s[38:39], v[16:17]
	v_add_f64 v[0:1], v[0:1], v[20:21]
	v_add_f64 v[2:3], v[2:3], v[18:19]
.LBB261_29:
	global_store_dwordx4 v[4:5], v[0:3], off
.LBB261_30:
	s_or_b64 exec, exec, s[2:3]
	v_cmp_le_i32_e32 vcc, v10, v6
	s_and_b64 s[2:3], vcc, s[4:5]
	s_and_saveexec_b64 s[4:5], s[2:3]
	s_cbranch_execz .LBB261_34
; %bb.31:
	v_mul_f64 v[0:1], s[42:43], v[12:13]
	v_mul_f64 v[2:3], s[40:41], v[12:13]
	v_fma_f64 v[0:1], s[40:41], v[14:15], -v[0:1]
	v_fmac_f64_e32 v[2:3], s[42:43], v[14:15]
	s_and_b64 vcc, exec, s[0:1]
	v_lshl_add_u64 v[4:5], v[6:7], 4, v[8:9]
	s_cbranch_vccnz .LBB261_33
; %bb.32:
	global_load_dwordx4 v[6:9], v[4:5], off
	s_waitcnt vmcnt(0)
	v_mul_f64 v[10:11], s[38:39], v[8:9]
	v_mul_f64 v[8:9], s[36:37], v[8:9]
	v_fma_f64 v[10:11], s[36:37], v[6:7], -v[10:11]
	v_fmac_f64_e32 v[8:9], s[38:39], v[6:7]
	v_add_f64 v[0:1], v[0:1], v[10:11]
	v_add_f64 v[2:3], v[2:3], v[8:9]
.LBB261_33:
	global_store_dwordx4 v[4:5], v[0:3], off
.LBB261_34:
	s_endpgm
	.section	.rodata,"a",@progbits
	.p2align	6, 0x0
	.amdhsa_kernel _ZL29rocblas_internal_gemmt_kernelIlLi16ELi32ELi8ELc78ELc78ELc76ELb0ELb0E19rocblas_complex_numIdEPKS1_S3_PS1_EviT_T9_T10_S5_lS7_S5_lS6_T11_S5_li
		.amdhsa_group_segment_fixed_size 8192
		.amdhsa_private_segment_fixed_size 0
		.amdhsa_kernarg_size 108
		.amdhsa_user_sgpr_count 2
		.amdhsa_user_sgpr_dispatch_ptr 0
		.amdhsa_user_sgpr_queue_ptr 0
		.amdhsa_user_sgpr_kernarg_segment_ptr 1
		.amdhsa_user_sgpr_dispatch_id 0
		.amdhsa_user_sgpr_kernarg_preload_length 0
		.amdhsa_user_sgpr_kernarg_preload_offset 0
		.amdhsa_user_sgpr_private_segment_size 0
		.amdhsa_uses_dynamic_stack 0
		.amdhsa_enable_private_segment 0
		.amdhsa_system_sgpr_workgroup_id_x 1
		.amdhsa_system_sgpr_workgroup_id_y 1
		.amdhsa_system_sgpr_workgroup_id_z 1
		.amdhsa_system_sgpr_workgroup_info 0
		.amdhsa_system_vgpr_workitem_id 1
		.amdhsa_next_free_vgpr 62
		.amdhsa_next_free_sgpr 44
		.amdhsa_accum_offset 64
		.amdhsa_reserve_vcc 1
		.amdhsa_float_round_mode_32 0
		.amdhsa_float_round_mode_16_64 0
		.amdhsa_float_denorm_mode_32 3
		.amdhsa_float_denorm_mode_16_64 3
		.amdhsa_dx10_clamp 1
		.amdhsa_ieee_mode 1
		.amdhsa_fp16_overflow 0
		.amdhsa_tg_split 0
		.amdhsa_exception_fp_ieee_invalid_op 0
		.amdhsa_exception_fp_denorm_src 0
		.amdhsa_exception_fp_ieee_div_zero 0
		.amdhsa_exception_fp_ieee_overflow 0
		.amdhsa_exception_fp_ieee_underflow 0
		.amdhsa_exception_fp_ieee_inexact 0
		.amdhsa_exception_int_div_zero 0
	.end_amdhsa_kernel
	.section	.text._ZL29rocblas_internal_gemmt_kernelIlLi16ELi32ELi8ELc78ELc78ELc76ELb0ELb0E19rocblas_complex_numIdEPKS1_S3_PS1_EviT_T9_T10_S5_lS7_S5_lS6_T11_S5_li,"axG",@progbits,_ZL29rocblas_internal_gemmt_kernelIlLi16ELi32ELi8ELc78ELc78ELc76ELb0ELb0E19rocblas_complex_numIdEPKS1_S3_PS1_EviT_T9_T10_S5_lS7_S5_lS6_T11_S5_li,comdat
.Lfunc_end261:
	.size	_ZL29rocblas_internal_gemmt_kernelIlLi16ELi32ELi8ELc78ELc78ELc76ELb0ELb0E19rocblas_complex_numIdEPKS1_S3_PS1_EviT_T9_T10_S5_lS7_S5_lS6_T11_S5_li, .Lfunc_end261-_ZL29rocblas_internal_gemmt_kernelIlLi16ELi32ELi8ELc78ELc78ELc76ELb0ELb0E19rocblas_complex_numIdEPKS1_S3_PS1_EviT_T9_T10_S5_lS7_S5_lS6_T11_S5_li
                                        ; -- End function
	.set _ZL29rocblas_internal_gemmt_kernelIlLi16ELi32ELi8ELc78ELc78ELc76ELb0ELb0E19rocblas_complex_numIdEPKS1_S3_PS1_EviT_T9_T10_S5_lS7_S5_lS6_T11_S5_li.num_vgpr, 62
	.set _ZL29rocblas_internal_gemmt_kernelIlLi16ELi32ELi8ELc78ELc78ELc76ELb0ELb0E19rocblas_complex_numIdEPKS1_S3_PS1_EviT_T9_T10_S5_lS7_S5_lS6_T11_S5_li.num_agpr, 0
	.set _ZL29rocblas_internal_gemmt_kernelIlLi16ELi32ELi8ELc78ELc78ELc76ELb0ELb0E19rocblas_complex_numIdEPKS1_S3_PS1_EviT_T9_T10_S5_lS7_S5_lS6_T11_S5_li.numbered_sgpr, 44
	.set _ZL29rocblas_internal_gemmt_kernelIlLi16ELi32ELi8ELc78ELc78ELc76ELb0ELb0E19rocblas_complex_numIdEPKS1_S3_PS1_EviT_T9_T10_S5_lS7_S5_lS6_T11_S5_li.num_named_barrier, 0
	.set _ZL29rocblas_internal_gemmt_kernelIlLi16ELi32ELi8ELc78ELc78ELc76ELb0ELb0E19rocblas_complex_numIdEPKS1_S3_PS1_EviT_T9_T10_S5_lS7_S5_lS6_T11_S5_li.private_seg_size, 0
	.set _ZL29rocblas_internal_gemmt_kernelIlLi16ELi32ELi8ELc78ELc78ELc76ELb0ELb0E19rocblas_complex_numIdEPKS1_S3_PS1_EviT_T9_T10_S5_lS7_S5_lS6_T11_S5_li.uses_vcc, 1
	.set _ZL29rocblas_internal_gemmt_kernelIlLi16ELi32ELi8ELc78ELc78ELc76ELb0ELb0E19rocblas_complex_numIdEPKS1_S3_PS1_EviT_T9_T10_S5_lS7_S5_lS6_T11_S5_li.uses_flat_scratch, 0
	.set _ZL29rocblas_internal_gemmt_kernelIlLi16ELi32ELi8ELc78ELc78ELc76ELb0ELb0E19rocblas_complex_numIdEPKS1_S3_PS1_EviT_T9_T10_S5_lS7_S5_lS6_T11_S5_li.has_dyn_sized_stack, 0
	.set _ZL29rocblas_internal_gemmt_kernelIlLi16ELi32ELi8ELc78ELc78ELc76ELb0ELb0E19rocblas_complex_numIdEPKS1_S3_PS1_EviT_T9_T10_S5_lS7_S5_lS6_T11_S5_li.has_recursion, 0
	.set _ZL29rocblas_internal_gemmt_kernelIlLi16ELi32ELi8ELc78ELc78ELc76ELb0ELb0E19rocblas_complex_numIdEPKS1_S3_PS1_EviT_T9_T10_S5_lS7_S5_lS6_T11_S5_li.has_indirect_call, 0
	.section	.AMDGPU.csdata,"",@progbits
; Kernel info:
; codeLenInByte = 3252
; TotalNumSgprs: 50
; NumVgprs: 62
; NumAgprs: 0
; TotalNumVgprs: 62
; ScratchSize: 0
; MemoryBound: 0
; FloatMode: 240
; IeeeMode: 1
; LDSByteSize: 8192 bytes/workgroup (compile time only)
; SGPRBlocks: 6
; VGPRBlocks: 7
; NumSGPRsForWavesPerEU: 50
; NumVGPRsForWavesPerEU: 62
; AccumOffset: 64
; Occupancy: 8
; WaveLimiterHint : 0
; COMPUTE_PGM_RSRC2:SCRATCH_EN: 0
; COMPUTE_PGM_RSRC2:USER_SGPR: 2
; COMPUTE_PGM_RSRC2:TRAP_HANDLER: 0
; COMPUTE_PGM_RSRC2:TGID_X_EN: 1
; COMPUTE_PGM_RSRC2:TGID_Y_EN: 1
; COMPUTE_PGM_RSRC2:TGID_Z_EN: 1
; COMPUTE_PGM_RSRC2:TIDIG_COMP_CNT: 1
; COMPUTE_PGM_RSRC3_GFX90A:ACCUM_OFFSET: 15
; COMPUTE_PGM_RSRC3_GFX90A:TG_SPLIT: 0
	.section	.text._ZL29rocblas_internal_gemmt_kernelIlLi16ELi32ELi8ELc78ELc84ELc76ELb0ELb0E19rocblas_complex_numIdEPKS1_S3_PS1_EviT_T9_T10_S5_lS7_S5_lS6_T11_S5_li,"axG",@progbits,_ZL29rocblas_internal_gemmt_kernelIlLi16ELi32ELi8ELc78ELc84ELc76ELb0ELb0E19rocblas_complex_numIdEPKS1_S3_PS1_EviT_T9_T10_S5_lS7_S5_lS6_T11_S5_li,comdat
	.globl	_ZL29rocblas_internal_gemmt_kernelIlLi16ELi32ELi8ELc78ELc84ELc76ELb0ELb0E19rocblas_complex_numIdEPKS1_S3_PS1_EviT_T9_T10_S5_lS7_S5_lS6_T11_S5_li ; -- Begin function _ZL29rocblas_internal_gemmt_kernelIlLi16ELi32ELi8ELc78ELc84ELc76ELb0ELb0E19rocblas_complex_numIdEPKS1_S3_PS1_EviT_T9_T10_S5_lS7_S5_lS6_T11_S5_li
	.p2align	8
	.type	_ZL29rocblas_internal_gemmt_kernelIlLi16ELi32ELi8ELc78ELc84ELc76ELb0ELb0E19rocblas_complex_numIdEPKS1_S3_PS1_EviT_T9_T10_S5_lS7_S5_lS6_T11_S5_li,@function
_ZL29rocblas_internal_gemmt_kernelIlLi16ELi32ELi8ELc78ELc84ELc76ELb0ELb0E19rocblas_complex_numIdEPKS1_S3_PS1_EviT_T9_T10_S5_lS7_S5_lS6_T11_S5_li: ; @_ZL29rocblas_internal_gemmt_kernelIlLi16ELi32ELi8ELc78ELc84ELc76ELb0ELb0E19rocblas_complex_numIdEPKS1_S3_PS1_EviT_T9_T10_S5_lS7_S5_lS6_T11_S5_li
; %bb.0:
	s_load_dwordx8 s[24:31], s[0:1], 0x48
	s_load_dwordx16 s[8:23], s[0:1], 0x8
	s_waitcnt lgkmcnt(0)
	s_load_dwordx4 s[36:39], s[24:25], 0x0
	s_load_dwordx4 s[40:43], s[10:11], 0x0
	s_mov_b64 s[24:25], 0
	s_waitcnt lgkmcnt(0)
	v_cmp_eq_f64_e64 s[10:11], s[36:37], 1.0
	v_cmp_eq_f64_e64 s[6:7], s[38:39], 0
	s_and_b64 s[10:11], s[10:11], s[6:7]
	s_andn2_b64 vcc, exec, s[10:11]
	s_mov_b64 s[10:11], -1
	s_cbranch_vccnz .LBB262_4
; %bb.1:
	s_cmp_lg_u64 s[8:9], 0
	s_cbranch_scc0 .LBB262_3
; %bb.2:
	v_cmp_neq_f64_e64 s[10:11], s[40:41], 0
	v_cmp_neq_f64_e64 s[24:25], s[42:43], 0
	s_or_b64 s[24:25], s[10:11], s[24:25]
.LBB262_3:
	s_mov_b64 s[10:11], s[24:25]
.LBB262_4:
	s_and_b64 vcc, exec, s[10:11]
	s_cbranch_vccz .LBB262_34
; %bb.5:
	s_load_dword s24, s[0:1], 0x0
	s_lshl_b32 s5, s2, 5
	s_lshl_b32 s25, s3, 5
	v_cmp_eq_f64_e64 s[0:1], s[40:41], 0
	v_cmp_eq_f64_e64 s[2:3], s[42:43], 0
	s_and_b64 s[0:1], s[0:1], s[2:3]
	v_cmp_lt_i64_e64 s[2:3], s[8:9], 1
	s_or_b64 s[0:1], s[0:1], s[2:3]
	v_and_b32_e32 v1, 0x3ff, v0
	v_bfe_u32 v3, v0, 10, 10
	v_mov_b64_e32 v[24:25], 0
	s_and_b64 vcc, exec, s[0:1]
	v_mov_b64_e32 v[26:27], 0
	v_mov_b64_e32 v[16:17], 0
	;; [unrolled: 1-line block ×7, first 2 shown]
	s_cbranch_vccnz .LBB262_18
; %bb.6:
	s_mul_i32 s0, s23, s4
	s_mul_hi_u32 s1, s22, s4
	s_add_i32 s1, s1, s0
	s_mul_i32 s0, s22, s4
	s_lshl_b64 s[0:1], s[0:1], 4
	s_add_u32 s10, s18, s0
	s_addc_u32 s11, s19, s1
	s_mul_i32 s0, s17, s4
	s_mul_hi_u32 s1, s16, s4
	v_lshl_add_u32 v4, v3, 4, v1
	v_and_b32_e32 v0, 7, v1
	s_add_i32 s1, s1, s0
	s_mul_i32 s0, s16, s4
	v_lshrrev_b32_e32 v7, 3, v4
	v_and_b32_e32 v5, 31, v4
	s_lshl_b64 s[0:1], s[0:1], 4
	v_lshlrev_b32_e32 v8, 4, v0
	v_lshrrev_b32_e32 v2, 5, v4
	v_add_u32_e32 v6, s25, v7
	v_or_b32_e32 v4, s5, v5
	s_add_u32 s12, s12, s0
	v_lshlrev_b32_e32 v5, 4, v5
	v_lshl_or_b32 v7, v7, 7, v8
	s_addc_u32 s13, s13, s1
	v_lshl_or_b32 v28, v2, 9, v5
	v_ashrrev_i32_e32 v5, 31, v4
	s_waitcnt lgkmcnt(0)
	v_cmp_gt_i32_e32 vcc, s24, v6
	v_add_u32_e32 v29, 0x1000, v7
	v_ashrrev_i32_e32 v7, 31, v6
	v_mov_b32_e32 v8, 0x1000
	v_mov_b32_e32 v9, 0
	v_cmp_gt_i32_e64 s[0:1], s24, v4
	v_cmp_le_i32_e64 s[2:3], s24, v4
	v_lshl_add_u64 v[4:5], v[4:5], 4, s[12:13]
	v_lshl_add_u64 v[6:7], v[6:7], 4, s[10:11]
	v_lshlrev_b32_e32 v30, 4, v1
	v_lshl_add_u32 v31, v3, 7, v8
	v_mov_b64_e32 v[12:13], 0
	s_mov_b64 s[10:11], 0
	s_xor_b64 s[12:13], vcc, -1
	v_mov_b32_e32 v32, v9
	v_mov_b32_e32 v33, v9
	;; [unrolled: 1-line block ×4, first 2 shown]
	v_mov_b64_e32 v[14:15], 0
	v_mov_b64_e32 v[22:23], 0
	;; [unrolled: 1-line block ×7, first 2 shown]
                                        ; implicit-def: $vgpr10_vgpr11
	s_branch .LBB262_8
.LBB262_7:                              ;   in Loop: Header=BB262_8 Depth=1
	s_or_b64 exec, exec, s[16:17]
	s_waitcnt lgkmcnt(0)
	s_barrier
	ds_read_b128 v[36:39], v31
	ds_read_b128 v[40:43], v31 offset:16
	ds_read_b128 v[44:47], v31 offset:32
	;; [unrolled: 1-line block ×3, first 2 shown]
	ds_read_b128 v[52:55], v30
	s_add_u32 s10, s10, 8
	s_addc_u32 s11, s11, 0
	s_waitcnt lgkmcnt(0)
	v_mul_f64 v[56:57], v[38:39], v[54:55]
	v_mul_f64 v[58:59], v[36:37], v[54:55]
	v_fma_f64 v[56:57], v[36:37], v[52:53], -v[56:57]
	v_fmac_f64_e32 v[58:59], v[38:39], v[52:53]
	v_add_f64 v[56:57], v[24:25], v[56:57]
	v_add_f64 v[58:59], v[58:59], v[26:27]
	ds_read_b128 v[24:27], v30 offset:256
	s_waitcnt lgkmcnt(0)
	v_mul_f64 v[60:61], v[38:39], v[26:27]
	v_fma_f64 v[60:61], v[36:37], v[24:25], -v[60:61]
	v_mul_f64 v[36:37], v[36:37], v[26:27]
	v_fmac_f64_e32 v[36:37], v[38:39], v[24:25]
	v_add_f64 v[38:39], v[16:17], v[60:61]
	v_add_f64 v[36:37], v[36:37], v[18:19]
	ds_read_b128 v[16:19], v31 offset:2048
	s_waitcnt lgkmcnt(0)
	v_mul_f64 v[60:61], v[18:19], v[54:55]
	v_fma_f64 v[60:61], v[16:17], v[52:53], -v[60:61]
	v_mul_f64 v[54:55], v[16:17], v[54:55]
	v_fmac_f64_e32 v[54:55], v[18:19], v[52:53]
	v_add_f64 v[52:53], v[20:21], v[60:61]
	v_mul_f64 v[20:21], v[18:19], v[26:27]
	v_fma_f64 v[20:21], v[16:17], v[24:25], -v[20:21]
	v_mul_f64 v[16:17], v[16:17], v[26:27]
	v_fmac_f64_e32 v[16:17], v[18:19], v[24:25]
	v_add_f64 v[24:25], v[14:15], v[20:21]
	v_add_f64 v[26:27], v[16:17], v[12:13]
	ds_read_b128 v[12:15], v30 offset:512
	v_add_f64 v[54:55], v[54:55], v[22:23]
	s_waitcnt lgkmcnt(0)
	v_mul_f64 v[16:17], v[42:43], v[14:15]
	v_mul_f64 v[18:19], v[40:41], v[14:15]
	v_fma_f64 v[16:17], v[40:41], v[12:13], -v[16:17]
	v_fmac_f64_e32 v[18:19], v[42:43], v[12:13]
	v_add_f64 v[56:57], v[56:57], v[16:17]
	v_add_f64 v[58:59], v[18:19], v[58:59]
	ds_read_b128 v[16:19], v30 offset:768
	s_waitcnt lgkmcnt(0)
	v_mul_f64 v[20:21], v[42:43], v[18:19]
	v_mul_f64 v[22:23], v[40:41], v[18:19]
	v_fma_f64 v[20:21], v[40:41], v[16:17], -v[20:21]
	v_fmac_f64_e32 v[22:23], v[42:43], v[16:17]
	v_add_f64 v[38:39], v[38:39], v[20:21]
	v_add_f64 v[36:37], v[22:23], v[36:37]
	ds_read_b128 v[20:23], v31 offset:2064
	s_waitcnt lgkmcnt(0)
	v_mul_f64 v[40:41], v[22:23], v[14:15]
	v_mul_f64 v[14:15], v[20:21], v[14:15]
	v_fmac_f64_e32 v[14:15], v[22:23], v[12:13]
	v_fma_f64 v[40:41], v[20:21], v[12:13], -v[40:41]
	v_add_f64 v[42:43], v[14:15], v[54:55]
	v_mul_f64 v[12:13], v[22:23], v[18:19]
	v_mul_f64 v[14:15], v[20:21], v[18:19]
	v_fma_f64 v[12:13], v[20:21], v[16:17], -v[12:13]
	v_fmac_f64_e32 v[14:15], v[22:23], v[16:17]
	v_add_f64 v[24:25], v[24:25], v[12:13]
	v_add_f64 v[26:27], v[14:15], v[26:27]
	ds_read_b128 v[12:15], v30 offset:1024
	v_add_f64 v[40:41], v[52:53], v[40:41]
	s_waitcnt lgkmcnt(0)
	v_mul_f64 v[16:17], v[46:47], v[14:15]
	v_mul_f64 v[18:19], v[44:45], v[14:15]
	v_fma_f64 v[16:17], v[44:45], v[12:13], -v[16:17]
	v_fmac_f64_e32 v[18:19], v[46:47], v[12:13]
	v_add_f64 v[52:53], v[56:57], v[16:17]
	v_add_f64 v[54:55], v[18:19], v[58:59]
	ds_read_b128 v[16:19], v30 offset:1280
	s_waitcnt lgkmcnt(0)
	v_mul_f64 v[20:21], v[46:47], v[18:19]
	v_mul_f64 v[22:23], v[44:45], v[18:19]
	v_fma_f64 v[20:21], v[44:45], v[16:17], -v[20:21]
	v_fmac_f64_e32 v[22:23], v[46:47], v[16:17]
	v_add_f64 v[38:39], v[38:39], v[20:21]
	v_add_f64 v[36:37], v[22:23], v[36:37]
	ds_read_b128 v[20:23], v31 offset:2080
	s_waitcnt lgkmcnt(0)
	v_mul_f64 v[44:45], v[22:23], v[14:15]
	v_mul_f64 v[14:15], v[20:21], v[14:15]
	v_fmac_f64_e32 v[14:15], v[22:23], v[12:13]
	v_fma_f64 v[44:45], v[20:21], v[12:13], -v[44:45]
	v_add_f64 v[42:43], v[14:15], v[42:43]
	v_mul_f64 v[12:13], v[22:23], v[18:19]
	v_mul_f64 v[14:15], v[20:21], v[18:19]
	v_fma_f64 v[12:13], v[20:21], v[16:17], -v[12:13]
	;; [unrolled: 30-line block ×3, first 2 shown]
	v_fmac_f64_e32 v[14:15], v[22:23], v[16:17]
	v_add_f64 v[24:25], v[24:25], v[12:13]
	v_add_f64 v[26:27], v[14:15], v[26:27]
	ds_read_b128 v[12:15], v31 offset:64
	ds_read_b128 v[16:19], v30 offset:2048
	v_add_f64 v[40:41], v[40:41], v[48:49]
	s_waitcnt lgkmcnt(0)
	v_mul_f64 v[20:21], v[14:15], v[18:19]
	v_mul_f64 v[22:23], v[12:13], v[18:19]
	v_fma_f64 v[20:21], v[12:13], v[16:17], -v[20:21]
	v_fmac_f64_e32 v[22:23], v[14:15], v[16:17]
	v_add_f64 v[44:45], v[44:45], v[20:21]
	v_add_f64 v[46:47], v[22:23], v[46:47]
	ds_read_b128 v[20:23], v30 offset:2304
	s_waitcnt lgkmcnt(0)
	v_mul_f64 v[48:49], v[14:15], v[22:23]
	v_fma_f64 v[48:49], v[12:13], v[20:21], -v[48:49]
	v_mul_f64 v[12:13], v[12:13], v[22:23]
	v_fmac_f64_e32 v[12:13], v[14:15], v[20:21]
	v_add_f64 v[36:37], v[12:13], v[36:37]
	ds_read_b128 v[12:15], v31 offset:2112
	v_add_f64 v[38:39], v[38:39], v[48:49]
	s_waitcnt lgkmcnt(0)
	v_mul_f64 v[48:49], v[14:15], v[18:19]
	v_mul_f64 v[18:19], v[12:13], v[18:19]
	v_fma_f64 v[48:49], v[12:13], v[16:17], -v[48:49]
	v_fmac_f64_e32 v[18:19], v[14:15], v[16:17]
	v_mul_f64 v[16:17], v[14:15], v[22:23]
	v_fma_f64 v[16:17], v[12:13], v[20:21], -v[16:17]
	v_mul_f64 v[12:13], v[12:13], v[22:23]
	v_fmac_f64_e32 v[12:13], v[14:15], v[20:21]
	v_add_f64 v[42:43], v[18:19], v[42:43]
	v_add_f64 v[24:25], v[24:25], v[16:17]
	v_add_f64 v[26:27], v[12:13], v[26:27]
	ds_read_b128 v[12:15], v31 offset:80
	ds_read_b128 v[16:19], v30 offset:2560
	v_add_f64 v[40:41], v[40:41], v[48:49]
	s_waitcnt lgkmcnt(0)
	v_mul_f64 v[20:21], v[14:15], v[18:19]
	v_mul_f64 v[22:23], v[12:13], v[18:19]
	v_fma_f64 v[20:21], v[12:13], v[16:17], -v[20:21]
	v_fmac_f64_e32 v[22:23], v[14:15], v[16:17]
	v_add_f64 v[44:45], v[44:45], v[20:21]
	v_add_f64 v[46:47], v[22:23], v[46:47]
	ds_read_b128 v[20:23], v30 offset:2816
	s_waitcnt lgkmcnt(0)
	v_mul_f64 v[48:49], v[14:15], v[22:23]
	v_fma_f64 v[48:49], v[12:13], v[20:21], -v[48:49]
	v_mul_f64 v[12:13], v[12:13], v[22:23]
	v_fmac_f64_e32 v[12:13], v[14:15], v[20:21]
	v_add_f64 v[36:37], v[12:13], v[36:37]
	ds_read_b128 v[12:15], v31 offset:2128
	v_add_f64 v[38:39], v[38:39], v[48:49]
	s_waitcnt lgkmcnt(0)
	v_mul_f64 v[48:49], v[14:15], v[18:19]
	v_mul_f64 v[18:19], v[12:13], v[18:19]
	v_fma_f64 v[48:49], v[12:13], v[16:17], -v[48:49]
	v_fmac_f64_e32 v[18:19], v[14:15], v[16:17]
	v_mul_f64 v[16:17], v[14:15], v[22:23]
	v_fma_f64 v[16:17], v[12:13], v[20:21], -v[16:17]
	v_mul_f64 v[12:13], v[12:13], v[22:23]
	v_fmac_f64_e32 v[12:13], v[14:15], v[20:21]
	v_add_f64 v[42:43], v[18:19], v[42:43]
	;; [unrolled: 31-line block ×3, first 2 shown]
	ds_read_b128 v[12:15], v31 offset:112
	ds_read_b128 v[20:23], v30 offset:3584
	v_add_f64 v[40:41], v[40:41], v[36:37]
	ds_read_b128 v[36:39], v30 offset:3840
	v_add_f64 v[52:53], v[24:25], v[16:17]
	v_add_f64 v[42:43], v[18:19], v[42:43]
	s_waitcnt lgkmcnt(1)
	v_mul_f64 v[16:17], v[14:15], v[22:23]
	v_fma_f64 v[16:17], v[12:13], v[20:21], -v[16:17]
	v_add_f64 v[24:25], v[44:45], v[16:17]
	s_waitcnt lgkmcnt(0)
	v_mul_f64 v[16:17], v[14:15], v[38:39]
	v_mul_f64 v[18:19], v[12:13], v[22:23]
	v_fma_f64 v[16:17], v[12:13], v[36:37], -v[16:17]
	v_mul_f64 v[12:13], v[12:13], v[38:39]
	v_fmac_f64_e32 v[18:19], v[14:15], v[20:21]
	v_fmac_f64_e32 v[12:13], v[14:15], v[36:37]
	v_add_f64 v[26:27], v[18:19], v[46:47]
	v_add_f64 v[18:19], v[12:13], v[50:51]
	ds_read_b128 v[12:15], v31 offset:2160
	v_add_f64 v[16:17], v[48:49], v[16:17]
	s_waitcnt lgkmcnt(0)
	s_barrier
	v_mul_f64 v[44:45], v[14:15], v[22:23]
	v_fma_f64 v[44:45], v[12:13], v[20:21], -v[44:45]
	v_mul_f64 v[22:23], v[12:13], v[22:23]
	v_fmac_f64_e32 v[22:23], v[14:15], v[20:21]
	v_add_f64 v[20:21], v[40:41], v[44:45]
	v_mul_f64 v[40:41], v[14:15], v[38:39]
	v_fma_f64 v[40:41], v[12:13], v[36:37], -v[40:41]
	v_mul_f64 v[12:13], v[12:13], v[38:39]
	v_fmac_f64_e32 v[12:13], v[14:15], v[36:37]
	v_mov_b64_e32 v[36:37], s[10:11]
	v_cmp_gt_i64_e32 vcc, s[8:9], v[36:37]
	v_add_f64 v[22:23], v[22:23], v[42:43]
	v_add_f64 v[14:15], v[52:53], v[40:41]
	;; [unrolled: 1-line block ×3, first 2 shown]
	s_cbranch_vccz .LBB262_18
.LBB262_8:                              ; =>This Inner Loop Header: Depth=1
	s_mov_b64 s[22:23], s[2:3]
	s_mov_b64 s[16:17], 0
	s_and_saveexec_b64 s[18:19], s[0:1]
	s_cbranch_execnz .LBB262_16
; %bb.9:                                ;   in Loop: Header=BB262_8 Depth=1
	s_or_b64 exec, exec, s[18:19]
	s_and_saveexec_b64 s[18:19], s[22:23]
	s_xor_b64 s[18:19], exec, s[18:19]
	s_cbranch_execnz .LBB262_17
.LBB262_10:                             ;   in Loop: Header=BB262_8 Depth=1
	s_or_b64 exec, exec, s[18:19]
	s_and_saveexec_b64 s[18:19], s[16:17]
	s_cbranch_execz .LBB262_12
.LBB262_11:                             ;   in Loop: Header=BB262_8 Depth=1
	v_mul_lo_u32 v8, s15, v10
	v_mul_lo_u32 v38, s14, v11
	v_mad_u64_u32 v[36:37], s[16:17], s14, v10, 0
	v_add3_u32 v37, v37, v38, v8
	v_lshl_add_u64 v[36:37], v[36:37], 4, v[4:5]
	global_load_dwordx4 v[36:39], v[36:37], off
	s_waitcnt vmcnt(0)
	ds_write2_b64 v28, v[36:37], v[38:39] offset1:1
.LBB262_12:                             ;   in Loop: Header=BB262_8 Depth=1
	s_or_b64 exec, exec, s[18:19]
	v_add_u32_e32 v8, s10, v0
	v_cmp_le_u64_e32 vcc, s[8:9], v[8:9]
	s_or_b64 s[16:17], vcc, s[12:13]
	s_and_saveexec_b64 s[18:19], s[16:17]
	s_xor_b64 s[16:17], exec, s[18:19]
; %bb.13:                               ;   in Loop: Header=BB262_8 Depth=1
	ds_write_b128 v29, v[32:35]
; %bb.14:                               ;   in Loop: Header=BB262_8 Depth=1
	s_andn2_saveexec_b64 s[16:17], s[16:17]
	s_cbranch_execz .LBB262_7
; %bb.15:                               ;   in Loop: Header=BB262_8 Depth=1
	v_mad_u64_u32 v[36:37], s[18:19], s20, v8, 0
	v_mov_b32_e32 v38, v37
	v_mad_u64_u32 v[38:39], s[18:19], s21, v8, v[38:39]
	v_mov_b32_e32 v37, v38
	v_lshl_add_u64 v[36:37], v[36:37], 4, v[6:7]
	global_load_dwordx4 v[36:39], v[36:37], off
	s_waitcnt vmcnt(0)
	ds_write2_b64 v29, v[36:37], v[38:39] offset1:1
	s_branch .LBB262_7
.LBB262_16:                             ;   in Loop: Header=BB262_8 Depth=1
	v_add_u32_e32 v8, s10, v2
	v_cmp_le_u64_e32 vcc, s[8:9], v[8:9]
	s_andn2_b64 s[22:23], s[2:3], exec
	s_and_b64 s[34:35], vcc, exec
	s_mov_b64 s[16:17], exec
	s_or_b64 s[22:23], s[22:23], s[34:35]
	v_mov_b64_e32 v[10:11], v[8:9]
	s_or_b64 exec, exec, s[18:19]
	s_and_saveexec_b64 s[18:19], s[22:23]
	s_xor_b64 s[18:19], exec, s[18:19]
	s_cbranch_execz .LBB262_10
.LBB262_17:                             ;   in Loop: Header=BB262_8 Depth=1
	ds_write_b128 v28, v[32:35]
	s_andn2_b64 s[16:17], s[16:17], exec
	s_or_b64 exec, exec, s[18:19]
	s_and_saveexec_b64 s[18:19], s[16:17]
	s_cbranch_execnz .LBB262_11
	s_branch .LBB262_12
.LBB262_18:
	s_mul_i32 s0, s31, s4
	s_mul_hi_u32 s1, s30, s4
	s_add_i32 s1, s1, s0
	s_mul_i32 s0, s30, s4
	s_lshl_b64 s[0:1], s[0:1], 4
	v_add_u32_e32 v10, s25, v3
	s_add_u32 s8, s26, s0
	v_ashrrev_i32_e32 v0, 31, v10
	s_addc_u32 s9, s27, s1
	v_add_u32_e32 v4, s5, v1
	v_cmp_neq_f64_e64 s[0:1], s[36:37], 0
	s_xor_b64 s[4:5], s[6:7], -1
	v_mul_lo_u32 v2, s28, v0
	v_mul_lo_u32 v3, s29, v10
	v_mad_u64_u32 v[0:1], s[2:3], s28, v10, 0
	v_add3_u32 v1, v1, v2, v3
	s_or_b64 s[0:1], s[0:1], s[4:5]
	v_lshl_add_u64 v[8:9], v[0:1], 4, s[8:9]
	v_cmp_le_i32_e32 vcc, v10, v4
	s_waitcnt lgkmcnt(0)
	v_cmp_gt_i32_e64 s[2:3], s24, v4
	v_cndmask_b32_e64 v0, 0, 1, s[0:1]
	s_and_b64 s[6:7], vcc, s[2:3]
	v_ashrrev_i32_e32 v5, 31, v4
	v_cmp_ne_u32_e64 s[0:1], 1, v0
	s_and_saveexec_b64 s[4:5], s[6:7]
	s_cbranch_execz .LBB262_22
; %bb.19:
	v_mul_f64 v[0:1], s[42:43], v[26:27]
	v_mul_f64 v[2:3], s[40:41], v[26:27]
	v_fma_f64 v[0:1], s[40:41], v[24:25], -v[0:1]
	v_fmac_f64_e32 v[2:3], s[42:43], v[24:25]
	s_and_b64 vcc, exec, s[0:1]
	v_lshl_add_u64 v[6:7], v[4:5], 4, v[8:9]
	s_cbranch_vccnz .LBB262_21
; %bb.20:
	global_load_dwordx4 v[24:27], v[6:7], off
	s_waitcnt vmcnt(0)
	v_mul_f64 v[28:29], s[38:39], v[26:27]
	v_mul_f64 v[26:27], s[36:37], v[26:27]
	v_fma_f64 v[28:29], s[36:37], v[24:25], -v[28:29]
	v_fmac_f64_e32 v[26:27], s[38:39], v[24:25]
	v_add_f64 v[0:1], v[0:1], v[28:29]
	v_add_f64 v[2:3], v[2:3], v[26:27]
.LBB262_21:
	global_store_dwordx4 v[6:7], v[0:3], off
.LBB262_22:
	s_or_b64 exec, exec, s[4:5]
	v_add_u32_e32 v6, 16, v4
	v_cmp_le_i32_e32 vcc, v10, v6
	v_cmp_gt_i32_e64 s[4:5], s24, v6
	s_and_b64 s[10:11], vcc, s[4:5]
	v_ashrrev_i32_e32 v7, 31, v6
	s_and_saveexec_b64 s[6:7], s[10:11]
	s_cbranch_execz .LBB262_26
; %bb.23:
	v_mul_f64 v[0:1], s[42:43], v[18:19]
	v_mul_f64 v[2:3], s[40:41], v[18:19]
	v_fma_f64 v[0:1], s[40:41], v[16:17], -v[0:1]
	v_fmac_f64_e32 v[2:3], s[42:43], v[16:17]
	s_and_b64 vcc, exec, s[0:1]
	v_lshl_add_u64 v[8:9], v[6:7], 4, v[8:9]
	s_cbranch_vccnz .LBB262_25
; %bb.24:
	global_load_dwordx4 v[16:19], v[8:9], off
	s_waitcnt vmcnt(0)
	v_mul_f64 v[24:25], s[38:39], v[18:19]
	v_mul_f64 v[18:19], s[36:37], v[18:19]
	v_fma_f64 v[24:25], s[36:37], v[16:17], -v[24:25]
	v_fmac_f64_e32 v[18:19], s[38:39], v[16:17]
	v_add_f64 v[0:1], v[0:1], v[24:25]
	v_add_f64 v[2:3], v[2:3], v[18:19]
.LBB262_25:
	global_store_dwordx4 v[8:9], v[0:3], off
.LBB262_26:
	s_or_b64 exec, exec, s[6:7]
	v_add_u32_e32 v10, 16, v10
	v_ashrrev_i32_e32 v0, 31, v10
	v_mul_lo_u32 v2, s28, v0
	v_mul_lo_u32 v3, s29, v10
	v_mad_u64_u32 v[0:1], s[6:7], s28, v10, 0
	v_add3_u32 v1, v1, v2, v3
	v_cmp_le_i32_e32 vcc, v10, v4
	v_lshl_add_u64 v[8:9], v[0:1], 4, s[8:9]
	s_and_b64 s[6:7], vcc, s[2:3]
	s_and_saveexec_b64 s[2:3], s[6:7]
	s_cbranch_execz .LBB262_30
; %bb.27:
	v_mul_f64 v[0:1], s[42:43], v[22:23]
	v_mul_f64 v[2:3], s[40:41], v[22:23]
	v_fma_f64 v[0:1], s[40:41], v[20:21], -v[0:1]
	v_fmac_f64_e32 v[2:3], s[42:43], v[20:21]
	s_and_b64 vcc, exec, s[0:1]
	v_lshl_add_u64 v[4:5], v[4:5], 4, v[8:9]
	s_cbranch_vccnz .LBB262_29
; %bb.28:
	global_load_dwordx4 v[16:19], v[4:5], off
	s_waitcnt vmcnt(0)
	v_mul_f64 v[20:21], s[38:39], v[18:19]
	v_mul_f64 v[18:19], s[36:37], v[18:19]
	v_fma_f64 v[20:21], s[36:37], v[16:17], -v[20:21]
	v_fmac_f64_e32 v[18:19], s[38:39], v[16:17]
	v_add_f64 v[0:1], v[0:1], v[20:21]
	v_add_f64 v[2:3], v[2:3], v[18:19]
.LBB262_29:
	global_store_dwordx4 v[4:5], v[0:3], off
.LBB262_30:
	s_or_b64 exec, exec, s[2:3]
	v_cmp_le_i32_e32 vcc, v10, v6
	s_and_b64 s[2:3], vcc, s[4:5]
	s_and_saveexec_b64 s[4:5], s[2:3]
	s_cbranch_execz .LBB262_34
; %bb.31:
	v_mul_f64 v[0:1], s[42:43], v[12:13]
	v_mul_f64 v[2:3], s[40:41], v[12:13]
	v_fma_f64 v[0:1], s[40:41], v[14:15], -v[0:1]
	v_fmac_f64_e32 v[2:3], s[42:43], v[14:15]
	s_and_b64 vcc, exec, s[0:1]
	v_lshl_add_u64 v[4:5], v[6:7], 4, v[8:9]
	s_cbranch_vccnz .LBB262_33
; %bb.32:
	global_load_dwordx4 v[6:9], v[4:5], off
	s_waitcnt vmcnt(0)
	v_mul_f64 v[10:11], s[38:39], v[8:9]
	v_mul_f64 v[8:9], s[36:37], v[8:9]
	v_fma_f64 v[10:11], s[36:37], v[6:7], -v[10:11]
	v_fmac_f64_e32 v[8:9], s[38:39], v[6:7]
	v_add_f64 v[0:1], v[0:1], v[10:11]
	v_add_f64 v[2:3], v[2:3], v[8:9]
.LBB262_33:
	global_store_dwordx4 v[4:5], v[0:3], off
.LBB262_34:
	s_endpgm
	.section	.rodata,"a",@progbits
	.p2align	6, 0x0
	.amdhsa_kernel _ZL29rocblas_internal_gemmt_kernelIlLi16ELi32ELi8ELc78ELc84ELc76ELb0ELb0E19rocblas_complex_numIdEPKS1_S3_PS1_EviT_T9_T10_S5_lS7_S5_lS6_T11_S5_li
		.amdhsa_group_segment_fixed_size 8192
		.amdhsa_private_segment_fixed_size 0
		.amdhsa_kernarg_size 108
		.amdhsa_user_sgpr_count 2
		.amdhsa_user_sgpr_dispatch_ptr 0
		.amdhsa_user_sgpr_queue_ptr 0
		.amdhsa_user_sgpr_kernarg_segment_ptr 1
		.amdhsa_user_sgpr_dispatch_id 0
		.amdhsa_user_sgpr_kernarg_preload_length 0
		.amdhsa_user_sgpr_kernarg_preload_offset 0
		.amdhsa_user_sgpr_private_segment_size 0
		.amdhsa_uses_dynamic_stack 0
		.amdhsa_enable_private_segment 0
		.amdhsa_system_sgpr_workgroup_id_x 1
		.amdhsa_system_sgpr_workgroup_id_y 1
		.amdhsa_system_sgpr_workgroup_id_z 1
		.amdhsa_system_sgpr_workgroup_info 0
		.amdhsa_system_vgpr_workitem_id 1
		.amdhsa_next_free_vgpr 62
		.amdhsa_next_free_sgpr 44
		.amdhsa_accum_offset 64
		.amdhsa_reserve_vcc 1
		.amdhsa_float_round_mode_32 0
		.amdhsa_float_round_mode_16_64 0
		.amdhsa_float_denorm_mode_32 3
		.amdhsa_float_denorm_mode_16_64 3
		.amdhsa_dx10_clamp 1
		.amdhsa_ieee_mode 1
		.amdhsa_fp16_overflow 0
		.amdhsa_tg_split 0
		.amdhsa_exception_fp_ieee_invalid_op 0
		.amdhsa_exception_fp_denorm_src 0
		.amdhsa_exception_fp_ieee_div_zero 0
		.amdhsa_exception_fp_ieee_overflow 0
		.amdhsa_exception_fp_ieee_underflow 0
		.amdhsa_exception_fp_ieee_inexact 0
		.amdhsa_exception_int_div_zero 0
	.end_amdhsa_kernel
	.section	.text._ZL29rocblas_internal_gemmt_kernelIlLi16ELi32ELi8ELc78ELc84ELc76ELb0ELb0E19rocblas_complex_numIdEPKS1_S3_PS1_EviT_T9_T10_S5_lS7_S5_lS6_T11_S5_li,"axG",@progbits,_ZL29rocblas_internal_gemmt_kernelIlLi16ELi32ELi8ELc78ELc84ELc76ELb0ELb0E19rocblas_complex_numIdEPKS1_S3_PS1_EviT_T9_T10_S5_lS7_S5_lS6_T11_S5_li,comdat
.Lfunc_end262:
	.size	_ZL29rocblas_internal_gemmt_kernelIlLi16ELi32ELi8ELc78ELc84ELc76ELb0ELb0E19rocblas_complex_numIdEPKS1_S3_PS1_EviT_T9_T10_S5_lS7_S5_lS6_T11_S5_li, .Lfunc_end262-_ZL29rocblas_internal_gemmt_kernelIlLi16ELi32ELi8ELc78ELc84ELc76ELb0ELb0E19rocblas_complex_numIdEPKS1_S3_PS1_EviT_T9_T10_S5_lS7_S5_lS6_T11_S5_li
                                        ; -- End function
	.set _ZL29rocblas_internal_gemmt_kernelIlLi16ELi32ELi8ELc78ELc84ELc76ELb0ELb0E19rocblas_complex_numIdEPKS1_S3_PS1_EviT_T9_T10_S5_lS7_S5_lS6_T11_S5_li.num_vgpr, 62
	.set _ZL29rocblas_internal_gemmt_kernelIlLi16ELi32ELi8ELc78ELc84ELc76ELb0ELb0E19rocblas_complex_numIdEPKS1_S3_PS1_EviT_T9_T10_S5_lS7_S5_lS6_T11_S5_li.num_agpr, 0
	.set _ZL29rocblas_internal_gemmt_kernelIlLi16ELi32ELi8ELc78ELc84ELc76ELb0ELb0E19rocblas_complex_numIdEPKS1_S3_PS1_EviT_T9_T10_S5_lS7_S5_lS6_T11_S5_li.numbered_sgpr, 44
	.set _ZL29rocblas_internal_gemmt_kernelIlLi16ELi32ELi8ELc78ELc84ELc76ELb0ELb0E19rocblas_complex_numIdEPKS1_S3_PS1_EviT_T9_T10_S5_lS7_S5_lS6_T11_S5_li.num_named_barrier, 0
	.set _ZL29rocblas_internal_gemmt_kernelIlLi16ELi32ELi8ELc78ELc84ELc76ELb0ELb0E19rocblas_complex_numIdEPKS1_S3_PS1_EviT_T9_T10_S5_lS7_S5_lS6_T11_S5_li.private_seg_size, 0
	.set _ZL29rocblas_internal_gemmt_kernelIlLi16ELi32ELi8ELc78ELc84ELc76ELb0ELb0E19rocblas_complex_numIdEPKS1_S3_PS1_EviT_T9_T10_S5_lS7_S5_lS6_T11_S5_li.uses_vcc, 1
	.set _ZL29rocblas_internal_gemmt_kernelIlLi16ELi32ELi8ELc78ELc84ELc76ELb0ELb0E19rocblas_complex_numIdEPKS1_S3_PS1_EviT_T9_T10_S5_lS7_S5_lS6_T11_S5_li.uses_flat_scratch, 0
	.set _ZL29rocblas_internal_gemmt_kernelIlLi16ELi32ELi8ELc78ELc84ELc76ELb0ELb0E19rocblas_complex_numIdEPKS1_S3_PS1_EviT_T9_T10_S5_lS7_S5_lS6_T11_S5_li.has_dyn_sized_stack, 0
	.set _ZL29rocblas_internal_gemmt_kernelIlLi16ELi32ELi8ELc78ELc84ELc76ELb0ELb0E19rocblas_complex_numIdEPKS1_S3_PS1_EviT_T9_T10_S5_lS7_S5_lS6_T11_S5_li.has_recursion, 0
	.set _ZL29rocblas_internal_gemmt_kernelIlLi16ELi32ELi8ELc78ELc84ELc76ELb0ELb0E19rocblas_complex_numIdEPKS1_S3_PS1_EviT_T9_T10_S5_lS7_S5_lS6_T11_S5_li.has_indirect_call, 0
	.section	.AMDGPU.csdata,"",@progbits
; Kernel info:
; codeLenInByte = 3244
; TotalNumSgprs: 50
; NumVgprs: 62
; NumAgprs: 0
; TotalNumVgprs: 62
; ScratchSize: 0
; MemoryBound: 0
; FloatMode: 240
; IeeeMode: 1
; LDSByteSize: 8192 bytes/workgroup (compile time only)
; SGPRBlocks: 6
; VGPRBlocks: 7
; NumSGPRsForWavesPerEU: 50
; NumVGPRsForWavesPerEU: 62
; AccumOffset: 64
; Occupancy: 8
; WaveLimiterHint : 0
; COMPUTE_PGM_RSRC2:SCRATCH_EN: 0
; COMPUTE_PGM_RSRC2:USER_SGPR: 2
; COMPUTE_PGM_RSRC2:TRAP_HANDLER: 0
; COMPUTE_PGM_RSRC2:TGID_X_EN: 1
; COMPUTE_PGM_RSRC2:TGID_Y_EN: 1
; COMPUTE_PGM_RSRC2:TGID_Z_EN: 1
; COMPUTE_PGM_RSRC2:TIDIG_COMP_CNT: 1
; COMPUTE_PGM_RSRC3_GFX90A:ACCUM_OFFSET: 15
; COMPUTE_PGM_RSRC3_GFX90A:TG_SPLIT: 0
	.section	.text._ZL29rocblas_internal_gemmt_kernelIlLi16ELi32ELi8ELc78ELc67ELc76ELb0ELb1E19rocblas_complex_numIdEPKS1_S3_PS1_EviT_T9_T10_S5_lS7_S5_lS6_T11_S5_li,"axG",@progbits,_ZL29rocblas_internal_gemmt_kernelIlLi16ELi32ELi8ELc78ELc67ELc76ELb0ELb1E19rocblas_complex_numIdEPKS1_S3_PS1_EviT_T9_T10_S5_lS7_S5_lS6_T11_S5_li,comdat
	.globl	_ZL29rocblas_internal_gemmt_kernelIlLi16ELi32ELi8ELc78ELc67ELc76ELb0ELb1E19rocblas_complex_numIdEPKS1_S3_PS1_EviT_T9_T10_S5_lS7_S5_lS6_T11_S5_li ; -- Begin function _ZL29rocblas_internal_gemmt_kernelIlLi16ELi32ELi8ELc78ELc67ELc76ELb0ELb1E19rocblas_complex_numIdEPKS1_S3_PS1_EviT_T9_T10_S5_lS7_S5_lS6_T11_S5_li
	.p2align	8
	.type	_ZL29rocblas_internal_gemmt_kernelIlLi16ELi32ELi8ELc78ELc67ELc76ELb0ELb1E19rocblas_complex_numIdEPKS1_S3_PS1_EviT_T9_T10_S5_lS7_S5_lS6_T11_S5_li,@function
_ZL29rocblas_internal_gemmt_kernelIlLi16ELi32ELi8ELc78ELc67ELc76ELb0ELb1E19rocblas_complex_numIdEPKS1_S3_PS1_EviT_T9_T10_S5_lS7_S5_lS6_T11_S5_li: ; @_ZL29rocblas_internal_gemmt_kernelIlLi16ELi32ELi8ELc78ELc67ELc76ELb0ELb1E19rocblas_complex_numIdEPKS1_S3_PS1_EviT_T9_T10_S5_lS7_S5_lS6_T11_S5_li
; %bb.0:
	s_load_dwordx8 s[24:31], s[0:1], 0x48
	s_load_dwordx16 s[8:23], s[0:1], 0x8
	s_waitcnt lgkmcnt(0)
	s_load_dwordx4 s[36:39], s[24:25], 0x0
	s_load_dwordx4 s[40:43], s[10:11], 0x0
	s_mov_b64 s[24:25], 0
	s_waitcnt lgkmcnt(0)
	v_cmp_eq_f64_e64 s[10:11], s[36:37], 1.0
	v_cmp_eq_f64_e64 s[6:7], s[38:39], 0
	s_and_b64 s[10:11], s[10:11], s[6:7]
	s_andn2_b64 vcc, exec, s[10:11]
	s_mov_b64 s[10:11], -1
	s_cbranch_vccnz .LBB263_4
; %bb.1:
	s_cmp_lg_u64 s[8:9], 0
	s_cbranch_scc0 .LBB263_3
; %bb.2:
	v_cmp_neq_f64_e64 s[10:11], s[40:41], 0
	v_cmp_neq_f64_e64 s[24:25], s[42:43], 0
	s_or_b64 s[24:25], s[10:11], s[24:25]
.LBB263_3:
	s_mov_b64 s[10:11], s[24:25]
.LBB263_4:
	s_and_b64 vcc, exec, s[10:11]
	s_cbranch_vccz .LBB263_32
; %bb.5:
	s_load_dword s24, s[0:1], 0x0
	s_lshl_b32 s5, s2, 5
	s_lshl_b32 s25, s3, 5
	v_cmp_eq_f64_e64 s[0:1], s[40:41], 0
	v_cmp_eq_f64_e64 s[2:3], s[42:43], 0
	s_and_b64 s[0:1], s[0:1], s[2:3]
	v_cmp_lt_i64_e64 s[2:3], s[8:9], 1
	s_or_b64 s[0:1], s[0:1], s[2:3]
	v_and_b32_e32 v5, 0x3ff, v0
	v_bfe_u32 v7, v0, 10, 10
	v_mov_b64_e32 v[28:29], 0
	s_and_b64 vcc, exec, s[0:1]
	v_mov_b64_e32 v[30:31], 0
	v_mov_b64_e32 v[24:25], 0
	;; [unrolled: 1-line block ×7, first 2 shown]
	s_cbranch_vccnz .LBB263_16
; %bb.6:
	s_mul_i32 s0, s23, s4
	s_mul_hi_u32 s1, s22, s4
	s_add_i32 s1, s1, s0
	s_mul_i32 s0, s22, s4
	s_lshl_b64 s[0:1], s[0:1], 4
	v_lshl_add_u32 v1, v7, 4, v5
	s_add_u32 s18, s18, s0
	v_lshrrev_b32_e32 v6, 5, v1
	v_lshrrev_b32_e32 v10, 3, v1
	v_and_b32_e32 v1, 31, v1
	s_addc_u32 s19, s19, s1
	s_mul_i32 s0, s17, s4
	s_mul_hi_u32 s1, s16, s4
	v_and_b32_e32 v4, 7, v5
	v_or_b32_e32 v2, s5, v1
	s_add_i32 s1, s1, s0
	s_mul_i32 s0, s16, s4
	v_lshlrev_b32_e32 v1, 4, v1
	s_lshl_b64 s[0:1], s[0:1], 4
	v_lshl_or_b32 v32, v6, 9, v1
	v_lshlrev_b32_e32 v1, 4, v4
	v_add_u32_e32 v0, s25, v10
	s_add_u32 s2, s12, s0
	v_lshl_or_b32 v1, v10, 7, v1
	s_addc_u32 s3, s13, s1
	v_ashrrev_i32_e32 v3, 31, v2
	v_add_u32_e32 v33, 0x1000, v1
	v_ashrrev_i32_e32 v1, 31, v0
	v_lshl_add_u64 v[8:9], v[2:3], 4, s[2:3]
	s_waitcnt lgkmcnt(0)
	v_cmp_gt_i32_e64 s[2:3], s24, v0
	v_lshl_add_u64 v[10:11], v[0:1], 4, s[18:19]
	v_mov_b32_e32 v0, 0x1000
	v_mov_b32_e32 v13, 0
	v_cmp_gt_i32_e64 s[0:1], s24, v2
	v_cmp_le_i32_e64 s[10:11], s24, v2
	v_lshlrev_b32_e32 v34, 4, v5
	v_lshl_add_u32 v35, v7, 7, v0
	v_mov_b64_e32 v[16:17], 0
	s_mov_b64 s[12:13], 0
	v_mov_b32_e32 v36, v13
	v_mov_b32_e32 v37, v13
	;; [unrolled: 1-line block ×4, first 2 shown]
	v_mov_b64_e32 v[18:19], 0
	v_mov_b64_e32 v[22:23], 0
	;; [unrolled: 1-line block ×7, first 2 shown]
                                        ; implicit-def: $vgpr14_vgpr15
	s_branch .LBB263_8
.LBB263_7:                              ;   in Loop: Header=BB263_8 Depth=1
	s_or_b64 exec, exec, s[16:17]
	ds_write_b128 v33, v[0:3]
	s_waitcnt lgkmcnt(0)
	s_barrier
	ds_read_b128 v[0:3], v34
	ds_read_b128 v[40:43], v35
	ds_read_b128 v[44:47], v35 offset:16
	ds_read_b128 v[48:51], v35 offset:32
	;; [unrolled: 1-line block ×4, first 2 shown]
	s_waitcnt lgkmcnt(4)
	v_mul_f64 v[60:61], v[42:43], v[2:3]
	v_fma_f64 v[60:61], v[40:41], v[0:1], -v[60:61]
	v_mul_f64 v[62:63], v[40:41], v[2:3]
	v_fmac_f64_e32 v[62:63], v[42:43], v[0:1]
	v_add_f64 v[60:61], v[28:29], v[60:61]
	s_waitcnt lgkmcnt(0)
	v_mul_f64 v[28:29], v[42:43], v[58:59]
	v_add_f64 v[62:63], v[62:63], v[30:31]
	v_fma_f64 v[64:65], v[40:41], v[56:57], -v[28:29]
	ds_read_b128 v[28:31], v35 offset:2048
	v_mul_f64 v[40:41], v[40:41], v[58:59]
	v_fmac_f64_e32 v[40:41], v[42:43], v[56:57]
	v_add_f64 v[42:43], v[24:25], v[64:65]
	v_add_f64 v[40:41], v[40:41], v[26:27]
	ds_read_b128 v[24:27], v35 offset:2064
	s_waitcnt lgkmcnt(1)
	v_mul_f64 v[64:65], v[30:31], v[2:3]
	v_mul_f64 v[2:3], v[28:29], v[2:3]
	v_fma_f64 v[64:65], v[28:29], v[0:1], -v[64:65]
	v_fmac_f64_e32 v[2:3], v[30:31], v[0:1]
	v_mul_f64 v[0:1], v[30:31], v[58:59]
	v_add_f64 v[20:21], v[20:21], v[64:65]
	v_add_f64 v[22:23], v[2:3], v[22:23]
	v_fma_f64 v[64:65], v[28:29], v[56:57], -v[0:1]
	v_mul_f64 v[28:29], v[28:29], v[58:59]
	ds_read_b128 v[0:3], v34 offset:512
	v_fmac_f64_e32 v[28:29], v[30:31], v[56:57]
	v_add_f64 v[30:31], v[18:19], v[64:65]
	v_add_f64 v[28:29], v[28:29], v[16:17]
	ds_read_b128 v[16:19], v34 offset:768
	s_waitcnt lgkmcnt(1)
	v_mul_f64 v[56:57], v[46:47], v[2:3]
	v_fma_f64 v[56:57], v[44:45], v[0:1], -v[56:57]
	v_add_f64 v[56:57], v[60:61], v[56:57]
	v_mul_f64 v[58:59], v[44:45], v[2:3]
	s_waitcnt lgkmcnt(0)
	v_mul_f64 v[60:61], v[46:47], v[18:19]
	v_fma_f64 v[60:61], v[44:45], v[16:17], -v[60:61]
	v_mul_f64 v[44:45], v[44:45], v[18:19]
	v_fmac_f64_e32 v[44:45], v[46:47], v[16:17]
	v_add_f64 v[40:41], v[44:45], v[40:41]
	v_mul_f64 v[44:45], v[26:27], v[2:3]
	v_mul_f64 v[2:3], v[24:25], v[2:3]
	v_fmac_f64_e32 v[58:59], v[46:47], v[0:1]
	v_fma_f64 v[44:45], v[24:25], v[0:1], -v[44:45]
	v_fmac_f64_e32 v[2:3], v[26:27], v[0:1]
	v_mul_f64 v[0:1], v[26:27], v[18:19]
	v_add_f64 v[44:45], v[20:21], v[44:45]
	v_add_f64 v[46:47], v[2:3], v[22:23]
	v_fma_f64 v[20:21], v[24:25], v[16:17], -v[0:1]
	v_mul_f64 v[18:19], v[24:25], v[18:19]
	ds_read_b128 v[0:3], v34 offset:1024
	v_fmac_f64_e32 v[18:19], v[26:27], v[16:17]
	v_add_f64 v[28:29], v[18:19], v[28:29]
	ds_read_b128 v[16:19], v34 offset:1280
	v_add_f64 v[30:31], v[30:31], v[20:21]
	s_waitcnt lgkmcnt(1)
	v_mul_f64 v[20:21], v[50:51], v[2:3]
	v_fma_f64 v[20:21], v[48:49], v[0:1], -v[20:21]
	v_mul_f64 v[22:23], v[48:49], v[2:3]
	v_add_f64 v[58:59], v[58:59], v[62:63]
	v_fmac_f64_e32 v[22:23], v[50:51], v[0:1]
	v_add_f64 v[56:57], v[56:57], v[20:21]
	s_waitcnt lgkmcnt(0)
	v_mul_f64 v[20:21], v[50:51], v[18:19]
	v_add_f64 v[58:59], v[22:23], v[58:59]
	v_fma_f64 v[24:25], v[48:49], v[16:17], -v[20:21]
	ds_read_b128 v[20:23], v35 offset:2080
	v_mul_f64 v[26:27], v[48:49], v[18:19]
	v_add_f64 v[42:43], v[42:43], v[60:61]
	v_fmac_f64_e32 v[26:27], v[50:51], v[16:17]
	v_add_f64 v[42:43], v[42:43], v[24:25]
	v_add_f64 v[40:41], v[26:27], v[40:41]
	ds_read_b128 v[24:27], v35 offset:2096
	s_waitcnt lgkmcnt(1)
	v_mul_f64 v[48:49], v[22:23], v[2:3]
	v_mul_f64 v[2:3], v[20:21], v[2:3]
	v_fma_f64 v[48:49], v[20:21], v[0:1], -v[48:49]
	v_fmac_f64_e32 v[2:3], v[22:23], v[0:1]
	v_mul_f64 v[0:1], v[22:23], v[18:19]
	v_mul_f64 v[18:19], v[20:21], v[18:19]
	v_fmac_f64_e32 v[18:19], v[22:23], v[16:17]
	v_add_f64 v[44:45], v[44:45], v[48:49]
	v_add_f64 v[46:47], v[2:3], v[46:47]
	v_fma_f64 v[48:49], v[20:21], v[16:17], -v[0:1]
	ds_read_b128 v[0:3], v34 offset:1536
	v_add_f64 v[22:23], v[18:19], v[28:29]
	ds_read_b128 v[16:19], v34 offset:1792
	v_add_f64 v[20:21], v[30:31], v[48:49]
	s_add_u32 s12, s12, 8
	s_waitcnt lgkmcnt(1)
	v_mul_f64 v[28:29], v[54:55], v[2:3]
	v_mul_f64 v[30:31], v[52:53], v[2:3]
	s_waitcnt lgkmcnt(0)
	v_mul_f64 v[48:49], v[54:55], v[18:19]
	v_fma_f64 v[48:49], v[52:53], v[16:17], -v[48:49]
	v_add_f64 v[42:43], v[42:43], v[48:49]
	v_mul_f64 v[48:49], v[26:27], v[2:3]
	v_mul_f64 v[2:3], v[24:25], v[2:3]
	v_fma_f64 v[28:29], v[52:53], v[0:1], -v[28:29]
	v_fmac_f64_e32 v[30:31], v[54:55], v[0:1]
	v_fma_f64 v[48:49], v[24:25], v[0:1], -v[48:49]
	v_fmac_f64_e32 v[2:3], v[26:27], v[0:1]
	v_mul_f64 v[0:1], v[26:27], v[18:19]
	v_mul_f64 v[50:51], v[52:53], v[18:19]
	v_add_f64 v[44:45], v[44:45], v[48:49]
	v_fma_f64 v[48:49], v[24:25], v[16:17], -v[0:1]
	v_mul_f64 v[24:25], v[24:25], v[18:19]
	v_fmac_f64_e32 v[50:51], v[54:55], v[16:17]
	v_add_f64 v[46:47], v[2:3], v[46:47]
	v_fmac_f64_e32 v[24:25], v[26:27], v[16:17]
	ds_read_b128 v[0:3], v35 offset:64
	ds_read_b128 v[16:19], v34 offset:2048
	v_add_f64 v[40:41], v[50:51], v[40:41]
	v_add_f64 v[48:49], v[20:21], v[48:49]
	;; [unrolled: 1-line block ×3, first 2 shown]
	ds_read_b128 v[20:23], v34 offset:2304
	ds_read_b128 v[24:27], v35 offset:80
	s_waitcnt lgkmcnt(2)
	v_mul_f64 v[52:53], v[2:3], v[18:19]
	v_add_f64 v[28:29], v[56:57], v[28:29]
	v_fma_f64 v[52:53], v[0:1], v[16:17], -v[52:53]
	v_mul_f64 v[54:55], v[0:1], v[18:19]
	v_add_f64 v[30:31], v[30:31], v[58:59]
	v_fmac_f64_e32 v[54:55], v[2:3], v[16:17]
	v_add_f64 v[52:53], v[28:29], v[52:53]
	s_waitcnt lgkmcnt(1)
	v_mul_f64 v[28:29], v[2:3], v[22:23]
	v_add_f64 v[54:55], v[54:55], v[30:31]
	v_fma_f64 v[56:57], v[0:1], v[20:21], -v[28:29]
	ds_read_b128 v[28:31], v35 offset:2112
	v_mul_f64 v[0:1], v[0:1], v[22:23]
	v_fmac_f64_e32 v[0:1], v[2:3], v[20:21]
	v_add_f64 v[42:43], v[42:43], v[56:57]
	v_add_f64 v[40:41], v[0:1], v[40:41]
	ds_read_b128 v[0:3], v35 offset:2128
	s_waitcnt lgkmcnt(1)
	v_mul_f64 v[56:57], v[30:31], v[18:19]
	v_mul_f64 v[18:19], v[28:29], v[18:19]
	v_fma_f64 v[56:57], v[28:29], v[16:17], -v[56:57]
	v_fmac_f64_e32 v[18:19], v[30:31], v[16:17]
	v_mul_f64 v[16:17], v[30:31], v[22:23]
	v_add_f64 v[44:45], v[44:45], v[56:57]
	v_add_f64 v[46:47], v[18:19], v[46:47]
	v_fma_f64 v[56:57], v[28:29], v[20:21], -v[16:17]
	v_mul_f64 v[22:23], v[28:29], v[22:23]
	ds_read_b128 v[16:19], v34 offset:2560
	v_fmac_f64_e32 v[22:23], v[30:31], v[20:21]
	v_add_f64 v[30:31], v[22:23], v[50:51]
	ds_read_b128 v[20:23], v34 offset:2816
	v_add_f64 v[28:29], v[48:49], v[56:57]
	s_waitcnt lgkmcnt(1)
	v_mul_f64 v[48:49], v[26:27], v[18:19]
	v_fma_f64 v[48:49], v[24:25], v[16:17], -v[48:49]
	v_add_f64 v[48:49], v[52:53], v[48:49]
	s_waitcnt lgkmcnt(0)
	v_mul_f64 v[52:53], v[26:27], v[22:23]
	v_mul_f64 v[50:51], v[24:25], v[18:19]
	v_fma_f64 v[52:53], v[24:25], v[20:21], -v[52:53]
	v_mul_f64 v[24:25], v[24:25], v[22:23]
	v_fmac_f64_e32 v[24:25], v[26:27], v[20:21]
	v_add_f64 v[40:41], v[24:25], v[40:41]
	v_mul_f64 v[24:25], v[2:3], v[18:19]
	v_mul_f64 v[18:19], v[0:1], v[18:19]
	v_fmac_f64_e32 v[50:51], v[26:27], v[16:17]
	v_fma_f64 v[24:25], v[0:1], v[16:17], -v[24:25]
	v_fmac_f64_e32 v[18:19], v[2:3], v[16:17]
	v_mul_f64 v[16:17], v[2:3], v[22:23]
	v_mul_f64 v[22:23], v[0:1], v[22:23]
	v_add_f64 v[44:45], v[44:45], v[24:25]
	v_add_f64 v[46:47], v[18:19], v[46:47]
	v_fma_f64 v[24:25], v[0:1], v[20:21], -v[16:17]
	v_fmac_f64_e32 v[22:23], v[2:3], v[20:21]
	ds_read_b128 v[0:3], v35 offset:96
	ds_read_b128 v[16:19], v34 offset:3072
	v_add_f64 v[50:51], v[50:51], v[54:55]
	v_add_f64 v[42:43], v[42:43], v[52:53]
	;; [unrolled: 1-line block ×4, first 2 shown]
	ds_read_b128 v[20:23], v34 offset:3328
	ds_read_b128 v[24:27], v35 offset:112
	s_waitcnt lgkmcnt(2)
	v_mul_f64 v[28:29], v[2:3], v[18:19]
	v_fma_f64 v[28:29], v[0:1], v[16:17], -v[28:29]
	v_mul_f64 v[30:31], v[0:1], v[18:19]
	v_fmac_f64_e32 v[30:31], v[2:3], v[16:17]
	v_add_f64 v[48:49], v[48:49], v[28:29]
	s_waitcnt lgkmcnt(1)
	v_mul_f64 v[28:29], v[2:3], v[22:23]
	v_add_f64 v[50:51], v[30:31], v[50:51]
	v_fma_f64 v[56:57], v[0:1], v[20:21], -v[28:29]
	ds_read_b128 v[28:31], v35 offset:2144
	v_mul_f64 v[0:1], v[0:1], v[22:23]
	v_fmac_f64_e32 v[0:1], v[2:3], v[20:21]
	v_add_f64 v[58:59], v[0:1], v[40:41]
	ds_read_b128 v[0:3], v35 offset:2160
	s_waitcnt lgkmcnt(1)
	v_mul_f64 v[40:41], v[30:31], v[18:19]
	v_mul_f64 v[18:19], v[28:29], v[18:19]
	v_fma_f64 v[40:41], v[28:29], v[16:17], -v[40:41]
	v_fmac_f64_e32 v[18:19], v[30:31], v[16:17]
	v_mul_f64 v[16:17], v[30:31], v[22:23]
	v_add_f64 v[44:45], v[44:45], v[40:41]
	v_add_f64 v[46:47], v[18:19], v[46:47]
	v_fma_f64 v[40:41], v[28:29], v[20:21], -v[16:17]
	ds_read_b128 v[16:19], v34 offset:3584
	v_add_f64 v[56:57], v[42:43], v[56:57]
	v_add_f64 v[52:53], v[52:53], v[40:41]
	ds_read_b128 v[40:43], v34 offset:3840
	v_mul_f64 v[22:23], v[28:29], v[22:23]
	v_fmac_f64_e32 v[22:23], v[30:31], v[20:21]
	s_waitcnt lgkmcnt(1)
	v_mul_f64 v[20:21], v[26:27], v[18:19]
	v_fma_f64 v[20:21], v[24:25], v[16:17], -v[20:21]
	v_add_f64 v[54:55], v[22:23], v[54:55]
	v_mul_f64 v[22:23], v[24:25], v[18:19]
	v_add_f64 v[28:29], v[48:49], v[20:21]
	s_waitcnt lgkmcnt(0)
	v_mul_f64 v[20:21], v[26:27], v[42:43]
	v_fmac_f64_e32 v[22:23], v[26:27], v[16:17]
	v_fma_f64 v[20:21], v[24:25], v[40:41], -v[20:21]
	v_add_f64 v[30:31], v[22:23], v[50:51]
	v_mul_f64 v[22:23], v[24:25], v[42:43]
	v_add_f64 v[24:25], v[56:57], v[20:21]
	v_mul_f64 v[20:21], v[2:3], v[18:19]
	v_mul_f64 v[18:19], v[0:1], v[18:19]
	v_fma_f64 v[20:21], v[0:1], v[16:17], -v[20:21]
	v_fmac_f64_e32 v[18:19], v[2:3], v[16:17]
	v_mul_f64 v[16:17], v[2:3], v[42:43]
	v_fma_f64 v[16:17], v[0:1], v[40:41], -v[16:17]
	v_mul_f64 v[0:1], v[0:1], v[42:43]
	v_fmac_f64_e32 v[22:23], v[26:27], v[40:41]
	v_fmac_f64_e32 v[0:1], v[2:3], v[40:41]
	s_addc_u32 s13, s13, 0
	v_add_f64 v[26:27], v[22:23], v[58:59]
	v_add_f64 v[22:23], v[18:19], v[46:47]
	;; [unrolled: 1-line block ×4, first 2 shown]
	v_mov_b64_e32 v[0:1], s[12:13]
	v_cmp_gt_i64_e32 vcc, s[8:9], v[0:1]
	v_add_f64 v[20:21], v[44:45], v[20:21]
	s_barrier
	s_cbranch_vccz .LBB263_16
.LBB263_8:                              ; =>This Inner Loop Header: Depth=1
	s_mov_b64 s[22:23], s[10:11]
	s_mov_b64 s[16:17], 0
	s_and_saveexec_b64 s[18:19], s[0:1]
	s_cbranch_execnz .LBB263_14
; %bb.9:                                ;   in Loop: Header=BB263_8 Depth=1
	s_or_b64 exec, exec, s[18:19]
	s_and_saveexec_b64 s[18:19], s[22:23]
	s_xor_b64 s[18:19], exec, s[18:19]
	s_cbranch_execnz .LBB263_15
.LBB263_10:                             ;   in Loop: Header=BB263_8 Depth=1
	s_or_b64 exec, exec, s[18:19]
	s_and_saveexec_b64 s[18:19], s[16:17]
	s_cbranch_execz .LBB263_12
.LBB263_11:                             ;   in Loop: Header=BB263_8 Depth=1
	v_mul_lo_u32 v2, s15, v14
	v_mul_lo_u32 v3, s14, v15
	v_mad_u64_u32 v[0:1], s[16:17], s14, v14, 0
	v_add3_u32 v1, v1, v3, v2
	v_lshl_add_u64 v[0:1], v[0:1], 4, v[8:9]
	global_load_dwordx4 v[0:3], v[0:1], off
	s_waitcnt vmcnt(0)
	ds_write2_b64 v32, v[0:1], v[2:3] offset1:1
.LBB263_12:                             ;   in Loop: Header=BB263_8 Depth=1
	s_or_b64 exec, exec, s[18:19]
	v_add_u32_e32 v12, s12, v4
	v_cmp_gt_u64_e32 vcc, s[8:9], v[12:13]
	s_and_b64 s[18:19], vcc, s[2:3]
	v_mov_b64_e32 v[0:1], 0
	v_mov_b64_e32 v[2:3], 0
	s_and_saveexec_b64 s[16:17], s[18:19]
	s_cbranch_execz .LBB263_7
; %bb.13:                               ;   in Loop: Header=BB263_8 Depth=1
	v_mad_u64_u32 v[0:1], s[18:19], s20, v12, 0
	v_mov_b32_e32 v2, v1
	v_mad_u64_u32 v[2:3], s[18:19], s21, v12, v[2:3]
	v_mov_b32_e32 v1, v2
	v_lshl_add_u64 v[0:1], v[0:1], 4, v[10:11]
	global_load_dwordx4 v[0:3], v[0:1], off
	s_waitcnt vmcnt(0)
	v_xor_b32_e32 v3, 0x80000000, v3
	s_branch .LBB263_7
.LBB263_14:                             ;   in Loop: Header=BB263_8 Depth=1
	v_add_u32_e32 v12, s12, v6
	v_cmp_le_u64_e32 vcc, s[8:9], v[12:13]
	s_andn2_b64 s[22:23], s[10:11], exec
	s_and_b64 s[34:35], vcc, exec
	s_mov_b64 s[16:17], exec
	s_or_b64 s[22:23], s[22:23], s[34:35]
	v_mov_b64_e32 v[14:15], v[12:13]
	s_or_b64 exec, exec, s[18:19]
	s_and_saveexec_b64 s[18:19], s[22:23]
	s_xor_b64 s[18:19], exec, s[18:19]
	s_cbranch_execz .LBB263_10
.LBB263_15:                             ;   in Loop: Header=BB263_8 Depth=1
	ds_write_b128 v32, v[36:39]
	s_andn2_b64 s[16:17], s[16:17], exec
	s_or_b64 exec, exec, s[18:19]
	s_and_saveexec_b64 s[18:19], s[16:17]
	s_cbranch_execnz .LBB263_11
	s_branch .LBB263_12
.LBB263_16:
	s_mul_i32 s0, s31, s4
	s_mul_hi_u32 s1, s30, s4
	s_add_i32 s1, s1, s0
	s_mul_i32 s0, s30, s4
	s_lshl_b64 s[0:1], s[0:1], 4
	v_add_u32_e32 v10, s25, v7
	s_add_u32 s8, s26, s0
	v_ashrrev_i32_e32 v0, 31, v10
	s_addc_u32 s9, s27, s1
	v_add_u32_e32 v4, s5, v5
	v_cmp_neq_f64_e64 s[0:1], s[36:37], 0
	s_xor_b64 s[4:5], s[6:7], -1
	v_mul_lo_u32 v2, s28, v0
	v_mul_lo_u32 v3, s29, v10
	v_mad_u64_u32 v[0:1], s[2:3], s28, v10, 0
	v_add3_u32 v1, v1, v2, v3
	s_or_b64 s[0:1], s[0:1], s[4:5]
	v_lshl_add_u64 v[8:9], v[0:1], 4, s[8:9]
	v_cmp_le_i32_e32 vcc, v10, v4
	s_waitcnt lgkmcnt(0)
	v_cmp_gt_i32_e64 s[2:3], s24, v4
	v_cndmask_b32_e64 v0, 0, 1, s[0:1]
	s_and_b64 s[6:7], vcc, s[2:3]
	v_ashrrev_i32_e32 v5, 31, v4
	v_cmp_ne_u32_e64 s[0:1], 1, v0
	s_and_saveexec_b64 s[4:5], s[6:7]
	s_cbranch_execz .LBB263_20
; %bb.17:
	v_mul_f64 v[0:1], s[42:43], v[30:31]
	v_mul_f64 v[2:3], s[40:41], v[30:31]
	v_fma_f64 v[0:1], s[40:41], v[28:29], -v[0:1]
	v_fmac_f64_e32 v[2:3], s[42:43], v[28:29]
	s_and_b64 vcc, exec, s[0:1]
	v_lshl_add_u64 v[6:7], v[4:5], 4, v[8:9]
	s_cbranch_vccnz .LBB263_19
; %bb.18:
	global_load_dwordx4 v[12:15], v[6:7], off
	s_waitcnt vmcnt(0)
	v_mul_f64 v[28:29], s[38:39], v[14:15]
	v_mul_f64 v[14:15], s[36:37], v[14:15]
	v_fma_f64 v[28:29], s[36:37], v[12:13], -v[28:29]
	v_fmac_f64_e32 v[14:15], s[38:39], v[12:13]
	v_add_f64 v[0:1], v[0:1], v[28:29]
	v_add_f64 v[2:3], v[2:3], v[14:15]
.LBB263_19:
	global_store_dwordx4 v[6:7], v[0:3], off
.LBB263_20:
	s_or_b64 exec, exec, s[4:5]
	v_add_u32_e32 v6, 16, v4
	v_cmp_le_i32_e32 vcc, v10, v6
	v_cmp_gt_i32_e64 s[4:5], s24, v6
	s_and_b64 s[10:11], vcc, s[4:5]
	v_ashrrev_i32_e32 v7, 31, v6
	s_and_saveexec_b64 s[6:7], s[10:11]
	s_cbranch_execz .LBB263_24
; %bb.21:
	v_mul_f64 v[0:1], s[42:43], v[26:27]
	v_mul_f64 v[2:3], s[40:41], v[26:27]
	v_fma_f64 v[0:1], s[40:41], v[24:25], -v[0:1]
	v_fmac_f64_e32 v[2:3], s[42:43], v[24:25]
	s_and_b64 vcc, exec, s[0:1]
	v_lshl_add_u64 v[8:9], v[6:7], 4, v[8:9]
	s_cbranch_vccnz .LBB263_23
; %bb.22:
	global_load_dwordx4 v[12:15], v[8:9], off
	s_waitcnt vmcnt(0)
	v_mul_f64 v[24:25], s[38:39], v[14:15]
	v_mul_f64 v[14:15], s[36:37], v[14:15]
	v_fma_f64 v[24:25], s[36:37], v[12:13], -v[24:25]
	v_fmac_f64_e32 v[14:15], s[38:39], v[12:13]
	v_add_f64 v[0:1], v[0:1], v[24:25]
	v_add_f64 v[2:3], v[2:3], v[14:15]
.LBB263_23:
	global_store_dwordx4 v[8:9], v[0:3], off
.LBB263_24:
	s_or_b64 exec, exec, s[6:7]
	v_add_u32_e32 v10, 16, v10
	v_ashrrev_i32_e32 v0, 31, v10
	v_mul_lo_u32 v2, s28, v0
	v_mul_lo_u32 v3, s29, v10
	v_mad_u64_u32 v[0:1], s[6:7], s28, v10, 0
	v_add3_u32 v1, v1, v2, v3
	v_cmp_le_i32_e32 vcc, v10, v4
	v_lshl_add_u64 v[8:9], v[0:1], 4, s[8:9]
	s_and_b64 s[6:7], vcc, s[2:3]
	s_and_saveexec_b64 s[2:3], s[6:7]
	s_cbranch_execz .LBB263_28
; %bb.25:
	v_mul_f64 v[0:1], s[42:43], v[22:23]
	v_mul_f64 v[2:3], s[40:41], v[22:23]
	v_fma_f64 v[0:1], s[40:41], v[20:21], -v[0:1]
	v_fmac_f64_e32 v[2:3], s[42:43], v[20:21]
	s_and_b64 vcc, exec, s[0:1]
	v_lshl_add_u64 v[4:5], v[4:5], 4, v[8:9]
	s_cbranch_vccnz .LBB263_27
; %bb.26:
	global_load_dwordx4 v[12:15], v[4:5], off
	s_waitcnt vmcnt(0)
	v_mul_f64 v[20:21], s[38:39], v[14:15]
	v_mul_f64 v[14:15], s[36:37], v[14:15]
	v_fma_f64 v[20:21], s[36:37], v[12:13], -v[20:21]
	v_fmac_f64_e32 v[14:15], s[38:39], v[12:13]
	v_add_f64 v[0:1], v[0:1], v[20:21]
	v_add_f64 v[2:3], v[2:3], v[14:15]
.LBB263_27:
	global_store_dwordx4 v[4:5], v[0:3], off
.LBB263_28:
	s_or_b64 exec, exec, s[2:3]
	v_cmp_le_i32_e32 vcc, v10, v6
	s_and_b64 s[2:3], vcc, s[4:5]
	s_and_saveexec_b64 s[4:5], s[2:3]
	s_cbranch_execz .LBB263_32
; %bb.29:
	v_mul_f64 v[0:1], s[42:43], v[16:17]
	v_mul_f64 v[2:3], s[40:41], v[16:17]
	v_fma_f64 v[0:1], s[40:41], v[18:19], -v[0:1]
	v_fmac_f64_e32 v[2:3], s[42:43], v[18:19]
	s_and_b64 vcc, exec, s[0:1]
	v_lshl_add_u64 v[4:5], v[6:7], 4, v[8:9]
	s_cbranch_vccnz .LBB263_31
; %bb.30:
	global_load_dwordx4 v[6:9], v[4:5], off
	s_waitcnt vmcnt(0)
	v_mul_f64 v[10:11], s[38:39], v[8:9]
	v_mul_f64 v[8:9], s[36:37], v[8:9]
	v_fma_f64 v[10:11], s[36:37], v[6:7], -v[10:11]
	v_fmac_f64_e32 v[8:9], s[38:39], v[6:7]
	v_add_f64 v[0:1], v[0:1], v[10:11]
	v_add_f64 v[2:3], v[2:3], v[8:9]
.LBB263_31:
	global_store_dwordx4 v[4:5], v[0:3], off
.LBB263_32:
	s_endpgm
	.section	.rodata,"a",@progbits
	.p2align	6, 0x0
	.amdhsa_kernel _ZL29rocblas_internal_gemmt_kernelIlLi16ELi32ELi8ELc78ELc67ELc76ELb0ELb1E19rocblas_complex_numIdEPKS1_S3_PS1_EviT_T9_T10_S5_lS7_S5_lS6_T11_S5_li
		.amdhsa_group_segment_fixed_size 8192
		.amdhsa_private_segment_fixed_size 0
		.amdhsa_kernarg_size 108
		.amdhsa_user_sgpr_count 2
		.amdhsa_user_sgpr_dispatch_ptr 0
		.amdhsa_user_sgpr_queue_ptr 0
		.amdhsa_user_sgpr_kernarg_segment_ptr 1
		.amdhsa_user_sgpr_dispatch_id 0
		.amdhsa_user_sgpr_kernarg_preload_length 0
		.amdhsa_user_sgpr_kernarg_preload_offset 0
		.amdhsa_user_sgpr_private_segment_size 0
		.amdhsa_uses_dynamic_stack 0
		.amdhsa_enable_private_segment 0
		.amdhsa_system_sgpr_workgroup_id_x 1
		.amdhsa_system_sgpr_workgroup_id_y 1
		.amdhsa_system_sgpr_workgroup_id_z 1
		.amdhsa_system_sgpr_workgroup_info 0
		.amdhsa_system_vgpr_workitem_id 1
		.amdhsa_next_free_vgpr 66
		.amdhsa_next_free_sgpr 44
		.amdhsa_accum_offset 68
		.amdhsa_reserve_vcc 1
		.amdhsa_float_round_mode_32 0
		.amdhsa_float_round_mode_16_64 0
		.amdhsa_float_denorm_mode_32 3
		.amdhsa_float_denorm_mode_16_64 3
		.amdhsa_dx10_clamp 1
		.amdhsa_ieee_mode 1
		.amdhsa_fp16_overflow 0
		.amdhsa_tg_split 0
		.amdhsa_exception_fp_ieee_invalid_op 0
		.amdhsa_exception_fp_denorm_src 0
		.amdhsa_exception_fp_ieee_div_zero 0
		.amdhsa_exception_fp_ieee_overflow 0
		.amdhsa_exception_fp_ieee_underflow 0
		.amdhsa_exception_fp_ieee_inexact 0
		.amdhsa_exception_int_div_zero 0
	.end_amdhsa_kernel
	.section	.text._ZL29rocblas_internal_gemmt_kernelIlLi16ELi32ELi8ELc78ELc67ELc76ELb0ELb1E19rocblas_complex_numIdEPKS1_S3_PS1_EviT_T9_T10_S5_lS7_S5_lS6_T11_S5_li,"axG",@progbits,_ZL29rocblas_internal_gemmt_kernelIlLi16ELi32ELi8ELc78ELc67ELc76ELb0ELb1E19rocblas_complex_numIdEPKS1_S3_PS1_EviT_T9_T10_S5_lS7_S5_lS6_T11_S5_li,comdat
.Lfunc_end263:
	.size	_ZL29rocblas_internal_gemmt_kernelIlLi16ELi32ELi8ELc78ELc67ELc76ELb0ELb1E19rocblas_complex_numIdEPKS1_S3_PS1_EviT_T9_T10_S5_lS7_S5_lS6_T11_S5_li, .Lfunc_end263-_ZL29rocblas_internal_gemmt_kernelIlLi16ELi32ELi8ELc78ELc67ELc76ELb0ELb1E19rocblas_complex_numIdEPKS1_S3_PS1_EviT_T9_T10_S5_lS7_S5_lS6_T11_S5_li
                                        ; -- End function
	.set _ZL29rocblas_internal_gemmt_kernelIlLi16ELi32ELi8ELc78ELc67ELc76ELb0ELb1E19rocblas_complex_numIdEPKS1_S3_PS1_EviT_T9_T10_S5_lS7_S5_lS6_T11_S5_li.num_vgpr, 66
	.set _ZL29rocblas_internal_gemmt_kernelIlLi16ELi32ELi8ELc78ELc67ELc76ELb0ELb1E19rocblas_complex_numIdEPKS1_S3_PS1_EviT_T9_T10_S5_lS7_S5_lS6_T11_S5_li.num_agpr, 0
	.set _ZL29rocblas_internal_gemmt_kernelIlLi16ELi32ELi8ELc78ELc67ELc76ELb0ELb1E19rocblas_complex_numIdEPKS1_S3_PS1_EviT_T9_T10_S5_lS7_S5_lS6_T11_S5_li.numbered_sgpr, 44
	.set _ZL29rocblas_internal_gemmt_kernelIlLi16ELi32ELi8ELc78ELc67ELc76ELb0ELb1E19rocblas_complex_numIdEPKS1_S3_PS1_EviT_T9_T10_S5_lS7_S5_lS6_T11_S5_li.num_named_barrier, 0
	.set _ZL29rocblas_internal_gemmt_kernelIlLi16ELi32ELi8ELc78ELc67ELc76ELb0ELb1E19rocblas_complex_numIdEPKS1_S3_PS1_EviT_T9_T10_S5_lS7_S5_lS6_T11_S5_li.private_seg_size, 0
	.set _ZL29rocblas_internal_gemmt_kernelIlLi16ELi32ELi8ELc78ELc67ELc76ELb0ELb1E19rocblas_complex_numIdEPKS1_S3_PS1_EviT_T9_T10_S5_lS7_S5_lS6_T11_S5_li.uses_vcc, 1
	.set _ZL29rocblas_internal_gemmt_kernelIlLi16ELi32ELi8ELc78ELc67ELc76ELb0ELb1E19rocblas_complex_numIdEPKS1_S3_PS1_EviT_T9_T10_S5_lS7_S5_lS6_T11_S5_li.uses_flat_scratch, 0
	.set _ZL29rocblas_internal_gemmt_kernelIlLi16ELi32ELi8ELc78ELc67ELc76ELb0ELb1E19rocblas_complex_numIdEPKS1_S3_PS1_EviT_T9_T10_S5_lS7_S5_lS6_T11_S5_li.has_dyn_sized_stack, 0
	.set _ZL29rocblas_internal_gemmt_kernelIlLi16ELi32ELi8ELc78ELc67ELc76ELb0ELb1E19rocblas_complex_numIdEPKS1_S3_PS1_EviT_T9_T10_S5_lS7_S5_lS6_T11_S5_li.has_recursion, 0
	.set _ZL29rocblas_internal_gemmt_kernelIlLi16ELi32ELi8ELc78ELc67ELc76ELb0ELb1E19rocblas_complex_numIdEPKS1_S3_PS1_EviT_T9_T10_S5_lS7_S5_lS6_T11_S5_li.has_indirect_call, 0
	.section	.AMDGPU.csdata,"",@progbits
; Kernel info:
; codeLenInByte = 3228
; TotalNumSgprs: 50
; NumVgprs: 66
; NumAgprs: 0
; TotalNumVgprs: 66
; ScratchSize: 0
; MemoryBound: 1
; FloatMode: 240
; IeeeMode: 1
; LDSByteSize: 8192 bytes/workgroup (compile time only)
; SGPRBlocks: 6
; VGPRBlocks: 8
; NumSGPRsForWavesPerEU: 50
; NumVGPRsForWavesPerEU: 66
; AccumOffset: 68
; Occupancy: 7
; WaveLimiterHint : 0
; COMPUTE_PGM_RSRC2:SCRATCH_EN: 0
; COMPUTE_PGM_RSRC2:USER_SGPR: 2
; COMPUTE_PGM_RSRC2:TRAP_HANDLER: 0
; COMPUTE_PGM_RSRC2:TGID_X_EN: 1
; COMPUTE_PGM_RSRC2:TGID_Y_EN: 1
; COMPUTE_PGM_RSRC2:TGID_Z_EN: 1
; COMPUTE_PGM_RSRC2:TIDIG_COMP_CNT: 1
; COMPUTE_PGM_RSRC3_GFX90A:ACCUM_OFFSET: 16
; COMPUTE_PGM_RSRC3_GFX90A:TG_SPLIT: 0
	.section	.text._ZL29rocblas_internal_gemmt_kernelIlLi16ELi32ELi8ELc84ELc78ELc76ELb0ELb0E19rocblas_complex_numIdEPKS1_S3_PS1_EviT_T9_T10_S5_lS7_S5_lS6_T11_S5_li,"axG",@progbits,_ZL29rocblas_internal_gemmt_kernelIlLi16ELi32ELi8ELc84ELc78ELc76ELb0ELb0E19rocblas_complex_numIdEPKS1_S3_PS1_EviT_T9_T10_S5_lS7_S5_lS6_T11_S5_li,comdat
	.globl	_ZL29rocblas_internal_gemmt_kernelIlLi16ELi32ELi8ELc84ELc78ELc76ELb0ELb0E19rocblas_complex_numIdEPKS1_S3_PS1_EviT_T9_T10_S5_lS7_S5_lS6_T11_S5_li ; -- Begin function _ZL29rocblas_internal_gemmt_kernelIlLi16ELi32ELi8ELc84ELc78ELc76ELb0ELb0E19rocblas_complex_numIdEPKS1_S3_PS1_EviT_T9_T10_S5_lS7_S5_lS6_T11_S5_li
	.p2align	8
	.type	_ZL29rocblas_internal_gemmt_kernelIlLi16ELi32ELi8ELc84ELc78ELc76ELb0ELb0E19rocblas_complex_numIdEPKS1_S3_PS1_EviT_T9_T10_S5_lS7_S5_lS6_T11_S5_li,@function
_ZL29rocblas_internal_gemmt_kernelIlLi16ELi32ELi8ELc84ELc78ELc76ELb0ELb0E19rocblas_complex_numIdEPKS1_S3_PS1_EviT_T9_T10_S5_lS7_S5_lS6_T11_S5_li: ; @_ZL29rocblas_internal_gemmt_kernelIlLi16ELi32ELi8ELc84ELc78ELc76ELb0ELb0E19rocblas_complex_numIdEPKS1_S3_PS1_EviT_T9_T10_S5_lS7_S5_lS6_T11_S5_li
; %bb.0:
	s_load_dwordx8 s[24:31], s[0:1], 0x48
	s_load_dwordx16 s[8:23], s[0:1], 0x8
	s_waitcnt lgkmcnt(0)
	s_load_dwordx4 s[36:39], s[24:25], 0x0
	s_load_dwordx4 s[40:43], s[10:11], 0x0
	s_mov_b64 s[24:25], 0
	s_waitcnt lgkmcnt(0)
	v_cmp_eq_f64_e64 s[10:11], s[36:37], 1.0
	v_cmp_eq_f64_e64 s[6:7], s[38:39], 0
	s_and_b64 s[10:11], s[10:11], s[6:7]
	s_andn2_b64 vcc, exec, s[10:11]
	s_mov_b64 s[10:11], -1
	s_cbranch_vccnz .LBB264_4
; %bb.1:
	s_cmp_lg_u64 s[8:9], 0
	s_cbranch_scc0 .LBB264_3
; %bb.2:
	v_cmp_neq_f64_e64 s[10:11], s[40:41], 0
	v_cmp_neq_f64_e64 s[24:25], s[42:43], 0
	s_or_b64 s[24:25], s[10:11], s[24:25]
.LBB264_3:
	s_mov_b64 s[10:11], s[24:25]
.LBB264_4:
	s_and_b64 vcc, exec, s[10:11]
	s_cbranch_vccz .LBB264_34
; %bb.5:
	s_load_dword s24, s[0:1], 0x0
	s_lshl_b32 s5, s2, 5
	s_lshl_b32 s25, s3, 5
	v_cmp_eq_f64_e64 s[0:1], s[40:41], 0
	v_cmp_eq_f64_e64 s[2:3], s[42:43], 0
	s_and_b64 s[0:1], s[0:1], s[2:3]
	v_cmp_lt_i64_e64 s[2:3], s[8:9], 1
	s_or_b64 s[0:1], s[0:1], s[2:3]
	v_and_b32_e32 v1, 0x3ff, v0
	v_bfe_u32 v3, v0, 10, 10
	v_mov_b64_e32 v[24:25], 0
	s_and_b64 vcc, exec, s[0:1]
	v_mov_b64_e32 v[26:27], 0
	v_mov_b64_e32 v[16:17], 0
	;; [unrolled: 1-line block ×7, first 2 shown]
	s_cbranch_vccnz .LBB264_18
; %bb.6:
	s_mul_i32 s0, s23, s4
	s_mul_hi_u32 s1, s22, s4
	s_add_i32 s1, s1, s0
	s_mul_i32 s0, s22, s4
	s_lshl_b64 s[0:1], s[0:1], 4
	s_add_u32 s10, s18, s0
	s_addc_u32 s11, s19, s1
	s_mul_i32 s0, s17, s4
	s_mul_hi_u32 s1, s16, s4
	s_add_i32 s1, s1, s0
	s_mul_i32 s0, s16, s4
	v_lshl_add_u32 v4, v3, 4, v1
	s_lshl_b64 s[0:1], s[0:1], 4
	v_lshrrev_b32_e32 v2, 5, v4
	v_lshrrev_b32_e32 v6, 3, v4
	v_and_b32_e32 v4, 31, v4
	s_add_u32 s12, s12, s0
	v_or_b32_e32 v5, s5, v4
	s_addc_u32 s13, s13, s1
	v_lshlrev_b32_e32 v4, 4, v4
	s_ashr_i32 s18, s5, 31
	v_and_b32_e32 v0, 7, v1
	s_waitcnt lgkmcnt(0)
	v_cmp_gt_i32_e64 s[0:1], s24, v5
	v_cmp_le_i32_e64 s[2:3], s24, v5
	v_lshl_or_b32 v28, v2, 9, v4
	v_mul_lo_u32 v8, s15, v5
	v_mad_u64_u32 v[4:5], s[16:17], s14, v5, 0
	s_mul_i32 s14, s14, s18
	v_add3_u32 v5, v5, s14, v8
	v_lshlrev_b32_e32 v8, 4, v0
	v_add_u32_e32 v7, s25, v6
	v_lshl_or_b32 v6, v6, 7, v8
	v_add_u32_e32 v29, 0x1000, v6
	v_ashrrev_i32_e32 v6, 31, v7
	v_lshl_add_u64 v[4:5], v[4:5], 4, s[12:13]
	v_cmp_gt_i32_e32 vcc, s24, v7
	v_mul_lo_u32 v8, s20, v6
	v_mul_lo_u32 v9, s21, v7
	v_mad_u64_u32 v[6:7], s[12:13], s20, v7, 0
	v_add3_u32 v7, v7, v8, v9
	v_mov_b32_e32 v8, 0x1000
	v_mov_b32_e32 v9, 0
	v_lshl_add_u64 v[6:7], v[6:7], 4, s[10:11]
	v_lshlrev_b32_e32 v30, 4, v1
	v_lshl_add_u32 v31, v3, 7, v8
	v_mov_b64_e32 v[12:13], 0
	s_mov_b64 s[10:11], 0
	s_xor_b64 s[12:13], vcc, -1
	v_mov_b32_e32 v32, v9
	v_mov_b32_e32 v33, v9
	;; [unrolled: 1-line block ×4, first 2 shown]
	v_mov_b64_e32 v[14:15], 0
	v_mov_b64_e32 v[22:23], 0
	;; [unrolled: 1-line block ×7, first 2 shown]
                                        ; implicit-def: $vgpr10_vgpr11
	s_branch .LBB264_8
.LBB264_7:                              ;   in Loop: Header=BB264_8 Depth=1
	s_or_b64 exec, exec, s[14:15]
	s_waitcnt lgkmcnt(0)
	s_barrier
	ds_read_b128 v[36:39], v31
	ds_read_b128 v[40:43], v31 offset:16
	ds_read_b128 v[44:47], v31 offset:32
	;; [unrolled: 1-line block ×3, first 2 shown]
	ds_read_b128 v[52:55], v30
	s_add_u32 s10, s10, 8
	s_addc_u32 s11, s11, 0
	s_waitcnt lgkmcnt(0)
	v_mul_f64 v[56:57], v[38:39], v[54:55]
	v_mul_f64 v[58:59], v[36:37], v[54:55]
	v_fma_f64 v[56:57], v[36:37], v[52:53], -v[56:57]
	v_fmac_f64_e32 v[58:59], v[38:39], v[52:53]
	v_add_f64 v[56:57], v[24:25], v[56:57]
	v_add_f64 v[58:59], v[58:59], v[26:27]
	ds_read_b128 v[24:27], v30 offset:256
	s_waitcnt lgkmcnt(0)
	v_mul_f64 v[60:61], v[38:39], v[26:27]
	v_fma_f64 v[60:61], v[36:37], v[24:25], -v[60:61]
	v_mul_f64 v[36:37], v[36:37], v[26:27]
	v_fmac_f64_e32 v[36:37], v[38:39], v[24:25]
	v_add_f64 v[38:39], v[16:17], v[60:61]
	v_add_f64 v[36:37], v[36:37], v[18:19]
	ds_read_b128 v[16:19], v31 offset:2048
	s_waitcnt lgkmcnt(0)
	v_mul_f64 v[60:61], v[18:19], v[54:55]
	v_fma_f64 v[60:61], v[16:17], v[52:53], -v[60:61]
	v_mul_f64 v[54:55], v[16:17], v[54:55]
	v_fmac_f64_e32 v[54:55], v[18:19], v[52:53]
	v_add_f64 v[52:53], v[20:21], v[60:61]
	v_mul_f64 v[20:21], v[18:19], v[26:27]
	v_fma_f64 v[20:21], v[16:17], v[24:25], -v[20:21]
	v_mul_f64 v[16:17], v[16:17], v[26:27]
	v_fmac_f64_e32 v[16:17], v[18:19], v[24:25]
	v_add_f64 v[24:25], v[14:15], v[20:21]
	v_add_f64 v[26:27], v[16:17], v[12:13]
	ds_read_b128 v[12:15], v30 offset:512
	v_add_f64 v[54:55], v[54:55], v[22:23]
	s_waitcnt lgkmcnt(0)
	v_mul_f64 v[16:17], v[42:43], v[14:15]
	v_mul_f64 v[18:19], v[40:41], v[14:15]
	v_fma_f64 v[16:17], v[40:41], v[12:13], -v[16:17]
	v_fmac_f64_e32 v[18:19], v[42:43], v[12:13]
	v_add_f64 v[56:57], v[56:57], v[16:17]
	v_add_f64 v[58:59], v[18:19], v[58:59]
	ds_read_b128 v[16:19], v30 offset:768
	s_waitcnt lgkmcnt(0)
	v_mul_f64 v[20:21], v[42:43], v[18:19]
	v_mul_f64 v[22:23], v[40:41], v[18:19]
	v_fma_f64 v[20:21], v[40:41], v[16:17], -v[20:21]
	v_fmac_f64_e32 v[22:23], v[42:43], v[16:17]
	v_add_f64 v[38:39], v[38:39], v[20:21]
	v_add_f64 v[36:37], v[22:23], v[36:37]
	ds_read_b128 v[20:23], v31 offset:2064
	s_waitcnt lgkmcnt(0)
	v_mul_f64 v[40:41], v[22:23], v[14:15]
	v_mul_f64 v[14:15], v[20:21], v[14:15]
	v_fmac_f64_e32 v[14:15], v[22:23], v[12:13]
	v_fma_f64 v[40:41], v[20:21], v[12:13], -v[40:41]
	v_add_f64 v[42:43], v[14:15], v[54:55]
	v_mul_f64 v[12:13], v[22:23], v[18:19]
	v_mul_f64 v[14:15], v[20:21], v[18:19]
	v_fma_f64 v[12:13], v[20:21], v[16:17], -v[12:13]
	v_fmac_f64_e32 v[14:15], v[22:23], v[16:17]
	v_add_f64 v[24:25], v[24:25], v[12:13]
	v_add_f64 v[26:27], v[14:15], v[26:27]
	ds_read_b128 v[12:15], v30 offset:1024
	v_add_f64 v[40:41], v[52:53], v[40:41]
	s_waitcnt lgkmcnt(0)
	v_mul_f64 v[16:17], v[46:47], v[14:15]
	v_mul_f64 v[18:19], v[44:45], v[14:15]
	v_fma_f64 v[16:17], v[44:45], v[12:13], -v[16:17]
	v_fmac_f64_e32 v[18:19], v[46:47], v[12:13]
	v_add_f64 v[52:53], v[56:57], v[16:17]
	v_add_f64 v[54:55], v[18:19], v[58:59]
	ds_read_b128 v[16:19], v30 offset:1280
	s_waitcnt lgkmcnt(0)
	v_mul_f64 v[20:21], v[46:47], v[18:19]
	v_mul_f64 v[22:23], v[44:45], v[18:19]
	v_fma_f64 v[20:21], v[44:45], v[16:17], -v[20:21]
	v_fmac_f64_e32 v[22:23], v[46:47], v[16:17]
	v_add_f64 v[38:39], v[38:39], v[20:21]
	v_add_f64 v[36:37], v[22:23], v[36:37]
	ds_read_b128 v[20:23], v31 offset:2080
	s_waitcnt lgkmcnt(0)
	v_mul_f64 v[44:45], v[22:23], v[14:15]
	v_mul_f64 v[14:15], v[20:21], v[14:15]
	v_fmac_f64_e32 v[14:15], v[22:23], v[12:13]
	v_fma_f64 v[44:45], v[20:21], v[12:13], -v[44:45]
	v_add_f64 v[42:43], v[14:15], v[42:43]
	v_mul_f64 v[12:13], v[22:23], v[18:19]
	v_mul_f64 v[14:15], v[20:21], v[18:19]
	v_fma_f64 v[12:13], v[20:21], v[16:17], -v[12:13]
	;; [unrolled: 30-line block ×3, first 2 shown]
	v_fmac_f64_e32 v[14:15], v[22:23], v[16:17]
	v_add_f64 v[24:25], v[24:25], v[12:13]
	v_add_f64 v[26:27], v[14:15], v[26:27]
	ds_read_b128 v[12:15], v31 offset:64
	ds_read_b128 v[16:19], v30 offset:2048
	v_add_f64 v[40:41], v[40:41], v[48:49]
	s_waitcnt lgkmcnt(0)
	v_mul_f64 v[20:21], v[14:15], v[18:19]
	v_mul_f64 v[22:23], v[12:13], v[18:19]
	v_fma_f64 v[20:21], v[12:13], v[16:17], -v[20:21]
	v_fmac_f64_e32 v[22:23], v[14:15], v[16:17]
	v_add_f64 v[44:45], v[44:45], v[20:21]
	v_add_f64 v[46:47], v[22:23], v[46:47]
	ds_read_b128 v[20:23], v30 offset:2304
	s_waitcnt lgkmcnt(0)
	v_mul_f64 v[48:49], v[14:15], v[22:23]
	v_fma_f64 v[48:49], v[12:13], v[20:21], -v[48:49]
	v_mul_f64 v[12:13], v[12:13], v[22:23]
	v_fmac_f64_e32 v[12:13], v[14:15], v[20:21]
	v_add_f64 v[36:37], v[12:13], v[36:37]
	ds_read_b128 v[12:15], v31 offset:2112
	v_add_f64 v[38:39], v[38:39], v[48:49]
	s_waitcnt lgkmcnt(0)
	v_mul_f64 v[48:49], v[14:15], v[18:19]
	v_mul_f64 v[18:19], v[12:13], v[18:19]
	v_fma_f64 v[48:49], v[12:13], v[16:17], -v[48:49]
	v_fmac_f64_e32 v[18:19], v[14:15], v[16:17]
	v_mul_f64 v[16:17], v[14:15], v[22:23]
	v_fma_f64 v[16:17], v[12:13], v[20:21], -v[16:17]
	v_mul_f64 v[12:13], v[12:13], v[22:23]
	v_fmac_f64_e32 v[12:13], v[14:15], v[20:21]
	v_add_f64 v[42:43], v[18:19], v[42:43]
	v_add_f64 v[24:25], v[24:25], v[16:17]
	v_add_f64 v[26:27], v[12:13], v[26:27]
	ds_read_b128 v[12:15], v31 offset:80
	ds_read_b128 v[16:19], v30 offset:2560
	v_add_f64 v[40:41], v[40:41], v[48:49]
	s_waitcnt lgkmcnt(0)
	v_mul_f64 v[20:21], v[14:15], v[18:19]
	v_mul_f64 v[22:23], v[12:13], v[18:19]
	v_fma_f64 v[20:21], v[12:13], v[16:17], -v[20:21]
	v_fmac_f64_e32 v[22:23], v[14:15], v[16:17]
	v_add_f64 v[44:45], v[44:45], v[20:21]
	v_add_f64 v[46:47], v[22:23], v[46:47]
	ds_read_b128 v[20:23], v30 offset:2816
	s_waitcnt lgkmcnt(0)
	v_mul_f64 v[48:49], v[14:15], v[22:23]
	v_fma_f64 v[48:49], v[12:13], v[20:21], -v[48:49]
	v_mul_f64 v[12:13], v[12:13], v[22:23]
	v_fmac_f64_e32 v[12:13], v[14:15], v[20:21]
	v_add_f64 v[36:37], v[12:13], v[36:37]
	ds_read_b128 v[12:15], v31 offset:2128
	v_add_f64 v[38:39], v[38:39], v[48:49]
	s_waitcnt lgkmcnt(0)
	v_mul_f64 v[48:49], v[14:15], v[18:19]
	v_mul_f64 v[18:19], v[12:13], v[18:19]
	v_fma_f64 v[48:49], v[12:13], v[16:17], -v[48:49]
	v_fmac_f64_e32 v[18:19], v[14:15], v[16:17]
	v_mul_f64 v[16:17], v[14:15], v[22:23]
	v_fma_f64 v[16:17], v[12:13], v[20:21], -v[16:17]
	v_mul_f64 v[12:13], v[12:13], v[22:23]
	v_fmac_f64_e32 v[12:13], v[14:15], v[20:21]
	v_add_f64 v[42:43], v[18:19], v[42:43]
	;; [unrolled: 31-line block ×3, first 2 shown]
	ds_read_b128 v[12:15], v31 offset:112
	ds_read_b128 v[20:23], v30 offset:3584
	v_add_f64 v[40:41], v[40:41], v[36:37]
	ds_read_b128 v[36:39], v30 offset:3840
	v_add_f64 v[52:53], v[24:25], v[16:17]
	v_add_f64 v[42:43], v[18:19], v[42:43]
	s_waitcnt lgkmcnt(1)
	v_mul_f64 v[16:17], v[14:15], v[22:23]
	v_fma_f64 v[16:17], v[12:13], v[20:21], -v[16:17]
	v_add_f64 v[24:25], v[44:45], v[16:17]
	s_waitcnt lgkmcnt(0)
	v_mul_f64 v[16:17], v[14:15], v[38:39]
	v_mul_f64 v[18:19], v[12:13], v[22:23]
	v_fma_f64 v[16:17], v[12:13], v[36:37], -v[16:17]
	v_mul_f64 v[12:13], v[12:13], v[38:39]
	v_fmac_f64_e32 v[18:19], v[14:15], v[20:21]
	v_fmac_f64_e32 v[12:13], v[14:15], v[36:37]
	v_add_f64 v[26:27], v[18:19], v[46:47]
	v_add_f64 v[18:19], v[12:13], v[50:51]
	ds_read_b128 v[12:15], v31 offset:2160
	v_add_f64 v[16:17], v[48:49], v[16:17]
	s_waitcnt lgkmcnt(0)
	s_barrier
	v_mul_f64 v[44:45], v[14:15], v[22:23]
	v_fma_f64 v[44:45], v[12:13], v[20:21], -v[44:45]
	v_mul_f64 v[22:23], v[12:13], v[22:23]
	v_fmac_f64_e32 v[22:23], v[14:15], v[20:21]
	v_add_f64 v[20:21], v[40:41], v[44:45]
	v_mul_f64 v[40:41], v[14:15], v[38:39]
	v_fma_f64 v[40:41], v[12:13], v[36:37], -v[40:41]
	v_mul_f64 v[12:13], v[12:13], v[38:39]
	v_fmac_f64_e32 v[12:13], v[14:15], v[36:37]
	v_mov_b64_e32 v[36:37], s[10:11]
	v_cmp_gt_i64_e32 vcc, s[8:9], v[36:37]
	v_add_f64 v[22:23], v[22:23], v[42:43]
	v_add_f64 v[14:15], v[52:53], v[40:41]
	;; [unrolled: 1-line block ×3, first 2 shown]
	s_cbranch_vccz .LBB264_18
.LBB264_8:                              ; =>This Inner Loop Header: Depth=1
	s_mov_b64 s[18:19], s[2:3]
	s_mov_b64 s[14:15], 0
	s_and_saveexec_b64 s[16:17], s[0:1]
	s_cbranch_execnz .LBB264_16
; %bb.9:                                ;   in Loop: Header=BB264_8 Depth=1
	s_or_b64 exec, exec, s[16:17]
	s_and_saveexec_b64 s[16:17], s[18:19]
	s_xor_b64 s[16:17], exec, s[16:17]
	s_cbranch_execnz .LBB264_17
.LBB264_10:                             ;   in Loop: Header=BB264_8 Depth=1
	s_or_b64 exec, exec, s[16:17]
	s_and_saveexec_b64 s[16:17], s[14:15]
	s_cbranch_execz .LBB264_12
.LBB264_11:                             ;   in Loop: Header=BB264_8 Depth=1
	v_lshl_add_u64 v[36:37], v[10:11], 4, v[4:5]
	global_load_dwordx4 v[36:39], v[36:37], off
	s_waitcnt vmcnt(0)
	ds_write2_b64 v28, v[36:37], v[38:39] offset1:1
.LBB264_12:                             ;   in Loop: Header=BB264_8 Depth=1
	s_or_b64 exec, exec, s[16:17]
	v_add_u32_e32 v8, s10, v0
	v_cmp_le_u64_e32 vcc, s[8:9], v[8:9]
	s_or_b64 s[14:15], vcc, s[12:13]
	s_and_saveexec_b64 s[16:17], s[14:15]
	s_xor_b64 s[14:15], exec, s[16:17]
; %bb.13:                               ;   in Loop: Header=BB264_8 Depth=1
	ds_write_b128 v29, v[32:35]
; %bb.14:                               ;   in Loop: Header=BB264_8 Depth=1
	s_andn2_saveexec_b64 s[14:15], s[14:15]
	s_cbranch_execz .LBB264_7
; %bb.15:                               ;   in Loop: Header=BB264_8 Depth=1
	v_lshl_add_u64 v[36:37], v[8:9], 4, v[6:7]
	global_load_dwordx4 v[36:39], v[36:37], off
	s_waitcnt vmcnt(0)
	ds_write2_b64 v29, v[36:37], v[38:39] offset1:1
	s_branch .LBB264_7
.LBB264_16:                             ;   in Loop: Header=BB264_8 Depth=1
	v_add_u32_e32 v8, s10, v2
	v_cmp_le_u64_e32 vcc, s[8:9], v[8:9]
	s_andn2_b64 s[18:19], s[2:3], exec
	s_and_b64 s[20:21], vcc, exec
	s_mov_b64 s[14:15], exec
	s_or_b64 s[18:19], s[18:19], s[20:21]
	v_mov_b64_e32 v[10:11], v[8:9]
	s_or_b64 exec, exec, s[16:17]
	s_and_saveexec_b64 s[16:17], s[18:19]
	s_xor_b64 s[16:17], exec, s[16:17]
	s_cbranch_execz .LBB264_10
.LBB264_17:                             ;   in Loop: Header=BB264_8 Depth=1
	ds_write_b128 v28, v[32:35]
	s_andn2_b64 s[14:15], s[14:15], exec
	s_or_b64 exec, exec, s[16:17]
	s_and_saveexec_b64 s[16:17], s[14:15]
	s_cbranch_execnz .LBB264_11
	s_branch .LBB264_12
.LBB264_18:
	s_mul_i32 s0, s31, s4
	s_mul_hi_u32 s1, s30, s4
	s_add_i32 s1, s1, s0
	s_mul_i32 s0, s30, s4
	s_lshl_b64 s[0:1], s[0:1], 4
	v_add_u32_e32 v10, s25, v3
	s_add_u32 s8, s26, s0
	v_ashrrev_i32_e32 v0, 31, v10
	s_addc_u32 s9, s27, s1
	v_add_u32_e32 v4, s5, v1
	v_cmp_neq_f64_e64 s[0:1], s[36:37], 0
	s_xor_b64 s[4:5], s[6:7], -1
	v_mul_lo_u32 v2, s28, v0
	v_mul_lo_u32 v3, s29, v10
	v_mad_u64_u32 v[0:1], s[2:3], s28, v10, 0
	v_add3_u32 v1, v1, v2, v3
	s_or_b64 s[0:1], s[0:1], s[4:5]
	v_lshl_add_u64 v[8:9], v[0:1], 4, s[8:9]
	v_cmp_le_i32_e32 vcc, v10, v4
	s_waitcnt lgkmcnt(0)
	v_cmp_gt_i32_e64 s[2:3], s24, v4
	v_cndmask_b32_e64 v0, 0, 1, s[0:1]
	s_and_b64 s[6:7], vcc, s[2:3]
	v_ashrrev_i32_e32 v5, 31, v4
	v_cmp_ne_u32_e64 s[0:1], 1, v0
	s_and_saveexec_b64 s[4:5], s[6:7]
	s_cbranch_execz .LBB264_22
; %bb.19:
	v_mul_f64 v[0:1], s[42:43], v[26:27]
	v_mul_f64 v[2:3], s[40:41], v[26:27]
	v_fma_f64 v[0:1], s[40:41], v[24:25], -v[0:1]
	v_fmac_f64_e32 v[2:3], s[42:43], v[24:25]
	s_and_b64 vcc, exec, s[0:1]
	v_lshl_add_u64 v[6:7], v[4:5], 4, v[8:9]
	s_cbranch_vccnz .LBB264_21
; %bb.20:
	global_load_dwordx4 v[24:27], v[6:7], off
	s_waitcnt vmcnt(0)
	v_mul_f64 v[28:29], s[38:39], v[26:27]
	v_mul_f64 v[26:27], s[36:37], v[26:27]
	v_fma_f64 v[28:29], s[36:37], v[24:25], -v[28:29]
	v_fmac_f64_e32 v[26:27], s[38:39], v[24:25]
	v_add_f64 v[0:1], v[0:1], v[28:29]
	v_add_f64 v[2:3], v[2:3], v[26:27]
.LBB264_21:
	global_store_dwordx4 v[6:7], v[0:3], off
.LBB264_22:
	s_or_b64 exec, exec, s[4:5]
	v_add_u32_e32 v6, 16, v4
	v_cmp_le_i32_e32 vcc, v10, v6
	v_cmp_gt_i32_e64 s[4:5], s24, v6
	s_and_b64 s[10:11], vcc, s[4:5]
	v_ashrrev_i32_e32 v7, 31, v6
	s_and_saveexec_b64 s[6:7], s[10:11]
	s_cbranch_execz .LBB264_26
; %bb.23:
	v_mul_f64 v[0:1], s[42:43], v[18:19]
	v_mul_f64 v[2:3], s[40:41], v[18:19]
	v_fma_f64 v[0:1], s[40:41], v[16:17], -v[0:1]
	v_fmac_f64_e32 v[2:3], s[42:43], v[16:17]
	s_and_b64 vcc, exec, s[0:1]
	v_lshl_add_u64 v[8:9], v[6:7], 4, v[8:9]
	s_cbranch_vccnz .LBB264_25
; %bb.24:
	global_load_dwordx4 v[16:19], v[8:9], off
	s_waitcnt vmcnt(0)
	v_mul_f64 v[24:25], s[38:39], v[18:19]
	v_mul_f64 v[18:19], s[36:37], v[18:19]
	v_fma_f64 v[24:25], s[36:37], v[16:17], -v[24:25]
	v_fmac_f64_e32 v[18:19], s[38:39], v[16:17]
	v_add_f64 v[0:1], v[0:1], v[24:25]
	v_add_f64 v[2:3], v[2:3], v[18:19]
.LBB264_25:
	global_store_dwordx4 v[8:9], v[0:3], off
.LBB264_26:
	s_or_b64 exec, exec, s[6:7]
	v_add_u32_e32 v10, 16, v10
	v_ashrrev_i32_e32 v0, 31, v10
	v_mul_lo_u32 v2, s28, v0
	v_mul_lo_u32 v3, s29, v10
	v_mad_u64_u32 v[0:1], s[6:7], s28, v10, 0
	v_add3_u32 v1, v1, v2, v3
	v_cmp_le_i32_e32 vcc, v10, v4
	v_lshl_add_u64 v[8:9], v[0:1], 4, s[8:9]
	s_and_b64 s[6:7], vcc, s[2:3]
	s_and_saveexec_b64 s[2:3], s[6:7]
	s_cbranch_execz .LBB264_30
; %bb.27:
	v_mul_f64 v[0:1], s[42:43], v[22:23]
	v_mul_f64 v[2:3], s[40:41], v[22:23]
	v_fma_f64 v[0:1], s[40:41], v[20:21], -v[0:1]
	v_fmac_f64_e32 v[2:3], s[42:43], v[20:21]
	s_and_b64 vcc, exec, s[0:1]
	v_lshl_add_u64 v[4:5], v[4:5], 4, v[8:9]
	s_cbranch_vccnz .LBB264_29
; %bb.28:
	global_load_dwordx4 v[16:19], v[4:5], off
	s_waitcnt vmcnt(0)
	v_mul_f64 v[20:21], s[38:39], v[18:19]
	v_mul_f64 v[18:19], s[36:37], v[18:19]
	v_fma_f64 v[20:21], s[36:37], v[16:17], -v[20:21]
	v_fmac_f64_e32 v[18:19], s[38:39], v[16:17]
	v_add_f64 v[0:1], v[0:1], v[20:21]
	v_add_f64 v[2:3], v[2:3], v[18:19]
.LBB264_29:
	global_store_dwordx4 v[4:5], v[0:3], off
.LBB264_30:
	s_or_b64 exec, exec, s[2:3]
	v_cmp_le_i32_e32 vcc, v10, v6
	s_and_b64 s[2:3], vcc, s[4:5]
	s_and_saveexec_b64 s[4:5], s[2:3]
	s_cbranch_execz .LBB264_34
; %bb.31:
	v_mul_f64 v[0:1], s[42:43], v[12:13]
	v_mul_f64 v[2:3], s[40:41], v[12:13]
	v_fma_f64 v[0:1], s[40:41], v[14:15], -v[0:1]
	v_fmac_f64_e32 v[2:3], s[42:43], v[14:15]
	s_and_b64 vcc, exec, s[0:1]
	v_lshl_add_u64 v[4:5], v[6:7], 4, v[8:9]
	s_cbranch_vccnz .LBB264_33
; %bb.32:
	global_load_dwordx4 v[6:9], v[4:5], off
	s_waitcnt vmcnt(0)
	v_mul_f64 v[10:11], s[38:39], v[8:9]
	v_mul_f64 v[8:9], s[36:37], v[8:9]
	v_fma_f64 v[10:11], s[36:37], v[6:7], -v[10:11]
	v_fmac_f64_e32 v[8:9], s[38:39], v[6:7]
	v_add_f64 v[0:1], v[0:1], v[10:11]
	v_add_f64 v[2:3], v[2:3], v[8:9]
.LBB264_33:
	global_store_dwordx4 v[4:5], v[0:3], off
.LBB264_34:
	s_endpgm
	.section	.rodata,"a",@progbits
	.p2align	6, 0x0
	.amdhsa_kernel _ZL29rocblas_internal_gemmt_kernelIlLi16ELi32ELi8ELc84ELc78ELc76ELb0ELb0E19rocblas_complex_numIdEPKS1_S3_PS1_EviT_T9_T10_S5_lS7_S5_lS6_T11_S5_li
		.amdhsa_group_segment_fixed_size 8192
		.amdhsa_private_segment_fixed_size 0
		.amdhsa_kernarg_size 108
		.amdhsa_user_sgpr_count 2
		.amdhsa_user_sgpr_dispatch_ptr 0
		.amdhsa_user_sgpr_queue_ptr 0
		.amdhsa_user_sgpr_kernarg_segment_ptr 1
		.amdhsa_user_sgpr_dispatch_id 0
		.amdhsa_user_sgpr_kernarg_preload_length 0
		.amdhsa_user_sgpr_kernarg_preload_offset 0
		.amdhsa_user_sgpr_private_segment_size 0
		.amdhsa_uses_dynamic_stack 0
		.amdhsa_enable_private_segment 0
		.amdhsa_system_sgpr_workgroup_id_x 1
		.amdhsa_system_sgpr_workgroup_id_y 1
		.amdhsa_system_sgpr_workgroup_id_z 1
		.amdhsa_system_sgpr_workgroup_info 0
		.amdhsa_system_vgpr_workitem_id 1
		.amdhsa_next_free_vgpr 62
		.amdhsa_next_free_sgpr 44
		.amdhsa_accum_offset 64
		.amdhsa_reserve_vcc 1
		.amdhsa_float_round_mode_32 0
		.amdhsa_float_round_mode_16_64 0
		.amdhsa_float_denorm_mode_32 3
		.amdhsa_float_denorm_mode_16_64 3
		.amdhsa_dx10_clamp 1
		.amdhsa_ieee_mode 1
		.amdhsa_fp16_overflow 0
		.amdhsa_tg_split 0
		.amdhsa_exception_fp_ieee_invalid_op 0
		.amdhsa_exception_fp_denorm_src 0
		.amdhsa_exception_fp_ieee_div_zero 0
		.amdhsa_exception_fp_ieee_overflow 0
		.amdhsa_exception_fp_ieee_underflow 0
		.amdhsa_exception_fp_ieee_inexact 0
		.amdhsa_exception_int_div_zero 0
	.end_amdhsa_kernel
	.section	.text._ZL29rocblas_internal_gemmt_kernelIlLi16ELi32ELi8ELc84ELc78ELc76ELb0ELb0E19rocblas_complex_numIdEPKS1_S3_PS1_EviT_T9_T10_S5_lS7_S5_lS6_T11_S5_li,"axG",@progbits,_ZL29rocblas_internal_gemmt_kernelIlLi16ELi32ELi8ELc84ELc78ELc76ELb0ELb0E19rocblas_complex_numIdEPKS1_S3_PS1_EviT_T9_T10_S5_lS7_S5_lS6_T11_S5_li,comdat
.Lfunc_end264:
	.size	_ZL29rocblas_internal_gemmt_kernelIlLi16ELi32ELi8ELc84ELc78ELc76ELb0ELb0E19rocblas_complex_numIdEPKS1_S3_PS1_EviT_T9_T10_S5_lS7_S5_lS6_T11_S5_li, .Lfunc_end264-_ZL29rocblas_internal_gemmt_kernelIlLi16ELi32ELi8ELc84ELc78ELc76ELb0ELb0E19rocblas_complex_numIdEPKS1_S3_PS1_EviT_T9_T10_S5_lS7_S5_lS6_T11_S5_li
                                        ; -- End function
	.set _ZL29rocblas_internal_gemmt_kernelIlLi16ELi32ELi8ELc84ELc78ELc76ELb0ELb0E19rocblas_complex_numIdEPKS1_S3_PS1_EviT_T9_T10_S5_lS7_S5_lS6_T11_S5_li.num_vgpr, 62
	.set _ZL29rocblas_internal_gemmt_kernelIlLi16ELi32ELi8ELc84ELc78ELc76ELb0ELb0E19rocblas_complex_numIdEPKS1_S3_PS1_EviT_T9_T10_S5_lS7_S5_lS6_T11_S5_li.num_agpr, 0
	.set _ZL29rocblas_internal_gemmt_kernelIlLi16ELi32ELi8ELc84ELc78ELc76ELb0ELb0E19rocblas_complex_numIdEPKS1_S3_PS1_EviT_T9_T10_S5_lS7_S5_lS6_T11_S5_li.numbered_sgpr, 44
	.set _ZL29rocblas_internal_gemmt_kernelIlLi16ELi32ELi8ELc84ELc78ELc76ELb0ELb0E19rocblas_complex_numIdEPKS1_S3_PS1_EviT_T9_T10_S5_lS7_S5_lS6_T11_S5_li.num_named_barrier, 0
	.set _ZL29rocblas_internal_gemmt_kernelIlLi16ELi32ELi8ELc84ELc78ELc76ELb0ELb0E19rocblas_complex_numIdEPKS1_S3_PS1_EviT_T9_T10_S5_lS7_S5_lS6_T11_S5_li.private_seg_size, 0
	.set _ZL29rocblas_internal_gemmt_kernelIlLi16ELi32ELi8ELc84ELc78ELc76ELb0ELb0E19rocblas_complex_numIdEPKS1_S3_PS1_EviT_T9_T10_S5_lS7_S5_lS6_T11_S5_li.uses_vcc, 1
	.set _ZL29rocblas_internal_gemmt_kernelIlLi16ELi32ELi8ELc84ELc78ELc76ELb0ELb0E19rocblas_complex_numIdEPKS1_S3_PS1_EviT_T9_T10_S5_lS7_S5_lS6_T11_S5_li.uses_flat_scratch, 0
	.set _ZL29rocblas_internal_gemmt_kernelIlLi16ELi32ELi8ELc84ELc78ELc76ELb0ELb0E19rocblas_complex_numIdEPKS1_S3_PS1_EviT_T9_T10_S5_lS7_S5_lS6_T11_S5_li.has_dyn_sized_stack, 0
	.set _ZL29rocblas_internal_gemmt_kernelIlLi16ELi32ELi8ELc84ELc78ELc76ELb0ELb0E19rocblas_complex_numIdEPKS1_S3_PS1_EviT_T9_T10_S5_lS7_S5_lS6_T11_S5_li.has_recursion, 0
	.set _ZL29rocblas_internal_gemmt_kernelIlLi16ELi32ELi8ELc84ELc78ELc76ELb0ELb0E19rocblas_complex_numIdEPKS1_S3_PS1_EviT_T9_T10_S5_lS7_S5_lS6_T11_S5_li.has_indirect_call, 0
	.section	.AMDGPU.csdata,"",@progbits
; Kernel info:
; codeLenInByte = 3248
; TotalNumSgprs: 50
; NumVgprs: 62
; NumAgprs: 0
; TotalNumVgprs: 62
; ScratchSize: 0
; MemoryBound: 0
; FloatMode: 240
; IeeeMode: 1
; LDSByteSize: 8192 bytes/workgroup (compile time only)
; SGPRBlocks: 6
; VGPRBlocks: 7
; NumSGPRsForWavesPerEU: 50
; NumVGPRsForWavesPerEU: 62
; AccumOffset: 64
; Occupancy: 8
; WaveLimiterHint : 0
; COMPUTE_PGM_RSRC2:SCRATCH_EN: 0
; COMPUTE_PGM_RSRC2:USER_SGPR: 2
; COMPUTE_PGM_RSRC2:TRAP_HANDLER: 0
; COMPUTE_PGM_RSRC2:TGID_X_EN: 1
; COMPUTE_PGM_RSRC2:TGID_Y_EN: 1
; COMPUTE_PGM_RSRC2:TGID_Z_EN: 1
; COMPUTE_PGM_RSRC2:TIDIG_COMP_CNT: 1
; COMPUTE_PGM_RSRC3_GFX90A:ACCUM_OFFSET: 15
; COMPUTE_PGM_RSRC3_GFX90A:TG_SPLIT: 0
	.section	.text._ZL29rocblas_internal_gemmt_kernelIlLi16ELi32ELi8ELc84ELc84ELc76ELb0ELb0E19rocblas_complex_numIdEPKS1_S3_PS1_EviT_T9_T10_S5_lS7_S5_lS6_T11_S5_li,"axG",@progbits,_ZL29rocblas_internal_gemmt_kernelIlLi16ELi32ELi8ELc84ELc84ELc76ELb0ELb0E19rocblas_complex_numIdEPKS1_S3_PS1_EviT_T9_T10_S5_lS7_S5_lS6_T11_S5_li,comdat
	.globl	_ZL29rocblas_internal_gemmt_kernelIlLi16ELi32ELi8ELc84ELc84ELc76ELb0ELb0E19rocblas_complex_numIdEPKS1_S3_PS1_EviT_T9_T10_S5_lS7_S5_lS6_T11_S5_li ; -- Begin function _ZL29rocblas_internal_gemmt_kernelIlLi16ELi32ELi8ELc84ELc84ELc76ELb0ELb0E19rocblas_complex_numIdEPKS1_S3_PS1_EviT_T9_T10_S5_lS7_S5_lS6_T11_S5_li
	.p2align	8
	.type	_ZL29rocblas_internal_gemmt_kernelIlLi16ELi32ELi8ELc84ELc84ELc76ELb0ELb0E19rocblas_complex_numIdEPKS1_S3_PS1_EviT_T9_T10_S5_lS7_S5_lS6_T11_S5_li,@function
_ZL29rocblas_internal_gemmt_kernelIlLi16ELi32ELi8ELc84ELc84ELc76ELb0ELb0E19rocblas_complex_numIdEPKS1_S3_PS1_EviT_T9_T10_S5_lS7_S5_lS6_T11_S5_li: ; @_ZL29rocblas_internal_gemmt_kernelIlLi16ELi32ELi8ELc84ELc84ELc76ELb0ELb0E19rocblas_complex_numIdEPKS1_S3_PS1_EviT_T9_T10_S5_lS7_S5_lS6_T11_S5_li
; %bb.0:
	s_load_dwordx8 s[24:31], s[0:1], 0x48
	s_load_dwordx16 s[8:23], s[0:1], 0x8
	s_waitcnt lgkmcnt(0)
	s_load_dwordx4 s[36:39], s[24:25], 0x0
	s_load_dwordx4 s[40:43], s[10:11], 0x0
	s_mov_b64 s[24:25], 0
	s_waitcnt lgkmcnt(0)
	v_cmp_eq_f64_e64 s[10:11], s[36:37], 1.0
	v_cmp_eq_f64_e64 s[6:7], s[38:39], 0
	s_and_b64 s[10:11], s[10:11], s[6:7]
	s_andn2_b64 vcc, exec, s[10:11]
	s_mov_b64 s[10:11], -1
	s_cbranch_vccnz .LBB265_4
; %bb.1:
	s_cmp_lg_u64 s[8:9], 0
	s_cbranch_scc0 .LBB265_3
; %bb.2:
	v_cmp_neq_f64_e64 s[10:11], s[40:41], 0
	v_cmp_neq_f64_e64 s[24:25], s[42:43], 0
	s_or_b64 s[24:25], s[10:11], s[24:25]
.LBB265_3:
	s_mov_b64 s[10:11], s[24:25]
.LBB265_4:
	s_and_b64 vcc, exec, s[10:11]
	s_cbranch_vccz .LBB265_34
; %bb.5:
	s_load_dword s24, s[0:1], 0x0
	s_lshl_b32 s5, s2, 5
	s_lshl_b32 s25, s3, 5
	v_cmp_eq_f64_e64 s[0:1], s[40:41], 0
	v_cmp_eq_f64_e64 s[2:3], s[42:43], 0
	s_and_b64 s[0:1], s[0:1], s[2:3]
	v_cmp_lt_i64_e64 s[2:3], s[8:9], 1
	s_or_b64 s[0:1], s[0:1], s[2:3]
	v_and_b32_e32 v1, 0x3ff, v0
	v_bfe_u32 v3, v0, 10, 10
	v_mov_b64_e32 v[24:25], 0
	s_and_b64 vcc, exec, s[0:1]
	v_mov_b64_e32 v[26:27], 0
	v_mov_b64_e32 v[16:17], 0
	v_mov_b64_e32 v[18:19], 0
	v_mov_b64_e32 v[20:21], 0
	v_mov_b64_e32 v[22:23], 0
	v_mov_b64_e32 v[14:15], 0
	v_mov_b64_e32 v[12:13], 0
	s_cbranch_vccnz .LBB265_18
; %bb.6:
	s_mul_i32 s0, s23, s4
	s_mul_hi_u32 s1, s22, s4
	s_add_i32 s1, s1, s0
	s_mul_i32 s0, s22, s4
	s_lshl_b64 s[0:1], s[0:1], 4
	s_add_u32 s10, s18, s0
	s_addc_u32 s11, s19, s1
	s_mul_i32 s0, s17, s4
	s_mul_hi_u32 s1, s16, s4
	s_add_i32 s1, s1, s0
	s_mul_i32 s0, s16, s4
	v_lshl_add_u32 v4, v3, 4, v1
	s_lshl_b64 s[0:1], s[0:1], 4
	v_lshrrev_b32_e32 v2, 5, v4
	v_lshrrev_b32_e32 v7, 3, v4
	v_and_b32_e32 v4, 31, v4
	s_add_u32 s12, s12, s0
	v_or_b32_e32 v5, s5, v4
	s_addc_u32 s13, s13, s1
	v_lshlrev_b32_e32 v4, 4, v4
	s_ashr_i32 s18, s5, 31
	v_and_b32_e32 v0, 7, v1
	s_waitcnt lgkmcnt(0)
	v_cmp_gt_i32_e64 s[0:1], s24, v5
	v_cmp_le_i32_e64 s[2:3], s24, v5
	v_lshl_or_b32 v28, v2, 9, v4
	v_mul_lo_u32 v8, s15, v5
	v_mad_u64_u32 v[4:5], s[16:17], s14, v5, 0
	s_mul_i32 s14, s14, s18
	v_add3_u32 v5, v5, s14, v8
	v_lshlrev_b32_e32 v8, 4, v0
	v_add_u32_e32 v6, s25, v7
	v_lshl_or_b32 v7, v7, 7, v8
	v_cmp_gt_i32_e32 vcc, s24, v6
	v_add_u32_e32 v29, 0x1000, v7
	v_ashrrev_i32_e32 v7, 31, v6
	v_mov_b32_e32 v8, 0x1000
	v_mov_b32_e32 v9, 0
	v_lshl_add_u64 v[4:5], v[4:5], 4, s[12:13]
	v_lshl_add_u64 v[6:7], v[6:7], 4, s[10:11]
	v_lshlrev_b32_e32 v30, 4, v1
	v_lshl_add_u32 v31, v3, 7, v8
	v_mov_b64_e32 v[12:13], 0
	s_mov_b64 s[10:11], 0
	s_xor_b64 s[12:13], vcc, -1
	v_mov_b32_e32 v32, v9
	v_mov_b32_e32 v33, v9
	;; [unrolled: 1-line block ×4, first 2 shown]
	v_mov_b64_e32 v[14:15], 0
	v_mov_b64_e32 v[22:23], 0
	;; [unrolled: 1-line block ×7, first 2 shown]
                                        ; implicit-def: $vgpr10_vgpr11
	s_branch .LBB265_8
.LBB265_7:                              ;   in Loop: Header=BB265_8 Depth=1
	s_or_b64 exec, exec, s[14:15]
	s_waitcnt lgkmcnt(0)
	s_barrier
	ds_read_b128 v[36:39], v31
	ds_read_b128 v[40:43], v31 offset:16
	ds_read_b128 v[44:47], v31 offset:32
	;; [unrolled: 1-line block ×3, first 2 shown]
	ds_read_b128 v[52:55], v30
	s_add_u32 s10, s10, 8
	s_addc_u32 s11, s11, 0
	s_waitcnt lgkmcnt(0)
	v_mul_f64 v[56:57], v[38:39], v[54:55]
	v_mul_f64 v[58:59], v[36:37], v[54:55]
	v_fma_f64 v[56:57], v[36:37], v[52:53], -v[56:57]
	v_fmac_f64_e32 v[58:59], v[38:39], v[52:53]
	v_add_f64 v[56:57], v[24:25], v[56:57]
	v_add_f64 v[58:59], v[58:59], v[26:27]
	ds_read_b128 v[24:27], v30 offset:256
	s_waitcnt lgkmcnt(0)
	v_mul_f64 v[60:61], v[38:39], v[26:27]
	v_fma_f64 v[60:61], v[36:37], v[24:25], -v[60:61]
	v_mul_f64 v[36:37], v[36:37], v[26:27]
	v_fmac_f64_e32 v[36:37], v[38:39], v[24:25]
	v_add_f64 v[38:39], v[16:17], v[60:61]
	v_add_f64 v[36:37], v[36:37], v[18:19]
	ds_read_b128 v[16:19], v31 offset:2048
	s_waitcnt lgkmcnt(0)
	v_mul_f64 v[60:61], v[18:19], v[54:55]
	v_fma_f64 v[60:61], v[16:17], v[52:53], -v[60:61]
	v_mul_f64 v[54:55], v[16:17], v[54:55]
	v_fmac_f64_e32 v[54:55], v[18:19], v[52:53]
	v_add_f64 v[52:53], v[20:21], v[60:61]
	v_mul_f64 v[20:21], v[18:19], v[26:27]
	v_fma_f64 v[20:21], v[16:17], v[24:25], -v[20:21]
	v_mul_f64 v[16:17], v[16:17], v[26:27]
	v_fmac_f64_e32 v[16:17], v[18:19], v[24:25]
	v_add_f64 v[24:25], v[14:15], v[20:21]
	v_add_f64 v[26:27], v[16:17], v[12:13]
	ds_read_b128 v[12:15], v30 offset:512
	v_add_f64 v[54:55], v[54:55], v[22:23]
	s_waitcnt lgkmcnt(0)
	v_mul_f64 v[16:17], v[42:43], v[14:15]
	v_mul_f64 v[18:19], v[40:41], v[14:15]
	v_fma_f64 v[16:17], v[40:41], v[12:13], -v[16:17]
	v_fmac_f64_e32 v[18:19], v[42:43], v[12:13]
	v_add_f64 v[56:57], v[56:57], v[16:17]
	v_add_f64 v[58:59], v[18:19], v[58:59]
	ds_read_b128 v[16:19], v30 offset:768
	s_waitcnt lgkmcnt(0)
	v_mul_f64 v[20:21], v[42:43], v[18:19]
	v_mul_f64 v[22:23], v[40:41], v[18:19]
	v_fma_f64 v[20:21], v[40:41], v[16:17], -v[20:21]
	v_fmac_f64_e32 v[22:23], v[42:43], v[16:17]
	v_add_f64 v[38:39], v[38:39], v[20:21]
	v_add_f64 v[36:37], v[22:23], v[36:37]
	ds_read_b128 v[20:23], v31 offset:2064
	s_waitcnt lgkmcnt(0)
	v_mul_f64 v[40:41], v[22:23], v[14:15]
	v_mul_f64 v[14:15], v[20:21], v[14:15]
	v_fmac_f64_e32 v[14:15], v[22:23], v[12:13]
	v_fma_f64 v[40:41], v[20:21], v[12:13], -v[40:41]
	v_add_f64 v[42:43], v[14:15], v[54:55]
	v_mul_f64 v[12:13], v[22:23], v[18:19]
	v_mul_f64 v[14:15], v[20:21], v[18:19]
	v_fma_f64 v[12:13], v[20:21], v[16:17], -v[12:13]
	v_fmac_f64_e32 v[14:15], v[22:23], v[16:17]
	v_add_f64 v[24:25], v[24:25], v[12:13]
	v_add_f64 v[26:27], v[14:15], v[26:27]
	ds_read_b128 v[12:15], v30 offset:1024
	v_add_f64 v[40:41], v[52:53], v[40:41]
	s_waitcnt lgkmcnt(0)
	v_mul_f64 v[16:17], v[46:47], v[14:15]
	v_mul_f64 v[18:19], v[44:45], v[14:15]
	v_fma_f64 v[16:17], v[44:45], v[12:13], -v[16:17]
	v_fmac_f64_e32 v[18:19], v[46:47], v[12:13]
	v_add_f64 v[52:53], v[56:57], v[16:17]
	v_add_f64 v[54:55], v[18:19], v[58:59]
	ds_read_b128 v[16:19], v30 offset:1280
	s_waitcnt lgkmcnt(0)
	v_mul_f64 v[20:21], v[46:47], v[18:19]
	v_mul_f64 v[22:23], v[44:45], v[18:19]
	v_fma_f64 v[20:21], v[44:45], v[16:17], -v[20:21]
	v_fmac_f64_e32 v[22:23], v[46:47], v[16:17]
	v_add_f64 v[38:39], v[38:39], v[20:21]
	v_add_f64 v[36:37], v[22:23], v[36:37]
	ds_read_b128 v[20:23], v31 offset:2080
	s_waitcnt lgkmcnt(0)
	v_mul_f64 v[44:45], v[22:23], v[14:15]
	v_mul_f64 v[14:15], v[20:21], v[14:15]
	v_fmac_f64_e32 v[14:15], v[22:23], v[12:13]
	v_fma_f64 v[44:45], v[20:21], v[12:13], -v[44:45]
	v_add_f64 v[42:43], v[14:15], v[42:43]
	v_mul_f64 v[12:13], v[22:23], v[18:19]
	v_mul_f64 v[14:15], v[20:21], v[18:19]
	v_fma_f64 v[12:13], v[20:21], v[16:17], -v[12:13]
	;; [unrolled: 30-line block ×3, first 2 shown]
	v_fmac_f64_e32 v[14:15], v[22:23], v[16:17]
	v_add_f64 v[24:25], v[24:25], v[12:13]
	v_add_f64 v[26:27], v[14:15], v[26:27]
	ds_read_b128 v[12:15], v31 offset:64
	ds_read_b128 v[16:19], v30 offset:2048
	v_add_f64 v[40:41], v[40:41], v[48:49]
	s_waitcnt lgkmcnt(0)
	v_mul_f64 v[20:21], v[14:15], v[18:19]
	v_mul_f64 v[22:23], v[12:13], v[18:19]
	v_fma_f64 v[20:21], v[12:13], v[16:17], -v[20:21]
	v_fmac_f64_e32 v[22:23], v[14:15], v[16:17]
	v_add_f64 v[44:45], v[44:45], v[20:21]
	v_add_f64 v[46:47], v[22:23], v[46:47]
	ds_read_b128 v[20:23], v30 offset:2304
	s_waitcnt lgkmcnt(0)
	v_mul_f64 v[48:49], v[14:15], v[22:23]
	v_fma_f64 v[48:49], v[12:13], v[20:21], -v[48:49]
	v_mul_f64 v[12:13], v[12:13], v[22:23]
	v_fmac_f64_e32 v[12:13], v[14:15], v[20:21]
	v_add_f64 v[36:37], v[12:13], v[36:37]
	ds_read_b128 v[12:15], v31 offset:2112
	v_add_f64 v[38:39], v[38:39], v[48:49]
	s_waitcnt lgkmcnt(0)
	v_mul_f64 v[48:49], v[14:15], v[18:19]
	v_mul_f64 v[18:19], v[12:13], v[18:19]
	v_fma_f64 v[48:49], v[12:13], v[16:17], -v[48:49]
	v_fmac_f64_e32 v[18:19], v[14:15], v[16:17]
	v_mul_f64 v[16:17], v[14:15], v[22:23]
	v_fma_f64 v[16:17], v[12:13], v[20:21], -v[16:17]
	v_mul_f64 v[12:13], v[12:13], v[22:23]
	v_fmac_f64_e32 v[12:13], v[14:15], v[20:21]
	v_add_f64 v[42:43], v[18:19], v[42:43]
	v_add_f64 v[24:25], v[24:25], v[16:17]
	v_add_f64 v[26:27], v[12:13], v[26:27]
	ds_read_b128 v[12:15], v31 offset:80
	ds_read_b128 v[16:19], v30 offset:2560
	v_add_f64 v[40:41], v[40:41], v[48:49]
	s_waitcnt lgkmcnt(0)
	v_mul_f64 v[20:21], v[14:15], v[18:19]
	v_mul_f64 v[22:23], v[12:13], v[18:19]
	v_fma_f64 v[20:21], v[12:13], v[16:17], -v[20:21]
	v_fmac_f64_e32 v[22:23], v[14:15], v[16:17]
	v_add_f64 v[44:45], v[44:45], v[20:21]
	v_add_f64 v[46:47], v[22:23], v[46:47]
	ds_read_b128 v[20:23], v30 offset:2816
	s_waitcnt lgkmcnt(0)
	v_mul_f64 v[48:49], v[14:15], v[22:23]
	v_fma_f64 v[48:49], v[12:13], v[20:21], -v[48:49]
	v_mul_f64 v[12:13], v[12:13], v[22:23]
	v_fmac_f64_e32 v[12:13], v[14:15], v[20:21]
	v_add_f64 v[36:37], v[12:13], v[36:37]
	ds_read_b128 v[12:15], v31 offset:2128
	v_add_f64 v[38:39], v[38:39], v[48:49]
	s_waitcnt lgkmcnt(0)
	v_mul_f64 v[48:49], v[14:15], v[18:19]
	v_mul_f64 v[18:19], v[12:13], v[18:19]
	v_fma_f64 v[48:49], v[12:13], v[16:17], -v[48:49]
	v_fmac_f64_e32 v[18:19], v[14:15], v[16:17]
	v_mul_f64 v[16:17], v[14:15], v[22:23]
	v_fma_f64 v[16:17], v[12:13], v[20:21], -v[16:17]
	v_mul_f64 v[12:13], v[12:13], v[22:23]
	v_fmac_f64_e32 v[12:13], v[14:15], v[20:21]
	v_add_f64 v[42:43], v[18:19], v[42:43]
	;; [unrolled: 31-line block ×3, first 2 shown]
	ds_read_b128 v[12:15], v31 offset:112
	ds_read_b128 v[20:23], v30 offset:3584
	v_add_f64 v[40:41], v[40:41], v[36:37]
	ds_read_b128 v[36:39], v30 offset:3840
	v_add_f64 v[52:53], v[24:25], v[16:17]
	v_add_f64 v[42:43], v[18:19], v[42:43]
	s_waitcnt lgkmcnt(1)
	v_mul_f64 v[16:17], v[14:15], v[22:23]
	v_fma_f64 v[16:17], v[12:13], v[20:21], -v[16:17]
	v_add_f64 v[24:25], v[44:45], v[16:17]
	s_waitcnt lgkmcnt(0)
	v_mul_f64 v[16:17], v[14:15], v[38:39]
	v_mul_f64 v[18:19], v[12:13], v[22:23]
	v_fma_f64 v[16:17], v[12:13], v[36:37], -v[16:17]
	v_mul_f64 v[12:13], v[12:13], v[38:39]
	v_fmac_f64_e32 v[18:19], v[14:15], v[20:21]
	v_fmac_f64_e32 v[12:13], v[14:15], v[36:37]
	v_add_f64 v[26:27], v[18:19], v[46:47]
	v_add_f64 v[18:19], v[12:13], v[50:51]
	ds_read_b128 v[12:15], v31 offset:2160
	v_add_f64 v[16:17], v[48:49], v[16:17]
	s_waitcnt lgkmcnt(0)
	s_barrier
	v_mul_f64 v[44:45], v[14:15], v[22:23]
	v_fma_f64 v[44:45], v[12:13], v[20:21], -v[44:45]
	v_mul_f64 v[22:23], v[12:13], v[22:23]
	v_fmac_f64_e32 v[22:23], v[14:15], v[20:21]
	v_add_f64 v[20:21], v[40:41], v[44:45]
	v_mul_f64 v[40:41], v[14:15], v[38:39]
	v_fma_f64 v[40:41], v[12:13], v[36:37], -v[40:41]
	v_mul_f64 v[12:13], v[12:13], v[38:39]
	v_fmac_f64_e32 v[12:13], v[14:15], v[36:37]
	v_mov_b64_e32 v[36:37], s[10:11]
	v_cmp_gt_i64_e32 vcc, s[8:9], v[36:37]
	v_add_f64 v[22:23], v[22:23], v[42:43]
	v_add_f64 v[14:15], v[52:53], v[40:41]
	;; [unrolled: 1-line block ×3, first 2 shown]
	s_cbranch_vccz .LBB265_18
.LBB265_8:                              ; =>This Inner Loop Header: Depth=1
	s_mov_b64 s[18:19], s[2:3]
	s_mov_b64 s[14:15], 0
	s_and_saveexec_b64 s[16:17], s[0:1]
	s_cbranch_execnz .LBB265_16
; %bb.9:                                ;   in Loop: Header=BB265_8 Depth=1
	s_or_b64 exec, exec, s[16:17]
	s_and_saveexec_b64 s[16:17], s[18:19]
	s_xor_b64 s[16:17], exec, s[16:17]
	s_cbranch_execnz .LBB265_17
.LBB265_10:                             ;   in Loop: Header=BB265_8 Depth=1
	s_or_b64 exec, exec, s[16:17]
	s_and_saveexec_b64 s[16:17], s[14:15]
	s_cbranch_execz .LBB265_12
.LBB265_11:                             ;   in Loop: Header=BB265_8 Depth=1
	v_lshl_add_u64 v[36:37], v[10:11], 4, v[4:5]
	global_load_dwordx4 v[36:39], v[36:37], off
	s_waitcnt vmcnt(0)
	ds_write2_b64 v28, v[36:37], v[38:39] offset1:1
.LBB265_12:                             ;   in Loop: Header=BB265_8 Depth=1
	s_or_b64 exec, exec, s[16:17]
	v_add_u32_e32 v8, s10, v0
	v_cmp_le_u64_e32 vcc, s[8:9], v[8:9]
	s_or_b64 s[14:15], vcc, s[12:13]
	s_and_saveexec_b64 s[16:17], s[14:15]
	s_xor_b64 s[14:15], exec, s[16:17]
; %bb.13:                               ;   in Loop: Header=BB265_8 Depth=1
	ds_write_b128 v29, v[32:35]
; %bb.14:                               ;   in Loop: Header=BB265_8 Depth=1
	s_andn2_saveexec_b64 s[14:15], s[14:15]
	s_cbranch_execz .LBB265_7
; %bb.15:                               ;   in Loop: Header=BB265_8 Depth=1
	v_mad_u64_u32 v[36:37], s[16:17], s20, v8, 0
	v_mov_b32_e32 v38, v37
	v_mad_u64_u32 v[38:39], s[16:17], s21, v8, v[38:39]
	v_mov_b32_e32 v37, v38
	v_lshl_add_u64 v[36:37], v[36:37], 4, v[6:7]
	global_load_dwordx4 v[36:39], v[36:37], off
	s_waitcnt vmcnt(0)
	ds_write2_b64 v29, v[36:37], v[38:39] offset1:1
	s_branch .LBB265_7
.LBB265_16:                             ;   in Loop: Header=BB265_8 Depth=1
	v_add_u32_e32 v8, s10, v2
	v_cmp_le_u64_e32 vcc, s[8:9], v[8:9]
	s_andn2_b64 s[18:19], s[2:3], exec
	s_and_b64 s[22:23], vcc, exec
	s_mov_b64 s[14:15], exec
	s_or_b64 s[18:19], s[18:19], s[22:23]
	v_mov_b64_e32 v[10:11], v[8:9]
	s_or_b64 exec, exec, s[16:17]
	s_and_saveexec_b64 s[16:17], s[18:19]
	s_xor_b64 s[16:17], exec, s[16:17]
	s_cbranch_execz .LBB265_10
.LBB265_17:                             ;   in Loop: Header=BB265_8 Depth=1
	ds_write_b128 v28, v[32:35]
	s_andn2_b64 s[14:15], s[14:15], exec
	s_or_b64 exec, exec, s[16:17]
	s_and_saveexec_b64 s[16:17], s[14:15]
	s_cbranch_execnz .LBB265_11
	s_branch .LBB265_12
.LBB265_18:
	s_mul_i32 s0, s31, s4
	s_mul_hi_u32 s1, s30, s4
	s_add_i32 s1, s1, s0
	s_mul_i32 s0, s30, s4
	s_lshl_b64 s[0:1], s[0:1], 4
	v_add_u32_e32 v10, s25, v3
	s_add_u32 s8, s26, s0
	v_ashrrev_i32_e32 v0, 31, v10
	s_addc_u32 s9, s27, s1
	v_add_u32_e32 v4, s5, v1
	v_cmp_neq_f64_e64 s[0:1], s[36:37], 0
	s_xor_b64 s[4:5], s[6:7], -1
	v_mul_lo_u32 v2, s28, v0
	v_mul_lo_u32 v3, s29, v10
	v_mad_u64_u32 v[0:1], s[2:3], s28, v10, 0
	v_add3_u32 v1, v1, v2, v3
	s_or_b64 s[0:1], s[0:1], s[4:5]
	v_lshl_add_u64 v[8:9], v[0:1], 4, s[8:9]
	v_cmp_le_i32_e32 vcc, v10, v4
	s_waitcnt lgkmcnt(0)
	v_cmp_gt_i32_e64 s[2:3], s24, v4
	v_cndmask_b32_e64 v0, 0, 1, s[0:1]
	s_and_b64 s[6:7], vcc, s[2:3]
	v_ashrrev_i32_e32 v5, 31, v4
	v_cmp_ne_u32_e64 s[0:1], 1, v0
	s_and_saveexec_b64 s[4:5], s[6:7]
	s_cbranch_execz .LBB265_22
; %bb.19:
	v_mul_f64 v[0:1], s[42:43], v[26:27]
	v_mul_f64 v[2:3], s[40:41], v[26:27]
	v_fma_f64 v[0:1], s[40:41], v[24:25], -v[0:1]
	v_fmac_f64_e32 v[2:3], s[42:43], v[24:25]
	s_and_b64 vcc, exec, s[0:1]
	v_lshl_add_u64 v[6:7], v[4:5], 4, v[8:9]
	s_cbranch_vccnz .LBB265_21
; %bb.20:
	global_load_dwordx4 v[24:27], v[6:7], off
	s_waitcnt vmcnt(0)
	v_mul_f64 v[28:29], s[38:39], v[26:27]
	v_mul_f64 v[26:27], s[36:37], v[26:27]
	v_fma_f64 v[28:29], s[36:37], v[24:25], -v[28:29]
	v_fmac_f64_e32 v[26:27], s[38:39], v[24:25]
	v_add_f64 v[0:1], v[0:1], v[28:29]
	v_add_f64 v[2:3], v[2:3], v[26:27]
.LBB265_21:
	global_store_dwordx4 v[6:7], v[0:3], off
.LBB265_22:
	s_or_b64 exec, exec, s[4:5]
	v_add_u32_e32 v6, 16, v4
	v_cmp_le_i32_e32 vcc, v10, v6
	v_cmp_gt_i32_e64 s[4:5], s24, v6
	s_and_b64 s[10:11], vcc, s[4:5]
	v_ashrrev_i32_e32 v7, 31, v6
	s_and_saveexec_b64 s[6:7], s[10:11]
	s_cbranch_execz .LBB265_26
; %bb.23:
	v_mul_f64 v[0:1], s[42:43], v[18:19]
	v_mul_f64 v[2:3], s[40:41], v[18:19]
	v_fma_f64 v[0:1], s[40:41], v[16:17], -v[0:1]
	v_fmac_f64_e32 v[2:3], s[42:43], v[16:17]
	s_and_b64 vcc, exec, s[0:1]
	v_lshl_add_u64 v[8:9], v[6:7], 4, v[8:9]
	s_cbranch_vccnz .LBB265_25
; %bb.24:
	global_load_dwordx4 v[16:19], v[8:9], off
	s_waitcnt vmcnt(0)
	v_mul_f64 v[24:25], s[38:39], v[18:19]
	v_mul_f64 v[18:19], s[36:37], v[18:19]
	v_fma_f64 v[24:25], s[36:37], v[16:17], -v[24:25]
	v_fmac_f64_e32 v[18:19], s[38:39], v[16:17]
	v_add_f64 v[0:1], v[0:1], v[24:25]
	v_add_f64 v[2:3], v[2:3], v[18:19]
.LBB265_25:
	global_store_dwordx4 v[8:9], v[0:3], off
.LBB265_26:
	s_or_b64 exec, exec, s[6:7]
	v_add_u32_e32 v10, 16, v10
	v_ashrrev_i32_e32 v0, 31, v10
	v_mul_lo_u32 v2, s28, v0
	v_mul_lo_u32 v3, s29, v10
	v_mad_u64_u32 v[0:1], s[6:7], s28, v10, 0
	v_add3_u32 v1, v1, v2, v3
	v_cmp_le_i32_e32 vcc, v10, v4
	v_lshl_add_u64 v[8:9], v[0:1], 4, s[8:9]
	s_and_b64 s[6:7], vcc, s[2:3]
	s_and_saveexec_b64 s[2:3], s[6:7]
	s_cbranch_execz .LBB265_30
; %bb.27:
	v_mul_f64 v[0:1], s[42:43], v[22:23]
	v_mul_f64 v[2:3], s[40:41], v[22:23]
	v_fma_f64 v[0:1], s[40:41], v[20:21], -v[0:1]
	v_fmac_f64_e32 v[2:3], s[42:43], v[20:21]
	s_and_b64 vcc, exec, s[0:1]
	v_lshl_add_u64 v[4:5], v[4:5], 4, v[8:9]
	s_cbranch_vccnz .LBB265_29
; %bb.28:
	global_load_dwordx4 v[16:19], v[4:5], off
	s_waitcnt vmcnt(0)
	v_mul_f64 v[20:21], s[38:39], v[18:19]
	v_mul_f64 v[18:19], s[36:37], v[18:19]
	v_fma_f64 v[20:21], s[36:37], v[16:17], -v[20:21]
	v_fmac_f64_e32 v[18:19], s[38:39], v[16:17]
	v_add_f64 v[0:1], v[0:1], v[20:21]
	v_add_f64 v[2:3], v[2:3], v[18:19]
.LBB265_29:
	global_store_dwordx4 v[4:5], v[0:3], off
.LBB265_30:
	s_or_b64 exec, exec, s[2:3]
	v_cmp_le_i32_e32 vcc, v10, v6
	s_and_b64 s[2:3], vcc, s[4:5]
	s_and_saveexec_b64 s[4:5], s[2:3]
	s_cbranch_execz .LBB265_34
; %bb.31:
	v_mul_f64 v[0:1], s[42:43], v[12:13]
	v_mul_f64 v[2:3], s[40:41], v[12:13]
	v_fma_f64 v[0:1], s[40:41], v[14:15], -v[0:1]
	v_fmac_f64_e32 v[2:3], s[42:43], v[14:15]
	s_and_b64 vcc, exec, s[0:1]
	v_lshl_add_u64 v[4:5], v[6:7], 4, v[8:9]
	s_cbranch_vccnz .LBB265_33
; %bb.32:
	global_load_dwordx4 v[6:9], v[4:5], off
	s_waitcnt vmcnt(0)
	v_mul_f64 v[10:11], s[38:39], v[8:9]
	v_mul_f64 v[8:9], s[36:37], v[8:9]
	v_fma_f64 v[10:11], s[36:37], v[6:7], -v[10:11]
	v_fmac_f64_e32 v[8:9], s[38:39], v[6:7]
	v_add_f64 v[0:1], v[0:1], v[10:11]
	v_add_f64 v[2:3], v[2:3], v[8:9]
.LBB265_33:
	global_store_dwordx4 v[4:5], v[0:3], off
.LBB265_34:
	s_endpgm
	.section	.rodata,"a",@progbits
	.p2align	6, 0x0
	.amdhsa_kernel _ZL29rocblas_internal_gemmt_kernelIlLi16ELi32ELi8ELc84ELc84ELc76ELb0ELb0E19rocblas_complex_numIdEPKS1_S3_PS1_EviT_T9_T10_S5_lS7_S5_lS6_T11_S5_li
		.amdhsa_group_segment_fixed_size 8192
		.amdhsa_private_segment_fixed_size 0
		.amdhsa_kernarg_size 108
		.amdhsa_user_sgpr_count 2
		.amdhsa_user_sgpr_dispatch_ptr 0
		.amdhsa_user_sgpr_queue_ptr 0
		.amdhsa_user_sgpr_kernarg_segment_ptr 1
		.amdhsa_user_sgpr_dispatch_id 0
		.amdhsa_user_sgpr_kernarg_preload_length 0
		.amdhsa_user_sgpr_kernarg_preload_offset 0
		.amdhsa_user_sgpr_private_segment_size 0
		.amdhsa_uses_dynamic_stack 0
		.amdhsa_enable_private_segment 0
		.amdhsa_system_sgpr_workgroup_id_x 1
		.amdhsa_system_sgpr_workgroup_id_y 1
		.amdhsa_system_sgpr_workgroup_id_z 1
		.amdhsa_system_sgpr_workgroup_info 0
		.amdhsa_system_vgpr_workitem_id 1
		.amdhsa_next_free_vgpr 62
		.amdhsa_next_free_sgpr 44
		.amdhsa_accum_offset 64
		.amdhsa_reserve_vcc 1
		.amdhsa_float_round_mode_32 0
		.amdhsa_float_round_mode_16_64 0
		.amdhsa_float_denorm_mode_32 3
		.amdhsa_float_denorm_mode_16_64 3
		.amdhsa_dx10_clamp 1
		.amdhsa_ieee_mode 1
		.amdhsa_fp16_overflow 0
		.amdhsa_tg_split 0
		.amdhsa_exception_fp_ieee_invalid_op 0
		.amdhsa_exception_fp_denorm_src 0
		.amdhsa_exception_fp_ieee_div_zero 0
		.amdhsa_exception_fp_ieee_overflow 0
		.amdhsa_exception_fp_ieee_underflow 0
		.amdhsa_exception_fp_ieee_inexact 0
		.amdhsa_exception_int_div_zero 0
	.end_amdhsa_kernel
	.section	.text._ZL29rocblas_internal_gemmt_kernelIlLi16ELi32ELi8ELc84ELc84ELc76ELb0ELb0E19rocblas_complex_numIdEPKS1_S3_PS1_EviT_T9_T10_S5_lS7_S5_lS6_T11_S5_li,"axG",@progbits,_ZL29rocblas_internal_gemmt_kernelIlLi16ELi32ELi8ELc84ELc84ELc76ELb0ELb0E19rocblas_complex_numIdEPKS1_S3_PS1_EviT_T9_T10_S5_lS7_S5_lS6_T11_S5_li,comdat
.Lfunc_end265:
	.size	_ZL29rocblas_internal_gemmt_kernelIlLi16ELi32ELi8ELc84ELc84ELc76ELb0ELb0E19rocblas_complex_numIdEPKS1_S3_PS1_EviT_T9_T10_S5_lS7_S5_lS6_T11_S5_li, .Lfunc_end265-_ZL29rocblas_internal_gemmt_kernelIlLi16ELi32ELi8ELc84ELc84ELc76ELb0ELb0E19rocblas_complex_numIdEPKS1_S3_PS1_EviT_T9_T10_S5_lS7_S5_lS6_T11_S5_li
                                        ; -- End function
	.set _ZL29rocblas_internal_gemmt_kernelIlLi16ELi32ELi8ELc84ELc84ELc76ELb0ELb0E19rocblas_complex_numIdEPKS1_S3_PS1_EviT_T9_T10_S5_lS7_S5_lS6_T11_S5_li.num_vgpr, 62
	.set _ZL29rocblas_internal_gemmt_kernelIlLi16ELi32ELi8ELc84ELc84ELc76ELb0ELb0E19rocblas_complex_numIdEPKS1_S3_PS1_EviT_T9_T10_S5_lS7_S5_lS6_T11_S5_li.num_agpr, 0
	.set _ZL29rocblas_internal_gemmt_kernelIlLi16ELi32ELi8ELc84ELc84ELc76ELb0ELb0E19rocblas_complex_numIdEPKS1_S3_PS1_EviT_T9_T10_S5_lS7_S5_lS6_T11_S5_li.numbered_sgpr, 44
	.set _ZL29rocblas_internal_gemmt_kernelIlLi16ELi32ELi8ELc84ELc84ELc76ELb0ELb0E19rocblas_complex_numIdEPKS1_S3_PS1_EviT_T9_T10_S5_lS7_S5_lS6_T11_S5_li.num_named_barrier, 0
	.set _ZL29rocblas_internal_gemmt_kernelIlLi16ELi32ELi8ELc84ELc84ELc76ELb0ELb0E19rocblas_complex_numIdEPKS1_S3_PS1_EviT_T9_T10_S5_lS7_S5_lS6_T11_S5_li.private_seg_size, 0
	.set _ZL29rocblas_internal_gemmt_kernelIlLi16ELi32ELi8ELc84ELc84ELc76ELb0ELb0E19rocblas_complex_numIdEPKS1_S3_PS1_EviT_T9_T10_S5_lS7_S5_lS6_T11_S5_li.uses_vcc, 1
	.set _ZL29rocblas_internal_gemmt_kernelIlLi16ELi32ELi8ELc84ELc84ELc76ELb0ELb0E19rocblas_complex_numIdEPKS1_S3_PS1_EviT_T9_T10_S5_lS7_S5_lS6_T11_S5_li.uses_flat_scratch, 0
	.set _ZL29rocblas_internal_gemmt_kernelIlLi16ELi32ELi8ELc84ELc84ELc76ELb0ELb0E19rocblas_complex_numIdEPKS1_S3_PS1_EviT_T9_T10_S5_lS7_S5_lS6_T11_S5_li.has_dyn_sized_stack, 0
	.set _ZL29rocblas_internal_gemmt_kernelIlLi16ELi32ELi8ELc84ELc84ELc76ELb0ELb0E19rocblas_complex_numIdEPKS1_S3_PS1_EviT_T9_T10_S5_lS7_S5_lS6_T11_S5_li.has_recursion, 0
	.set _ZL29rocblas_internal_gemmt_kernelIlLi16ELi32ELi8ELc84ELc84ELc76ELb0ELb0E19rocblas_complex_numIdEPKS1_S3_PS1_EviT_T9_T10_S5_lS7_S5_lS6_T11_S5_li.has_indirect_call, 0
	.section	.AMDGPU.csdata,"",@progbits
; Kernel info:
; codeLenInByte = 3240
; TotalNumSgprs: 50
; NumVgprs: 62
; NumAgprs: 0
; TotalNumVgprs: 62
; ScratchSize: 0
; MemoryBound: 0
; FloatMode: 240
; IeeeMode: 1
; LDSByteSize: 8192 bytes/workgroup (compile time only)
; SGPRBlocks: 6
; VGPRBlocks: 7
; NumSGPRsForWavesPerEU: 50
; NumVGPRsForWavesPerEU: 62
; AccumOffset: 64
; Occupancy: 8
; WaveLimiterHint : 0
; COMPUTE_PGM_RSRC2:SCRATCH_EN: 0
; COMPUTE_PGM_RSRC2:USER_SGPR: 2
; COMPUTE_PGM_RSRC2:TRAP_HANDLER: 0
; COMPUTE_PGM_RSRC2:TGID_X_EN: 1
; COMPUTE_PGM_RSRC2:TGID_Y_EN: 1
; COMPUTE_PGM_RSRC2:TGID_Z_EN: 1
; COMPUTE_PGM_RSRC2:TIDIG_COMP_CNT: 1
; COMPUTE_PGM_RSRC3_GFX90A:ACCUM_OFFSET: 15
; COMPUTE_PGM_RSRC3_GFX90A:TG_SPLIT: 0
	.section	.text._ZL29rocblas_internal_gemmt_kernelIlLi16ELi32ELi8ELc84ELc67ELc76ELb0ELb1E19rocblas_complex_numIdEPKS1_S3_PS1_EviT_T9_T10_S5_lS7_S5_lS6_T11_S5_li,"axG",@progbits,_ZL29rocblas_internal_gemmt_kernelIlLi16ELi32ELi8ELc84ELc67ELc76ELb0ELb1E19rocblas_complex_numIdEPKS1_S3_PS1_EviT_T9_T10_S5_lS7_S5_lS6_T11_S5_li,comdat
	.globl	_ZL29rocblas_internal_gemmt_kernelIlLi16ELi32ELi8ELc84ELc67ELc76ELb0ELb1E19rocblas_complex_numIdEPKS1_S3_PS1_EviT_T9_T10_S5_lS7_S5_lS6_T11_S5_li ; -- Begin function _ZL29rocblas_internal_gemmt_kernelIlLi16ELi32ELi8ELc84ELc67ELc76ELb0ELb1E19rocblas_complex_numIdEPKS1_S3_PS1_EviT_T9_T10_S5_lS7_S5_lS6_T11_S5_li
	.p2align	8
	.type	_ZL29rocblas_internal_gemmt_kernelIlLi16ELi32ELi8ELc84ELc67ELc76ELb0ELb1E19rocblas_complex_numIdEPKS1_S3_PS1_EviT_T9_T10_S5_lS7_S5_lS6_T11_S5_li,@function
_ZL29rocblas_internal_gemmt_kernelIlLi16ELi32ELi8ELc84ELc67ELc76ELb0ELb1E19rocblas_complex_numIdEPKS1_S3_PS1_EviT_T9_T10_S5_lS7_S5_lS6_T11_S5_li: ; @_ZL29rocblas_internal_gemmt_kernelIlLi16ELi32ELi8ELc84ELc67ELc76ELb0ELb1E19rocblas_complex_numIdEPKS1_S3_PS1_EviT_T9_T10_S5_lS7_S5_lS6_T11_S5_li
; %bb.0:
	s_load_dwordx8 s[24:31], s[0:1], 0x48
	s_load_dwordx16 s[8:23], s[0:1], 0x8
	s_waitcnt lgkmcnt(0)
	s_load_dwordx4 s[36:39], s[24:25], 0x0
	s_load_dwordx4 s[40:43], s[10:11], 0x0
	s_mov_b64 s[24:25], 0
	s_waitcnt lgkmcnt(0)
	v_cmp_eq_f64_e64 s[10:11], s[36:37], 1.0
	v_cmp_eq_f64_e64 s[6:7], s[38:39], 0
	s_and_b64 s[10:11], s[10:11], s[6:7]
	s_andn2_b64 vcc, exec, s[10:11]
	s_mov_b64 s[10:11], -1
	s_cbranch_vccnz .LBB266_4
; %bb.1:
	s_cmp_lg_u64 s[8:9], 0
	s_cbranch_scc0 .LBB266_3
; %bb.2:
	v_cmp_neq_f64_e64 s[10:11], s[40:41], 0
	v_cmp_neq_f64_e64 s[24:25], s[42:43], 0
	s_or_b64 s[24:25], s[10:11], s[24:25]
.LBB266_3:
	s_mov_b64 s[10:11], s[24:25]
.LBB266_4:
	s_and_b64 vcc, exec, s[10:11]
	s_cbranch_vccz .LBB266_32
; %bb.5:
	s_load_dword s24, s[0:1], 0x0
	s_lshl_b32 s5, s2, 5
	s_lshl_b32 s25, s3, 5
	v_cmp_eq_f64_e64 s[0:1], s[40:41], 0
	v_cmp_eq_f64_e64 s[2:3], s[42:43], 0
	s_and_b64 s[0:1], s[0:1], s[2:3]
	v_cmp_lt_i64_e64 s[2:3], s[8:9], 1
	s_or_b64 s[0:1], s[0:1], s[2:3]
	v_and_b32_e32 v5, 0x3ff, v0
	v_bfe_u32 v7, v0, 10, 10
	v_mov_b64_e32 v[28:29], 0
	s_and_b64 vcc, exec, s[0:1]
	v_mov_b64_e32 v[30:31], 0
	v_mov_b64_e32 v[24:25], 0
	;; [unrolled: 1-line block ×7, first 2 shown]
	s_cbranch_vccnz .LBB266_16
; %bb.6:
	s_mul_i32 s0, s23, s4
	s_mul_hi_u32 s1, s22, s4
	s_add_i32 s1, s1, s0
	s_mul_i32 s0, s22, s4
	s_lshl_b64 s[0:1], s[0:1], 4
	s_add_u32 s18, s18, s0
	s_addc_u32 s19, s19, s1
	s_mul_i32 s0, s17, s4
	s_mul_hi_u32 s1, s16, s4
	v_lshl_add_u32 v1, v7, 4, v5
	s_add_i32 s1, s1, s0
	s_mul_i32 s0, s16, s4
	v_lshrrev_b32_e32 v6, 5, v1
	v_lshrrev_b32_e32 v10, 3, v1
	v_and_b32_e32 v1, 31, v1
	s_lshl_b64 s[0:1], s[0:1], 4
	v_or_b32_e32 v2, s5, v1
	s_add_u32 s2, s12, s0
	v_lshlrev_b32_e32 v1, 4, v1
	s_addc_u32 s3, s13, s1
	s_waitcnt lgkmcnt(0)
	v_cmp_gt_i32_e64 s[0:1], s24, v2
	v_cmp_le_i32_e64 s[10:11], s24, v2
	v_lshl_or_b32 v32, v6, 9, v1
	s_ashr_i32 s16, s5, 31
	v_mul_lo_u32 v1, s15, v2
	v_mad_u64_u32 v[2:3], s[12:13], s14, v2, 0
	v_and_b32_e32 v4, 7, v5
	s_mul_i32 s12, s14, s16
	v_add3_u32 v3, v3, s12, v1
	v_lshlrev_b32_e32 v1, 4, v4
	v_add_u32_e32 v0, s25, v10
	v_lshl_or_b32 v1, v10, 7, v1
	v_add_u32_e32 v33, 0x1000, v1
	v_ashrrev_i32_e32 v1, 31, v0
	v_lshl_add_u64 v[8:9], v[2:3], 4, s[2:3]
	v_cmp_gt_i32_e64 s[2:3], s24, v0
	v_lshl_add_u64 v[10:11], v[0:1], 4, s[18:19]
	v_mov_b32_e32 v0, 0x1000
	v_mov_b32_e32 v13, 0
	v_lshlrev_b32_e32 v34, 4, v5
	v_lshl_add_u32 v35, v7, 7, v0
	v_mov_b64_e32 v[16:17], 0
	s_mov_b64 s[12:13], 0
	v_mov_b32_e32 v36, v13
	v_mov_b32_e32 v37, v13
	;; [unrolled: 1-line block ×4, first 2 shown]
	v_mov_b64_e32 v[18:19], 0
	v_mov_b64_e32 v[22:23], 0
	;; [unrolled: 1-line block ×7, first 2 shown]
                                        ; implicit-def: $vgpr14_vgpr15
	s_branch .LBB266_8
.LBB266_7:                              ;   in Loop: Header=BB266_8 Depth=1
	s_or_b64 exec, exec, s[14:15]
	ds_write_b128 v33, v[0:3]
	s_waitcnt lgkmcnt(0)
	s_barrier
	ds_read_b128 v[0:3], v34
	ds_read_b128 v[40:43], v35
	ds_read_b128 v[44:47], v35 offset:16
	ds_read_b128 v[48:51], v35 offset:32
	;; [unrolled: 1-line block ×4, first 2 shown]
	s_waitcnt lgkmcnt(4)
	v_mul_f64 v[60:61], v[42:43], v[2:3]
	v_fma_f64 v[60:61], v[40:41], v[0:1], -v[60:61]
	v_mul_f64 v[62:63], v[40:41], v[2:3]
	v_fmac_f64_e32 v[62:63], v[42:43], v[0:1]
	v_add_f64 v[60:61], v[28:29], v[60:61]
	s_waitcnt lgkmcnt(0)
	v_mul_f64 v[28:29], v[42:43], v[58:59]
	v_add_f64 v[62:63], v[62:63], v[30:31]
	v_fma_f64 v[64:65], v[40:41], v[56:57], -v[28:29]
	ds_read_b128 v[28:31], v35 offset:2048
	v_mul_f64 v[40:41], v[40:41], v[58:59]
	v_fmac_f64_e32 v[40:41], v[42:43], v[56:57]
	v_add_f64 v[42:43], v[24:25], v[64:65]
	v_add_f64 v[40:41], v[40:41], v[26:27]
	ds_read_b128 v[24:27], v35 offset:2064
	s_waitcnt lgkmcnt(1)
	v_mul_f64 v[64:65], v[30:31], v[2:3]
	v_mul_f64 v[2:3], v[28:29], v[2:3]
	v_fma_f64 v[64:65], v[28:29], v[0:1], -v[64:65]
	v_fmac_f64_e32 v[2:3], v[30:31], v[0:1]
	v_mul_f64 v[0:1], v[30:31], v[58:59]
	v_add_f64 v[20:21], v[20:21], v[64:65]
	v_add_f64 v[22:23], v[2:3], v[22:23]
	v_fma_f64 v[64:65], v[28:29], v[56:57], -v[0:1]
	v_mul_f64 v[28:29], v[28:29], v[58:59]
	ds_read_b128 v[0:3], v34 offset:512
	v_fmac_f64_e32 v[28:29], v[30:31], v[56:57]
	v_add_f64 v[30:31], v[18:19], v[64:65]
	v_add_f64 v[28:29], v[28:29], v[16:17]
	ds_read_b128 v[16:19], v34 offset:768
	s_waitcnt lgkmcnt(1)
	v_mul_f64 v[56:57], v[46:47], v[2:3]
	v_fma_f64 v[56:57], v[44:45], v[0:1], -v[56:57]
	v_add_f64 v[56:57], v[60:61], v[56:57]
	v_mul_f64 v[58:59], v[44:45], v[2:3]
	s_waitcnt lgkmcnt(0)
	v_mul_f64 v[60:61], v[46:47], v[18:19]
	v_fma_f64 v[60:61], v[44:45], v[16:17], -v[60:61]
	v_mul_f64 v[44:45], v[44:45], v[18:19]
	v_fmac_f64_e32 v[44:45], v[46:47], v[16:17]
	v_add_f64 v[40:41], v[44:45], v[40:41]
	v_mul_f64 v[44:45], v[26:27], v[2:3]
	v_mul_f64 v[2:3], v[24:25], v[2:3]
	v_fmac_f64_e32 v[58:59], v[46:47], v[0:1]
	v_fma_f64 v[44:45], v[24:25], v[0:1], -v[44:45]
	v_fmac_f64_e32 v[2:3], v[26:27], v[0:1]
	v_mul_f64 v[0:1], v[26:27], v[18:19]
	v_add_f64 v[44:45], v[20:21], v[44:45]
	v_add_f64 v[46:47], v[2:3], v[22:23]
	v_fma_f64 v[20:21], v[24:25], v[16:17], -v[0:1]
	v_mul_f64 v[18:19], v[24:25], v[18:19]
	ds_read_b128 v[0:3], v34 offset:1024
	v_fmac_f64_e32 v[18:19], v[26:27], v[16:17]
	v_add_f64 v[28:29], v[18:19], v[28:29]
	ds_read_b128 v[16:19], v34 offset:1280
	v_add_f64 v[30:31], v[30:31], v[20:21]
	s_waitcnt lgkmcnt(1)
	v_mul_f64 v[20:21], v[50:51], v[2:3]
	v_fma_f64 v[20:21], v[48:49], v[0:1], -v[20:21]
	v_mul_f64 v[22:23], v[48:49], v[2:3]
	v_add_f64 v[58:59], v[58:59], v[62:63]
	v_fmac_f64_e32 v[22:23], v[50:51], v[0:1]
	v_add_f64 v[56:57], v[56:57], v[20:21]
	s_waitcnt lgkmcnt(0)
	v_mul_f64 v[20:21], v[50:51], v[18:19]
	v_add_f64 v[58:59], v[22:23], v[58:59]
	v_fma_f64 v[24:25], v[48:49], v[16:17], -v[20:21]
	ds_read_b128 v[20:23], v35 offset:2080
	v_mul_f64 v[26:27], v[48:49], v[18:19]
	v_add_f64 v[42:43], v[42:43], v[60:61]
	v_fmac_f64_e32 v[26:27], v[50:51], v[16:17]
	v_add_f64 v[42:43], v[42:43], v[24:25]
	v_add_f64 v[40:41], v[26:27], v[40:41]
	ds_read_b128 v[24:27], v35 offset:2096
	s_waitcnt lgkmcnt(1)
	v_mul_f64 v[48:49], v[22:23], v[2:3]
	v_mul_f64 v[2:3], v[20:21], v[2:3]
	v_fma_f64 v[48:49], v[20:21], v[0:1], -v[48:49]
	v_fmac_f64_e32 v[2:3], v[22:23], v[0:1]
	v_mul_f64 v[0:1], v[22:23], v[18:19]
	v_mul_f64 v[18:19], v[20:21], v[18:19]
	v_fmac_f64_e32 v[18:19], v[22:23], v[16:17]
	v_add_f64 v[44:45], v[44:45], v[48:49]
	v_add_f64 v[46:47], v[2:3], v[46:47]
	v_fma_f64 v[48:49], v[20:21], v[16:17], -v[0:1]
	ds_read_b128 v[0:3], v34 offset:1536
	v_add_f64 v[22:23], v[18:19], v[28:29]
	ds_read_b128 v[16:19], v34 offset:1792
	v_add_f64 v[20:21], v[30:31], v[48:49]
	s_add_u32 s12, s12, 8
	s_waitcnt lgkmcnt(1)
	v_mul_f64 v[28:29], v[54:55], v[2:3]
	v_mul_f64 v[30:31], v[52:53], v[2:3]
	s_waitcnt lgkmcnt(0)
	v_mul_f64 v[48:49], v[54:55], v[18:19]
	v_fma_f64 v[48:49], v[52:53], v[16:17], -v[48:49]
	v_add_f64 v[42:43], v[42:43], v[48:49]
	v_mul_f64 v[48:49], v[26:27], v[2:3]
	v_mul_f64 v[2:3], v[24:25], v[2:3]
	v_fma_f64 v[28:29], v[52:53], v[0:1], -v[28:29]
	v_fmac_f64_e32 v[30:31], v[54:55], v[0:1]
	v_fma_f64 v[48:49], v[24:25], v[0:1], -v[48:49]
	v_fmac_f64_e32 v[2:3], v[26:27], v[0:1]
	v_mul_f64 v[0:1], v[26:27], v[18:19]
	v_mul_f64 v[50:51], v[52:53], v[18:19]
	v_add_f64 v[44:45], v[44:45], v[48:49]
	v_fma_f64 v[48:49], v[24:25], v[16:17], -v[0:1]
	v_mul_f64 v[24:25], v[24:25], v[18:19]
	v_fmac_f64_e32 v[50:51], v[54:55], v[16:17]
	v_add_f64 v[46:47], v[2:3], v[46:47]
	v_fmac_f64_e32 v[24:25], v[26:27], v[16:17]
	ds_read_b128 v[0:3], v35 offset:64
	ds_read_b128 v[16:19], v34 offset:2048
	v_add_f64 v[40:41], v[50:51], v[40:41]
	v_add_f64 v[48:49], v[20:21], v[48:49]
	;; [unrolled: 1-line block ×3, first 2 shown]
	ds_read_b128 v[20:23], v34 offset:2304
	ds_read_b128 v[24:27], v35 offset:80
	s_waitcnt lgkmcnt(2)
	v_mul_f64 v[52:53], v[2:3], v[18:19]
	v_add_f64 v[28:29], v[56:57], v[28:29]
	v_fma_f64 v[52:53], v[0:1], v[16:17], -v[52:53]
	v_mul_f64 v[54:55], v[0:1], v[18:19]
	v_add_f64 v[30:31], v[30:31], v[58:59]
	v_fmac_f64_e32 v[54:55], v[2:3], v[16:17]
	v_add_f64 v[52:53], v[28:29], v[52:53]
	s_waitcnt lgkmcnt(1)
	v_mul_f64 v[28:29], v[2:3], v[22:23]
	v_add_f64 v[54:55], v[54:55], v[30:31]
	v_fma_f64 v[56:57], v[0:1], v[20:21], -v[28:29]
	ds_read_b128 v[28:31], v35 offset:2112
	v_mul_f64 v[0:1], v[0:1], v[22:23]
	v_fmac_f64_e32 v[0:1], v[2:3], v[20:21]
	v_add_f64 v[42:43], v[42:43], v[56:57]
	v_add_f64 v[40:41], v[0:1], v[40:41]
	ds_read_b128 v[0:3], v35 offset:2128
	s_waitcnt lgkmcnt(1)
	v_mul_f64 v[56:57], v[30:31], v[18:19]
	v_mul_f64 v[18:19], v[28:29], v[18:19]
	v_fma_f64 v[56:57], v[28:29], v[16:17], -v[56:57]
	v_fmac_f64_e32 v[18:19], v[30:31], v[16:17]
	v_mul_f64 v[16:17], v[30:31], v[22:23]
	v_add_f64 v[44:45], v[44:45], v[56:57]
	v_add_f64 v[46:47], v[18:19], v[46:47]
	v_fma_f64 v[56:57], v[28:29], v[20:21], -v[16:17]
	v_mul_f64 v[22:23], v[28:29], v[22:23]
	ds_read_b128 v[16:19], v34 offset:2560
	v_fmac_f64_e32 v[22:23], v[30:31], v[20:21]
	v_add_f64 v[30:31], v[22:23], v[50:51]
	ds_read_b128 v[20:23], v34 offset:2816
	v_add_f64 v[28:29], v[48:49], v[56:57]
	s_waitcnt lgkmcnt(1)
	v_mul_f64 v[48:49], v[26:27], v[18:19]
	v_fma_f64 v[48:49], v[24:25], v[16:17], -v[48:49]
	v_add_f64 v[48:49], v[52:53], v[48:49]
	s_waitcnt lgkmcnt(0)
	v_mul_f64 v[52:53], v[26:27], v[22:23]
	v_mul_f64 v[50:51], v[24:25], v[18:19]
	v_fma_f64 v[52:53], v[24:25], v[20:21], -v[52:53]
	v_mul_f64 v[24:25], v[24:25], v[22:23]
	v_fmac_f64_e32 v[24:25], v[26:27], v[20:21]
	v_add_f64 v[40:41], v[24:25], v[40:41]
	v_mul_f64 v[24:25], v[2:3], v[18:19]
	v_mul_f64 v[18:19], v[0:1], v[18:19]
	v_fmac_f64_e32 v[50:51], v[26:27], v[16:17]
	v_fma_f64 v[24:25], v[0:1], v[16:17], -v[24:25]
	v_fmac_f64_e32 v[18:19], v[2:3], v[16:17]
	v_mul_f64 v[16:17], v[2:3], v[22:23]
	v_mul_f64 v[22:23], v[0:1], v[22:23]
	v_add_f64 v[44:45], v[44:45], v[24:25]
	v_add_f64 v[46:47], v[18:19], v[46:47]
	v_fma_f64 v[24:25], v[0:1], v[20:21], -v[16:17]
	v_fmac_f64_e32 v[22:23], v[2:3], v[20:21]
	ds_read_b128 v[0:3], v35 offset:96
	ds_read_b128 v[16:19], v34 offset:3072
	v_add_f64 v[50:51], v[50:51], v[54:55]
	v_add_f64 v[42:43], v[42:43], v[52:53]
	;; [unrolled: 1-line block ×4, first 2 shown]
	ds_read_b128 v[20:23], v34 offset:3328
	ds_read_b128 v[24:27], v35 offset:112
	s_waitcnt lgkmcnt(2)
	v_mul_f64 v[28:29], v[2:3], v[18:19]
	v_fma_f64 v[28:29], v[0:1], v[16:17], -v[28:29]
	v_mul_f64 v[30:31], v[0:1], v[18:19]
	v_fmac_f64_e32 v[30:31], v[2:3], v[16:17]
	v_add_f64 v[48:49], v[48:49], v[28:29]
	s_waitcnt lgkmcnt(1)
	v_mul_f64 v[28:29], v[2:3], v[22:23]
	v_add_f64 v[50:51], v[30:31], v[50:51]
	v_fma_f64 v[56:57], v[0:1], v[20:21], -v[28:29]
	ds_read_b128 v[28:31], v35 offset:2144
	v_mul_f64 v[0:1], v[0:1], v[22:23]
	v_fmac_f64_e32 v[0:1], v[2:3], v[20:21]
	v_add_f64 v[58:59], v[0:1], v[40:41]
	ds_read_b128 v[0:3], v35 offset:2160
	s_waitcnt lgkmcnt(1)
	v_mul_f64 v[40:41], v[30:31], v[18:19]
	v_mul_f64 v[18:19], v[28:29], v[18:19]
	v_fma_f64 v[40:41], v[28:29], v[16:17], -v[40:41]
	v_fmac_f64_e32 v[18:19], v[30:31], v[16:17]
	v_mul_f64 v[16:17], v[30:31], v[22:23]
	v_add_f64 v[44:45], v[44:45], v[40:41]
	v_add_f64 v[46:47], v[18:19], v[46:47]
	v_fma_f64 v[40:41], v[28:29], v[20:21], -v[16:17]
	ds_read_b128 v[16:19], v34 offset:3584
	v_add_f64 v[56:57], v[42:43], v[56:57]
	v_add_f64 v[52:53], v[52:53], v[40:41]
	ds_read_b128 v[40:43], v34 offset:3840
	v_mul_f64 v[22:23], v[28:29], v[22:23]
	v_fmac_f64_e32 v[22:23], v[30:31], v[20:21]
	s_waitcnt lgkmcnt(1)
	v_mul_f64 v[20:21], v[26:27], v[18:19]
	v_fma_f64 v[20:21], v[24:25], v[16:17], -v[20:21]
	v_add_f64 v[54:55], v[22:23], v[54:55]
	v_mul_f64 v[22:23], v[24:25], v[18:19]
	v_add_f64 v[28:29], v[48:49], v[20:21]
	s_waitcnt lgkmcnt(0)
	v_mul_f64 v[20:21], v[26:27], v[42:43]
	v_fmac_f64_e32 v[22:23], v[26:27], v[16:17]
	v_fma_f64 v[20:21], v[24:25], v[40:41], -v[20:21]
	v_add_f64 v[30:31], v[22:23], v[50:51]
	v_mul_f64 v[22:23], v[24:25], v[42:43]
	v_add_f64 v[24:25], v[56:57], v[20:21]
	v_mul_f64 v[20:21], v[2:3], v[18:19]
	v_mul_f64 v[18:19], v[0:1], v[18:19]
	v_fma_f64 v[20:21], v[0:1], v[16:17], -v[20:21]
	v_fmac_f64_e32 v[18:19], v[2:3], v[16:17]
	v_mul_f64 v[16:17], v[2:3], v[42:43]
	v_fma_f64 v[16:17], v[0:1], v[40:41], -v[16:17]
	v_mul_f64 v[0:1], v[0:1], v[42:43]
	v_fmac_f64_e32 v[22:23], v[26:27], v[40:41]
	v_fmac_f64_e32 v[0:1], v[2:3], v[40:41]
	s_addc_u32 s13, s13, 0
	v_add_f64 v[26:27], v[22:23], v[58:59]
	v_add_f64 v[22:23], v[18:19], v[46:47]
	;; [unrolled: 1-line block ×4, first 2 shown]
	v_mov_b64_e32 v[0:1], s[12:13]
	v_cmp_gt_i64_e32 vcc, s[8:9], v[0:1]
	v_add_f64 v[20:21], v[44:45], v[20:21]
	s_barrier
	s_cbranch_vccz .LBB266_16
.LBB266_8:                              ; =>This Inner Loop Header: Depth=1
	s_mov_b64 s[18:19], s[10:11]
	s_mov_b64 s[14:15], 0
	s_and_saveexec_b64 s[16:17], s[0:1]
	s_cbranch_execnz .LBB266_14
; %bb.9:                                ;   in Loop: Header=BB266_8 Depth=1
	s_or_b64 exec, exec, s[16:17]
	s_and_saveexec_b64 s[16:17], s[18:19]
	s_xor_b64 s[16:17], exec, s[16:17]
	s_cbranch_execnz .LBB266_15
.LBB266_10:                             ;   in Loop: Header=BB266_8 Depth=1
	s_or_b64 exec, exec, s[16:17]
	s_and_saveexec_b64 s[16:17], s[14:15]
	s_cbranch_execz .LBB266_12
.LBB266_11:                             ;   in Loop: Header=BB266_8 Depth=1
	v_lshl_add_u64 v[0:1], v[14:15], 4, v[8:9]
	global_load_dwordx4 v[0:3], v[0:1], off
	s_waitcnt vmcnt(0)
	ds_write2_b64 v32, v[0:1], v[2:3] offset1:1
.LBB266_12:                             ;   in Loop: Header=BB266_8 Depth=1
	s_or_b64 exec, exec, s[16:17]
	v_add_u32_e32 v12, s12, v4
	v_cmp_gt_u64_e32 vcc, s[8:9], v[12:13]
	s_and_b64 s[16:17], vcc, s[2:3]
	v_mov_b64_e32 v[0:1], 0
	v_mov_b64_e32 v[2:3], 0
	s_and_saveexec_b64 s[14:15], s[16:17]
	s_cbranch_execz .LBB266_7
; %bb.13:                               ;   in Loop: Header=BB266_8 Depth=1
	v_mad_u64_u32 v[0:1], s[16:17], s20, v12, 0
	v_mov_b32_e32 v2, v1
	v_mad_u64_u32 v[2:3], s[16:17], s21, v12, v[2:3]
	v_mov_b32_e32 v1, v2
	v_lshl_add_u64 v[0:1], v[0:1], 4, v[10:11]
	global_load_dwordx4 v[0:3], v[0:1], off
	s_waitcnt vmcnt(0)
	v_xor_b32_e32 v3, 0x80000000, v3
	s_branch .LBB266_7
.LBB266_14:                             ;   in Loop: Header=BB266_8 Depth=1
	v_add_u32_e32 v12, s12, v6
	v_cmp_le_u64_e32 vcc, s[8:9], v[12:13]
	s_andn2_b64 s[18:19], s[10:11], exec
	s_and_b64 s[22:23], vcc, exec
	s_mov_b64 s[14:15], exec
	s_or_b64 s[18:19], s[18:19], s[22:23]
	v_mov_b64_e32 v[14:15], v[12:13]
	s_or_b64 exec, exec, s[16:17]
	s_and_saveexec_b64 s[16:17], s[18:19]
	s_xor_b64 s[16:17], exec, s[16:17]
	s_cbranch_execz .LBB266_10
.LBB266_15:                             ;   in Loop: Header=BB266_8 Depth=1
	ds_write_b128 v32, v[36:39]
	s_andn2_b64 s[14:15], s[14:15], exec
	s_or_b64 exec, exec, s[16:17]
	s_and_saveexec_b64 s[16:17], s[14:15]
	s_cbranch_execnz .LBB266_11
	s_branch .LBB266_12
.LBB266_16:
	s_mul_i32 s0, s31, s4
	s_mul_hi_u32 s1, s30, s4
	s_add_i32 s1, s1, s0
	s_mul_i32 s0, s30, s4
	s_lshl_b64 s[0:1], s[0:1], 4
	v_add_u32_e32 v10, s25, v7
	s_add_u32 s8, s26, s0
	v_ashrrev_i32_e32 v0, 31, v10
	s_addc_u32 s9, s27, s1
	v_add_u32_e32 v4, s5, v5
	v_cmp_neq_f64_e64 s[0:1], s[36:37], 0
	s_xor_b64 s[4:5], s[6:7], -1
	v_mul_lo_u32 v2, s28, v0
	v_mul_lo_u32 v3, s29, v10
	v_mad_u64_u32 v[0:1], s[2:3], s28, v10, 0
	v_add3_u32 v1, v1, v2, v3
	s_or_b64 s[0:1], s[0:1], s[4:5]
	v_lshl_add_u64 v[8:9], v[0:1], 4, s[8:9]
	v_cmp_le_i32_e32 vcc, v10, v4
	s_waitcnt lgkmcnt(0)
	v_cmp_gt_i32_e64 s[2:3], s24, v4
	v_cndmask_b32_e64 v0, 0, 1, s[0:1]
	s_and_b64 s[6:7], vcc, s[2:3]
	v_ashrrev_i32_e32 v5, 31, v4
	v_cmp_ne_u32_e64 s[0:1], 1, v0
	s_and_saveexec_b64 s[4:5], s[6:7]
	s_cbranch_execz .LBB266_20
; %bb.17:
	v_mul_f64 v[0:1], s[42:43], v[30:31]
	v_mul_f64 v[2:3], s[40:41], v[30:31]
	v_fma_f64 v[0:1], s[40:41], v[28:29], -v[0:1]
	v_fmac_f64_e32 v[2:3], s[42:43], v[28:29]
	s_and_b64 vcc, exec, s[0:1]
	v_lshl_add_u64 v[6:7], v[4:5], 4, v[8:9]
	s_cbranch_vccnz .LBB266_19
; %bb.18:
	global_load_dwordx4 v[12:15], v[6:7], off
	s_waitcnt vmcnt(0)
	v_mul_f64 v[28:29], s[38:39], v[14:15]
	v_mul_f64 v[14:15], s[36:37], v[14:15]
	v_fma_f64 v[28:29], s[36:37], v[12:13], -v[28:29]
	v_fmac_f64_e32 v[14:15], s[38:39], v[12:13]
	v_add_f64 v[0:1], v[0:1], v[28:29]
	v_add_f64 v[2:3], v[2:3], v[14:15]
.LBB266_19:
	global_store_dwordx4 v[6:7], v[0:3], off
.LBB266_20:
	s_or_b64 exec, exec, s[4:5]
	v_add_u32_e32 v6, 16, v4
	v_cmp_le_i32_e32 vcc, v10, v6
	v_cmp_gt_i32_e64 s[4:5], s24, v6
	s_and_b64 s[10:11], vcc, s[4:5]
	v_ashrrev_i32_e32 v7, 31, v6
	s_and_saveexec_b64 s[6:7], s[10:11]
	s_cbranch_execz .LBB266_24
; %bb.21:
	v_mul_f64 v[0:1], s[42:43], v[26:27]
	v_mul_f64 v[2:3], s[40:41], v[26:27]
	v_fma_f64 v[0:1], s[40:41], v[24:25], -v[0:1]
	v_fmac_f64_e32 v[2:3], s[42:43], v[24:25]
	s_and_b64 vcc, exec, s[0:1]
	v_lshl_add_u64 v[8:9], v[6:7], 4, v[8:9]
	s_cbranch_vccnz .LBB266_23
; %bb.22:
	global_load_dwordx4 v[12:15], v[8:9], off
	s_waitcnt vmcnt(0)
	v_mul_f64 v[24:25], s[38:39], v[14:15]
	v_mul_f64 v[14:15], s[36:37], v[14:15]
	v_fma_f64 v[24:25], s[36:37], v[12:13], -v[24:25]
	v_fmac_f64_e32 v[14:15], s[38:39], v[12:13]
	v_add_f64 v[0:1], v[0:1], v[24:25]
	v_add_f64 v[2:3], v[2:3], v[14:15]
.LBB266_23:
	global_store_dwordx4 v[8:9], v[0:3], off
.LBB266_24:
	s_or_b64 exec, exec, s[6:7]
	v_add_u32_e32 v10, 16, v10
	v_ashrrev_i32_e32 v0, 31, v10
	v_mul_lo_u32 v2, s28, v0
	v_mul_lo_u32 v3, s29, v10
	v_mad_u64_u32 v[0:1], s[6:7], s28, v10, 0
	v_add3_u32 v1, v1, v2, v3
	v_cmp_le_i32_e32 vcc, v10, v4
	v_lshl_add_u64 v[8:9], v[0:1], 4, s[8:9]
	s_and_b64 s[6:7], vcc, s[2:3]
	s_and_saveexec_b64 s[2:3], s[6:7]
	s_cbranch_execz .LBB266_28
; %bb.25:
	v_mul_f64 v[0:1], s[42:43], v[22:23]
	v_mul_f64 v[2:3], s[40:41], v[22:23]
	v_fma_f64 v[0:1], s[40:41], v[20:21], -v[0:1]
	v_fmac_f64_e32 v[2:3], s[42:43], v[20:21]
	s_and_b64 vcc, exec, s[0:1]
	v_lshl_add_u64 v[4:5], v[4:5], 4, v[8:9]
	s_cbranch_vccnz .LBB266_27
; %bb.26:
	global_load_dwordx4 v[12:15], v[4:5], off
	s_waitcnt vmcnt(0)
	v_mul_f64 v[20:21], s[38:39], v[14:15]
	v_mul_f64 v[14:15], s[36:37], v[14:15]
	v_fma_f64 v[20:21], s[36:37], v[12:13], -v[20:21]
	v_fmac_f64_e32 v[14:15], s[38:39], v[12:13]
	v_add_f64 v[0:1], v[0:1], v[20:21]
	v_add_f64 v[2:3], v[2:3], v[14:15]
.LBB266_27:
	global_store_dwordx4 v[4:5], v[0:3], off
.LBB266_28:
	s_or_b64 exec, exec, s[2:3]
	v_cmp_le_i32_e32 vcc, v10, v6
	s_and_b64 s[2:3], vcc, s[4:5]
	s_and_saveexec_b64 s[4:5], s[2:3]
	s_cbranch_execz .LBB266_32
; %bb.29:
	v_mul_f64 v[0:1], s[42:43], v[16:17]
	v_mul_f64 v[2:3], s[40:41], v[16:17]
	v_fma_f64 v[0:1], s[40:41], v[18:19], -v[0:1]
	v_fmac_f64_e32 v[2:3], s[42:43], v[18:19]
	s_and_b64 vcc, exec, s[0:1]
	v_lshl_add_u64 v[4:5], v[6:7], 4, v[8:9]
	s_cbranch_vccnz .LBB266_31
; %bb.30:
	global_load_dwordx4 v[6:9], v[4:5], off
	s_waitcnt vmcnt(0)
	v_mul_f64 v[10:11], s[38:39], v[8:9]
	v_mul_f64 v[8:9], s[36:37], v[8:9]
	v_fma_f64 v[10:11], s[36:37], v[6:7], -v[10:11]
	v_fmac_f64_e32 v[8:9], s[38:39], v[6:7]
	v_add_f64 v[0:1], v[0:1], v[10:11]
	v_add_f64 v[2:3], v[2:3], v[8:9]
.LBB266_31:
	global_store_dwordx4 v[4:5], v[0:3], off
.LBB266_32:
	s_endpgm
	.section	.rodata,"a",@progbits
	.p2align	6, 0x0
	.amdhsa_kernel _ZL29rocblas_internal_gemmt_kernelIlLi16ELi32ELi8ELc84ELc67ELc76ELb0ELb1E19rocblas_complex_numIdEPKS1_S3_PS1_EviT_T9_T10_S5_lS7_S5_lS6_T11_S5_li
		.amdhsa_group_segment_fixed_size 8192
		.amdhsa_private_segment_fixed_size 0
		.amdhsa_kernarg_size 108
		.amdhsa_user_sgpr_count 2
		.amdhsa_user_sgpr_dispatch_ptr 0
		.amdhsa_user_sgpr_queue_ptr 0
		.amdhsa_user_sgpr_kernarg_segment_ptr 1
		.amdhsa_user_sgpr_dispatch_id 0
		.amdhsa_user_sgpr_kernarg_preload_length 0
		.amdhsa_user_sgpr_kernarg_preload_offset 0
		.amdhsa_user_sgpr_private_segment_size 0
		.amdhsa_uses_dynamic_stack 0
		.amdhsa_enable_private_segment 0
		.amdhsa_system_sgpr_workgroup_id_x 1
		.amdhsa_system_sgpr_workgroup_id_y 1
		.amdhsa_system_sgpr_workgroup_id_z 1
		.amdhsa_system_sgpr_workgroup_info 0
		.amdhsa_system_vgpr_workitem_id 1
		.amdhsa_next_free_vgpr 66
		.amdhsa_next_free_sgpr 44
		.amdhsa_accum_offset 68
		.amdhsa_reserve_vcc 1
		.amdhsa_float_round_mode_32 0
		.amdhsa_float_round_mode_16_64 0
		.amdhsa_float_denorm_mode_32 3
		.amdhsa_float_denorm_mode_16_64 3
		.amdhsa_dx10_clamp 1
		.amdhsa_ieee_mode 1
		.amdhsa_fp16_overflow 0
		.amdhsa_tg_split 0
		.amdhsa_exception_fp_ieee_invalid_op 0
		.amdhsa_exception_fp_denorm_src 0
		.amdhsa_exception_fp_ieee_div_zero 0
		.amdhsa_exception_fp_ieee_overflow 0
		.amdhsa_exception_fp_ieee_underflow 0
		.amdhsa_exception_fp_ieee_inexact 0
		.amdhsa_exception_int_div_zero 0
	.end_amdhsa_kernel
	.section	.text._ZL29rocblas_internal_gemmt_kernelIlLi16ELi32ELi8ELc84ELc67ELc76ELb0ELb1E19rocblas_complex_numIdEPKS1_S3_PS1_EviT_T9_T10_S5_lS7_S5_lS6_T11_S5_li,"axG",@progbits,_ZL29rocblas_internal_gemmt_kernelIlLi16ELi32ELi8ELc84ELc67ELc76ELb0ELb1E19rocblas_complex_numIdEPKS1_S3_PS1_EviT_T9_T10_S5_lS7_S5_lS6_T11_S5_li,comdat
.Lfunc_end266:
	.size	_ZL29rocblas_internal_gemmt_kernelIlLi16ELi32ELi8ELc84ELc67ELc76ELb0ELb1E19rocblas_complex_numIdEPKS1_S3_PS1_EviT_T9_T10_S5_lS7_S5_lS6_T11_S5_li, .Lfunc_end266-_ZL29rocblas_internal_gemmt_kernelIlLi16ELi32ELi8ELc84ELc67ELc76ELb0ELb1E19rocblas_complex_numIdEPKS1_S3_PS1_EviT_T9_T10_S5_lS7_S5_lS6_T11_S5_li
                                        ; -- End function
	.set _ZL29rocblas_internal_gemmt_kernelIlLi16ELi32ELi8ELc84ELc67ELc76ELb0ELb1E19rocblas_complex_numIdEPKS1_S3_PS1_EviT_T9_T10_S5_lS7_S5_lS6_T11_S5_li.num_vgpr, 66
	.set _ZL29rocblas_internal_gemmt_kernelIlLi16ELi32ELi8ELc84ELc67ELc76ELb0ELb1E19rocblas_complex_numIdEPKS1_S3_PS1_EviT_T9_T10_S5_lS7_S5_lS6_T11_S5_li.num_agpr, 0
	.set _ZL29rocblas_internal_gemmt_kernelIlLi16ELi32ELi8ELc84ELc67ELc76ELb0ELb1E19rocblas_complex_numIdEPKS1_S3_PS1_EviT_T9_T10_S5_lS7_S5_lS6_T11_S5_li.numbered_sgpr, 44
	.set _ZL29rocblas_internal_gemmt_kernelIlLi16ELi32ELi8ELc84ELc67ELc76ELb0ELb1E19rocblas_complex_numIdEPKS1_S3_PS1_EviT_T9_T10_S5_lS7_S5_lS6_T11_S5_li.num_named_barrier, 0
	.set _ZL29rocblas_internal_gemmt_kernelIlLi16ELi32ELi8ELc84ELc67ELc76ELb0ELb1E19rocblas_complex_numIdEPKS1_S3_PS1_EviT_T9_T10_S5_lS7_S5_lS6_T11_S5_li.private_seg_size, 0
	.set _ZL29rocblas_internal_gemmt_kernelIlLi16ELi32ELi8ELc84ELc67ELc76ELb0ELb1E19rocblas_complex_numIdEPKS1_S3_PS1_EviT_T9_T10_S5_lS7_S5_lS6_T11_S5_li.uses_vcc, 1
	.set _ZL29rocblas_internal_gemmt_kernelIlLi16ELi32ELi8ELc84ELc67ELc76ELb0ELb1E19rocblas_complex_numIdEPKS1_S3_PS1_EviT_T9_T10_S5_lS7_S5_lS6_T11_S5_li.uses_flat_scratch, 0
	.set _ZL29rocblas_internal_gemmt_kernelIlLi16ELi32ELi8ELc84ELc67ELc76ELb0ELb1E19rocblas_complex_numIdEPKS1_S3_PS1_EviT_T9_T10_S5_lS7_S5_lS6_T11_S5_li.has_dyn_sized_stack, 0
	.set _ZL29rocblas_internal_gemmt_kernelIlLi16ELi32ELi8ELc84ELc67ELc76ELb0ELb1E19rocblas_complex_numIdEPKS1_S3_PS1_EviT_T9_T10_S5_lS7_S5_lS6_T11_S5_li.has_recursion, 0
	.set _ZL29rocblas_internal_gemmt_kernelIlLi16ELi32ELi8ELc84ELc67ELc76ELb0ELb1E19rocblas_complex_numIdEPKS1_S3_PS1_EviT_T9_T10_S5_lS7_S5_lS6_T11_S5_li.has_indirect_call, 0
	.section	.AMDGPU.csdata,"",@progbits
; Kernel info:
; codeLenInByte = 3224
; TotalNumSgprs: 50
; NumVgprs: 66
; NumAgprs: 0
; TotalNumVgprs: 66
; ScratchSize: 0
; MemoryBound: 1
; FloatMode: 240
; IeeeMode: 1
; LDSByteSize: 8192 bytes/workgroup (compile time only)
; SGPRBlocks: 6
; VGPRBlocks: 8
; NumSGPRsForWavesPerEU: 50
; NumVGPRsForWavesPerEU: 66
; AccumOffset: 68
; Occupancy: 7
; WaveLimiterHint : 0
; COMPUTE_PGM_RSRC2:SCRATCH_EN: 0
; COMPUTE_PGM_RSRC2:USER_SGPR: 2
; COMPUTE_PGM_RSRC2:TRAP_HANDLER: 0
; COMPUTE_PGM_RSRC2:TGID_X_EN: 1
; COMPUTE_PGM_RSRC2:TGID_Y_EN: 1
; COMPUTE_PGM_RSRC2:TGID_Z_EN: 1
; COMPUTE_PGM_RSRC2:TIDIG_COMP_CNT: 1
; COMPUTE_PGM_RSRC3_GFX90A:ACCUM_OFFSET: 16
; COMPUTE_PGM_RSRC3_GFX90A:TG_SPLIT: 0
	.section	.text._ZL29rocblas_internal_gemmt_kernelIlLi16ELi32ELi8ELc67ELc78ELc76ELb1ELb0E19rocblas_complex_numIdEPKS1_S3_PS1_EviT_T9_T10_S5_lS7_S5_lS6_T11_S5_li,"axG",@progbits,_ZL29rocblas_internal_gemmt_kernelIlLi16ELi32ELi8ELc67ELc78ELc76ELb1ELb0E19rocblas_complex_numIdEPKS1_S3_PS1_EviT_T9_T10_S5_lS7_S5_lS6_T11_S5_li,comdat
	.globl	_ZL29rocblas_internal_gemmt_kernelIlLi16ELi32ELi8ELc67ELc78ELc76ELb1ELb0E19rocblas_complex_numIdEPKS1_S3_PS1_EviT_T9_T10_S5_lS7_S5_lS6_T11_S5_li ; -- Begin function _ZL29rocblas_internal_gemmt_kernelIlLi16ELi32ELi8ELc67ELc78ELc76ELb1ELb0E19rocblas_complex_numIdEPKS1_S3_PS1_EviT_T9_T10_S5_lS7_S5_lS6_T11_S5_li
	.p2align	8
	.type	_ZL29rocblas_internal_gemmt_kernelIlLi16ELi32ELi8ELc67ELc78ELc76ELb1ELb0E19rocblas_complex_numIdEPKS1_S3_PS1_EviT_T9_T10_S5_lS7_S5_lS6_T11_S5_li,@function
_ZL29rocblas_internal_gemmt_kernelIlLi16ELi32ELi8ELc67ELc78ELc76ELb1ELb0E19rocblas_complex_numIdEPKS1_S3_PS1_EviT_T9_T10_S5_lS7_S5_lS6_T11_S5_li: ; @_ZL29rocblas_internal_gemmt_kernelIlLi16ELi32ELi8ELc67ELc78ELc76ELb1ELb0E19rocblas_complex_numIdEPKS1_S3_PS1_EviT_T9_T10_S5_lS7_S5_lS6_T11_S5_li
; %bb.0:
	s_load_dwordx8 s[24:31], s[0:1], 0x48
	s_load_dwordx16 s[8:23], s[0:1], 0x8
	s_waitcnt lgkmcnt(0)
	s_load_dwordx4 s[36:39], s[24:25], 0x0
	s_load_dwordx4 s[40:43], s[10:11], 0x0
	s_mov_b64 s[24:25], 0
	s_waitcnt lgkmcnt(0)
	v_cmp_eq_f64_e64 s[10:11], s[36:37], 1.0
	v_cmp_eq_f64_e64 s[6:7], s[38:39], 0
	s_and_b64 s[10:11], s[10:11], s[6:7]
	s_andn2_b64 vcc, exec, s[10:11]
	s_mov_b64 s[10:11], -1
	s_cbranch_vccnz .LBB267_4
; %bb.1:
	s_cmp_lg_u64 s[8:9], 0
	s_cbranch_scc0 .LBB267_3
; %bb.2:
	v_cmp_neq_f64_e64 s[10:11], s[40:41], 0
	v_cmp_neq_f64_e64 s[24:25], s[42:43], 0
	s_or_b64 s[24:25], s[10:11], s[24:25]
.LBB267_3:
	s_mov_b64 s[10:11], s[24:25]
.LBB267_4:
	s_and_b64 vcc, exec, s[10:11]
	s_cbranch_vccz .LBB267_32
; %bb.5:
	s_load_dword s24, s[0:1], 0x0
	s_lshl_b32 s5, s2, 5
	s_lshl_b32 s25, s3, 5
	v_cmp_eq_f64_e64 s[0:1], s[40:41], 0
	v_cmp_eq_f64_e64 s[2:3], s[42:43], 0
	s_and_b64 s[0:1], s[0:1], s[2:3]
	v_cmp_lt_i64_e64 s[2:3], s[8:9], 1
	s_or_b64 s[0:1], s[0:1], s[2:3]
	v_and_b32_e32 v5, 0x3ff, v0
	v_bfe_u32 v7, v0, 10, 10
	v_mov_b64_e32 v[26:27], 0
	s_and_b64 vcc, exec, s[0:1]
	v_mov_b64_e32 v[28:29], 0
	v_mov_b64_e32 v[22:23], 0
	;; [unrolled: 1-line block ×7, first 2 shown]
	s_cbranch_vccnz .LBB267_16
; %bb.6:
	s_mul_i32 s0, s23, s4
	s_mul_hi_u32 s1, s22, s4
	s_add_i32 s1, s1, s0
	s_mul_i32 s0, s22, s4
	s_lshl_b64 s[0:1], s[0:1], 4
	s_add_u32 s2, s18, s0
	s_addc_u32 s3, s19, s1
	s_mul_i32 s0, s17, s4
	s_mul_hi_u32 s1, s16, s4
	v_lshl_add_u32 v0, v7, 4, v5
	s_add_i32 s1, s1, s0
	s_mul_i32 s0, s16, s4
	v_lshrrev_b32_e32 v6, 5, v0
	v_lshrrev_b32_e32 v2, 3, v0
	v_and_b32_e32 v0, 31, v0
	s_lshl_b64 s[0:1], s[0:1], 4
	v_or_b32_e32 v1, s5, v0
	s_add_u32 s10, s12, s0
	v_lshlrev_b32_e32 v0, 4, v0
	s_addc_u32 s11, s13, s1
	s_waitcnt lgkmcnt(0)
	v_cmp_gt_i32_e64 s[0:1], s24, v1
	v_lshl_or_b32 v30, v6, 9, v0
	s_ashr_i32 s16, s5, 31
	v_mul_lo_u32 v8, s15, v1
	v_mad_u64_u32 v[0:1], s[12:13], s14, v1, 0
	s_mul_i32 s12, s14, s16
	v_and_b32_e32 v4, 7, v5
	v_add3_u32 v1, v1, s12, v8
	v_lshl_add_u64 v[8:9], v[0:1], 4, s[10:11]
	v_lshlrev_b32_e32 v0, 4, v4
	v_add_u32_e32 v3, s25, v2
	v_lshl_or_b32 v0, v2, 7, v0
	v_add_u32_e32 v31, 0x1000, v0
	v_ashrrev_i32_e32 v0, 31, v3
	v_mul_lo_u32 v2, s20, v0
	v_mul_lo_u32 v10, s21, v3
	v_mad_u64_u32 v[0:1], s[10:11], s20, v3, 0
	v_add3_u32 v1, v1, v2, v10
	v_cmp_gt_i32_e32 vcc, s24, v3
	v_lshl_add_u64 v[10:11], v[0:1], 4, s[2:3]
	v_mov_b32_e32 v0, 0x1000
	v_mov_b32_e32 v13, 0
	v_lshlrev_b32_e32 v32, 4, v5
	v_lshl_add_u32 v33, v7, 7, v0
	v_mov_b64_e32 v[14:15], 0
	s_mov_b64 s[2:3], 0
	s_xor_b64 s[10:11], vcc, -1
	v_mov_b32_e32 v34, v13
	v_mov_b32_e32 v35, v13
	;; [unrolled: 1-line block ×4, first 2 shown]
	v_mov_b64_e32 v[16:17], 0
	v_mov_b64_e32 v[20:21], 0
	;; [unrolled: 1-line block ×7, first 2 shown]
	s_branch .LBB267_8
.LBB267_7:                              ;   in Loop: Header=BB267_8 Depth=1
	s_or_b64 exec, exec, s[12:13]
	s_waitcnt lgkmcnt(0)
	s_barrier
	ds_read_b128 v[0:3], v32
	ds_read_b128 v[38:41], v33
	ds_read_b128 v[42:45], v33 offset:16
	ds_read_b128 v[46:49], v33 offset:32
	;; [unrolled: 1-line block ×4, first 2 shown]
	s_waitcnt lgkmcnt(4)
	v_mul_f64 v[58:59], v[40:41], v[2:3]
	v_fma_f64 v[58:59], v[38:39], v[0:1], -v[58:59]
	v_mul_f64 v[60:61], v[38:39], v[2:3]
	v_fmac_f64_e32 v[60:61], v[40:41], v[0:1]
	v_add_f64 v[58:59], v[26:27], v[58:59]
	s_waitcnt lgkmcnt(0)
	v_mul_f64 v[26:27], v[40:41], v[56:57]
	v_add_f64 v[60:61], v[60:61], v[28:29]
	v_fma_f64 v[62:63], v[38:39], v[54:55], -v[26:27]
	ds_read_b128 v[26:29], v33 offset:2048
	v_mul_f64 v[38:39], v[38:39], v[56:57]
	v_fmac_f64_e32 v[38:39], v[40:41], v[54:55]
	v_add_f64 v[40:41], v[22:23], v[62:63]
	v_add_f64 v[38:39], v[38:39], v[24:25]
	ds_read_b128 v[22:25], v33 offset:2064
	s_waitcnt lgkmcnt(1)
	v_mul_f64 v[62:63], v[28:29], v[2:3]
	v_mul_f64 v[2:3], v[26:27], v[2:3]
	v_fma_f64 v[62:63], v[26:27], v[0:1], -v[62:63]
	v_fmac_f64_e32 v[2:3], v[28:29], v[0:1]
	v_mul_f64 v[0:1], v[28:29], v[56:57]
	v_add_f64 v[18:19], v[18:19], v[62:63]
	v_add_f64 v[20:21], v[2:3], v[20:21]
	v_fma_f64 v[62:63], v[26:27], v[54:55], -v[0:1]
	v_mul_f64 v[26:27], v[26:27], v[56:57]
	ds_read_b128 v[0:3], v32 offset:512
	v_fmac_f64_e32 v[26:27], v[28:29], v[54:55]
	v_add_f64 v[28:29], v[16:17], v[62:63]
	v_add_f64 v[26:27], v[26:27], v[14:15]
	ds_read_b128 v[14:17], v32 offset:768
	s_waitcnt lgkmcnt(1)
	v_mul_f64 v[54:55], v[44:45], v[2:3]
	v_fma_f64 v[54:55], v[42:43], v[0:1], -v[54:55]
	v_add_f64 v[54:55], v[58:59], v[54:55]
	v_mul_f64 v[56:57], v[42:43], v[2:3]
	s_waitcnt lgkmcnt(0)
	v_mul_f64 v[58:59], v[44:45], v[16:17]
	v_fma_f64 v[58:59], v[42:43], v[14:15], -v[58:59]
	v_mul_f64 v[42:43], v[42:43], v[16:17]
	v_fmac_f64_e32 v[42:43], v[44:45], v[14:15]
	v_add_f64 v[38:39], v[42:43], v[38:39]
	v_mul_f64 v[42:43], v[24:25], v[2:3]
	v_mul_f64 v[2:3], v[22:23], v[2:3]
	v_fmac_f64_e32 v[56:57], v[44:45], v[0:1]
	v_fma_f64 v[42:43], v[22:23], v[0:1], -v[42:43]
	v_fmac_f64_e32 v[2:3], v[24:25], v[0:1]
	v_mul_f64 v[0:1], v[24:25], v[16:17]
	v_add_f64 v[42:43], v[18:19], v[42:43]
	v_add_f64 v[44:45], v[2:3], v[20:21]
	v_fma_f64 v[18:19], v[22:23], v[14:15], -v[0:1]
	v_mul_f64 v[16:17], v[22:23], v[16:17]
	ds_read_b128 v[0:3], v32 offset:1024
	v_fmac_f64_e32 v[16:17], v[24:25], v[14:15]
	v_add_f64 v[26:27], v[16:17], v[26:27]
	ds_read_b128 v[14:17], v32 offset:1280
	v_add_f64 v[28:29], v[28:29], v[18:19]
	s_waitcnt lgkmcnt(1)
	v_mul_f64 v[18:19], v[48:49], v[2:3]
	v_fma_f64 v[18:19], v[46:47], v[0:1], -v[18:19]
	v_mul_f64 v[20:21], v[46:47], v[2:3]
	v_add_f64 v[56:57], v[56:57], v[60:61]
	v_fmac_f64_e32 v[20:21], v[48:49], v[0:1]
	v_add_f64 v[54:55], v[54:55], v[18:19]
	s_waitcnt lgkmcnt(0)
	v_mul_f64 v[18:19], v[48:49], v[16:17]
	v_add_f64 v[56:57], v[20:21], v[56:57]
	v_fma_f64 v[22:23], v[46:47], v[14:15], -v[18:19]
	ds_read_b128 v[18:21], v33 offset:2080
	v_mul_f64 v[24:25], v[46:47], v[16:17]
	v_add_f64 v[40:41], v[40:41], v[58:59]
	v_fmac_f64_e32 v[24:25], v[48:49], v[14:15]
	v_add_f64 v[40:41], v[40:41], v[22:23]
	v_add_f64 v[38:39], v[24:25], v[38:39]
	ds_read_b128 v[22:25], v33 offset:2096
	s_waitcnt lgkmcnt(1)
	v_mul_f64 v[46:47], v[20:21], v[2:3]
	v_mul_f64 v[2:3], v[18:19], v[2:3]
	v_fma_f64 v[46:47], v[18:19], v[0:1], -v[46:47]
	v_fmac_f64_e32 v[2:3], v[20:21], v[0:1]
	v_mul_f64 v[0:1], v[20:21], v[16:17]
	v_mul_f64 v[16:17], v[18:19], v[16:17]
	v_fmac_f64_e32 v[16:17], v[20:21], v[14:15]
	v_add_f64 v[42:43], v[42:43], v[46:47]
	v_add_f64 v[44:45], v[2:3], v[44:45]
	v_fma_f64 v[46:47], v[18:19], v[14:15], -v[0:1]
	ds_read_b128 v[0:3], v32 offset:1536
	v_add_f64 v[20:21], v[16:17], v[26:27]
	ds_read_b128 v[14:17], v32 offset:1792
	v_add_f64 v[18:19], v[28:29], v[46:47]
	s_add_u32 s2, s2, 8
	s_waitcnt lgkmcnt(1)
	v_mul_f64 v[26:27], v[52:53], v[2:3]
	v_mul_f64 v[28:29], v[50:51], v[2:3]
	s_waitcnt lgkmcnt(0)
	v_mul_f64 v[46:47], v[52:53], v[16:17]
	v_fma_f64 v[46:47], v[50:51], v[14:15], -v[46:47]
	v_add_f64 v[40:41], v[40:41], v[46:47]
	v_mul_f64 v[46:47], v[24:25], v[2:3]
	v_mul_f64 v[2:3], v[22:23], v[2:3]
	v_fma_f64 v[26:27], v[50:51], v[0:1], -v[26:27]
	v_fmac_f64_e32 v[28:29], v[52:53], v[0:1]
	v_fma_f64 v[46:47], v[22:23], v[0:1], -v[46:47]
	v_fmac_f64_e32 v[2:3], v[24:25], v[0:1]
	v_mul_f64 v[0:1], v[24:25], v[16:17]
	v_mul_f64 v[48:49], v[50:51], v[16:17]
	v_add_f64 v[42:43], v[42:43], v[46:47]
	v_fma_f64 v[46:47], v[22:23], v[14:15], -v[0:1]
	v_mul_f64 v[22:23], v[22:23], v[16:17]
	v_fmac_f64_e32 v[48:49], v[52:53], v[14:15]
	v_add_f64 v[44:45], v[2:3], v[44:45]
	v_fmac_f64_e32 v[22:23], v[24:25], v[14:15]
	ds_read_b128 v[0:3], v33 offset:64
	ds_read_b128 v[14:17], v32 offset:2048
	v_add_f64 v[38:39], v[48:49], v[38:39]
	v_add_f64 v[46:47], v[18:19], v[46:47]
	;; [unrolled: 1-line block ×3, first 2 shown]
	ds_read_b128 v[18:21], v32 offset:2304
	ds_read_b128 v[22:25], v33 offset:80
	s_waitcnt lgkmcnt(2)
	v_mul_f64 v[50:51], v[2:3], v[16:17]
	v_add_f64 v[26:27], v[54:55], v[26:27]
	v_fma_f64 v[50:51], v[0:1], v[14:15], -v[50:51]
	v_mul_f64 v[52:53], v[0:1], v[16:17]
	v_add_f64 v[28:29], v[28:29], v[56:57]
	v_fmac_f64_e32 v[52:53], v[2:3], v[14:15]
	v_add_f64 v[50:51], v[26:27], v[50:51]
	s_waitcnt lgkmcnt(1)
	v_mul_f64 v[26:27], v[2:3], v[20:21]
	v_add_f64 v[52:53], v[52:53], v[28:29]
	v_fma_f64 v[54:55], v[0:1], v[18:19], -v[26:27]
	ds_read_b128 v[26:29], v33 offset:2112
	v_mul_f64 v[0:1], v[0:1], v[20:21]
	v_fmac_f64_e32 v[0:1], v[2:3], v[18:19]
	v_add_f64 v[40:41], v[40:41], v[54:55]
	v_add_f64 v[38:39], v[0:1], v[38:39]
	ds_read_b128 v[0:3], v33 offset:2128
	s_waitcnt lgkmcnt(1)
	v_mul_f64 v[54:55], v[28:29], v[16:17]
	v_mul_f64 v[16:17], v[26:27], v[16:17]
	v_fma_f64 v[54:55], v[26:27], v[14:15], -v[54:55]
	v_fmac_f64_e32 v[16:17], v[28:29], v[14:15]
	v_mul_f64 v[14:15], v[28:29], v[20:21]
	v_add_f64 v[42:43], v[42:43], v[54:55]
	v_add_f64 v[44:45], v[16:17], v[44:45]
	v_fma_f64 v[54:55], v[26:27], v[18:19], -v[14:15]
	v_mul_f64 v[20:21], v[26:27], v[20:21]
	ds_read_b128 v[14:17], v32 offset:2560
	v_fmac_f64_e32 v[20:21], v[28:29], v[18:19]
	v_add_f64 v[28:29], v[20:21], v[48:49]
	ds_read_b128 v[18:21], v32 offset:2816
	v_add_f64 v[26:27], v[46:47], v[54:55]
	s_waitcnt lgkmcnt(1)
	v_mul_f64 v[46:47], v[24:25], v[16:17]
	v_fma_f64 v[46:47], v[22:23], v[14:15], -v[46:47]
	v_add_f64 v[46:47], v[50:51], v[46:47]
	s_waitcnt lgkmcnt(0)
	v_mul_f64 v[50:51], v[24:25], v[20:21]
	v_mul_f64 v[48:49], v[22:23], v[16:17]
	v_fma_f64 v[50:51], v[22:23], v[18:19], -v[50:51]
	v_mul_f64 v[22:23], v[22:23], v[20:21]
	v_fmac_f64_e32 v[22:23], v[24:25], v[18:19]
	v_add_f64 v[38:39], v[22:23], v[38:39]
	v_mul_f64 v[22:23], v[2:3], v[16:17]
	v_mul_f64 v[16:17], v[0:1], v[16:17]
	v_fmac_f64_e32 v[48:49], v[24:25], v[14:15]
	v_fma_f64 v[22:23], v[0:1], v[14:15], -v[22:23]
	v_fmac_f64_e32 v[16:17], v[2:3], v[14:15]
	v_mul_f64 v[14:15], v[2:3], v[20:21]
	v_mul_f64 v[20:21], v[0:1], v[20:21]
	v_add_f64 v[42:43], v[42:43], v[22:23]
	v_add_f64 v[44:45], v[16:17], v[44:45]
	v_fma_f64 v[22:23], v[0:1], v[18:19], -v[14:15]
	v_fmac_f64_e32 v[20:21], v[2:3], v[18:19]
	ds_read_b128 v[0:3], v33 offset:96
	ds_read_b128 v[14:17], v32 offset:3072
	v_add_f64 v[48:49], v[48:49], v[52:53]
	v_add_f64 v[40:41], v[40:41], v[50:51]
	;; [unrolled: 1-line block ×4, first 2 shown]
	ds_read_b128 v[18:21], v32 offset:3328
	ds_read_b128 v[22:25], v33 offset:112
	s_waitcnt lgkmcnt(2)
	v_mul_f64 v[26:27], v[2:3], v[16:17]
	v_fma_f64 v[26:27], v[0:1], v[14:15], -v[26:27]
	v_mul_f64 v[28:29], v[0:1], v[16:17]
	v_fmac_f64_e32 v[28:29], v[2:3], v[14:15]
	v_add_f64 v[46:47], v[46:47], v[26:27]
	s_waitcnt lgkmcnt(1)
	v_mul_f64 v[26:27], v[2:3], v[20:21]
	v_add_f64 v[48:49], v[28:29], v[48:49]
	v_fma_f64 v[54:55], v[0:1], v[18:19], -v[26:27]
	ds_read_b128 v[26:29], v33 offset:2144
	v_mul_f64 v[0:1], v[0:1], v[20:21]
	v_fmac_f64_e32 v[0:1], v[2:3], v[18:19]
	v_add_f64 v[56:57], v[0:1], v[38:39]
	ds_read_b128 v[0:3], v33 offset:2160
	s_waitcnt lgkmcnt(1)
	v_mul_f64 v[38:39], v[28:29], v[16:17]
	v_mul_f64 v[16:17], v[26:27], v[16:17]
	v_fma_f64 v[38:39], v[26:27], v[14:15], -v[38:39]
	v_fmac_f64_e32 v[16:17], v[28:29], v[14:15]
	v_mul_f64 v[14:15], v[28:29], v[20:21]
	v_add_f64 v[42:43], v[42:43], v[38:39]
	v_add_f64 v[44:45], v[16:17], v[44:45]
	v_fma_f64 v[38:39], v[26:27], v[18:19], -v[14:15]
	ds_read_b128 v[14:17], v32 offset:3584
	v_add_f64 v[54:55], v[40:41], v[54:55]
	v_add_f64 v[50:51], v[50:51], v[38:39]
	ds_read_b128 v[38:41], v32 offset:3840
	v_mul_f64 v[20:21], v[26:27], v[20:21]
	v_fmac_f64_e32 v[20:21], v[28:29], v[18:19]
	s_waitcnt lgkmcnt(1)
	v_mul_f64 v[18:19], v[24:25], v[16:17]
	v_fma_f64 v[18:19], v[22:23], v[14:15], -v[18:19]
	v_add_f64 v[52:53], v[20:21], v[52:53]
	v_mul_f64 v[20:21], v[22:23], v[16:17]
	v_add_f64 v[26:27], v[46:47], v[18:19]
	s_waitcnt lgkmcnt(0)
	v_mul_f64 v[18:19], v[24:25], v[40:41]
	v_fmac_f64_e32 v[20:21], v[24:25], v[14:15]
	v_fma_f64 v[18:19], v[22:23], v[38:39], -v[18:19]
	v_add_f64 v[28:29], v[20:21], v[48:49]
	v_mul_f64 v[20:21], v[22:23], v[40:41]
	v_add_f64 v[22:23], v[54:55], v[18:19]
	v_mul_f64 v[18:19], v[2:3], v[16:17]
	v_mul_f64 v[16:17], v[0:1], v[16:17]
	v_fma_f64 v[18:19], v[0:1], v[14:15], -v[18:19]
	v_fmac_f64_e32 v[16:17], v[2:3], v[14:15]
	v_mul_f64 v[14:15], v[2:3], v[40:41]
	v_fma_f64 v[14:15], v[0:1], v[38:39], -v[14:15]
	v_mul_f64 v[0:1], v[0:1], v[40:41]
	v_fmac_f64_e32 v[20:21], v[24:25], v[38:39]
	v_fmac_f64_e32 v[0:1], v[2:3], v[38:39]
	s_addc_u32 s3, s3, 0
	v_add_f64 v[24:25], v[20:21], v[56:57]
	v_add_f64 v[20:21], v[16:17], v[44:45]
	;; [unrolled: 1-line block ×4, first 2 shown]
	v_mov_b64_e32 v[0:1], s[2:3]
	v_cmp_gt_i64_e32 vcc, s[8:9], v[0:1]
	v_add_f64 v[18:19], v[42:43], v[18:19]
	s_barrier
	s_cbranch_vccz .LBB267_16
.LBB267_8:                              ; =>This Inner Loop Header: Depth=1
	v_mov_b64_e32 v[0:1], 0
	v_mov_b64_e32 v[2:3], 0
	s_and_saveexec_b64 s[12:13], s[0:1]
	s_cbranch_execz .LBB267_12
; %bb.9:                                ;   in Loop: Header=BB267_8 Depth=1
	v_add_u32_e32 v12, s2, v6
	v_cmp_gt_u64_e32 vcc, s[8:9], v[12:13]
	v_mov_b64_e32 v[2:3], 0
	v_mov_b64_e32 v[0:1], 0
	s_and_saveexec_b64 s[14:15], vcc
	s_cbranch_execz .LBB267_11
; %bb.10:                               ;   in Loop: Header=BB267_8 Depth=1
	v_lshl_add_u64 v[0:1], v[12:13], 4, v[8:9]
	global_load_dwordx4 v[0:3], v[0:1], off
	s_waitcnt vmcnt(0)
	v_xor_b32_e32 v3, 0x80000000, v3
.LBB267_11:                             ;   in Loop: Header=BB267_8 Depth=1
	s_or_b64 exec, exec, s[14:15]
.LBB267_12:                             ;   in Loop: Header=BB267_8 Depth=1
	s_or_b64 exec, exec, s[12:13]
	v_add_u32_e32 v12, s2, v4
	v_cmp_le_u64_e32 vcc, s[8:9], v[12:13]
	s_or_b64 s[12:13], vcc, s[10:11]
	ds_write_b128 v30, v[0:3]
	s_and_saveexec_b64 s[14:15], s[12:13]
	s_xor_b64 s[12:13], exec, s[14:15]
; %bb.13:                               ;   in Loop: Header=BB267_8 Depth=1
	ds_write_b128 v31, v[34:37]
; %bb.14:                               ;   in Loop: Header=BB267_8 Depth=1
	s_andn2_saveexec_b64 s[12:13], s[12:13]
	s_cbranch_execz .LBB267_7
; %bb.15:                               ;   in Loop: Header=BB267_8 Depth=1
	v_lshl_add_u64 v[0:1], v[12:13], 4, v[10:11]
	global_load_dwordx4 v[0:3], v[0:1], off
	s_waitcnt vmcnt(0)
	ds_write2_b64 v31, v[0:1], v[2:3] offset1:1
	s_branch .LBB267_7
.LBB267_16:
	s_mul_i32 s0, s31, s4
	s_mul_hi_u32 s1, s30, s4
	s_add_i32 s1, s1, s0
	s_mul_i32 s0, s30, s4
	s_lshl_b64 s[0:1], s[0:1], 4
	v_add_u32_e32 v10, s25, v7
	s_add_u32 s8, s26, s0
	v_ashrrev_i32_e32 v0, 31, v10
	s_addc_u32 s9, s27, s1
	v_add_u32_e32 v4, s5, v5
	v_cmp_neq_f64_e64 s[0:1], s[36:37], 0
	s_xor_b64 s[4:5], s[6:7], -1
	v_mul_lo_u32 v2, s28, v0
	v_mul_lo_u32 v3, s29, v10
	v_mad_u64_u32 v[0:1], s[2:3], s28, v10, 0
	v_add3_u32 v1, v1, v2, v3
	s_or_b64 s[0:1], s[0:1], s[4:5]
	v_lshl_add_u64 v[8:9], v[0:1], 4, s[8:9]
	v_cmp_le_i32_e32 vcc, v10, v4
	s_waitcnt lgkmcnt(0)
	v_cmp_gt_i32_e64 s[2:3], s24, v4
	v_cndmask_b32_e64 v0, 0, 1, s[0:1]
	s_and_b64 s[6:7], vcc, s[2:3]
	v_ashrrev_i32_e32 v5, 31, v4
	v_cmp_ne_u32_e64 s[0:1], 1, v0
	s_and_saveexec_b64 s[4:5], s[6:7]
	s_cbranch_execz .LBB267_20
; %bb.17:
	v_mul_f64 v[0:1], s[42:43], v[28:29]
	v_mul_f64 v[2:3], s[40:41], v[28:29]
	v_fma_f64 v[0:1], s[40:41], v[26:27], -v[0:1]
	v_fmac_f64_e32 v[2:3], s[42:43], v[26:27]
	s_and_b64 vcc, exec, s[0:1]
	v_lshl_add_u64 v[6:7], v[4:5], 4, v[8:9]
	s_cbranch_vccnz .LBB267_19
; %bb.18:
	global_load_dwordx4 v[26:29], v[6:7], off
	s_waitcnt vmcnt(0)
	v_mul_f64 v[12:13], s[38:39], v[28:29]
	v_mul_f64 v[28:29], s[36:37], v[28:29]
	v_fma_f64 v[12:13], s[36:37], v[26:27], -v[12:13]
	v_fmac_f64_e32 v[28:29], s[38:39], v[26:27]
	v_add_f64 v[0:1], v[0:1], v[12:13]
	v_add_f64 v[2:3], v[2:3], v[28:29]
.LBB267_19:
	global_store_dwordx4 v[6:7], v[0:3], off
.LBB267_20:
	s_or_b64 exec, exec, s[4:5]
	v_add_u32_e32 v6, 16, v4
	v_cmp_le_i32_e32 vcc, v10, v6
	v_cmp_gt_i32_e64 s[4:5], s24, v6
	s_and_b64 s[10:11], vcc, s[4:5]
	v_ashrrev_i32_e32 v7, 31, v6
	s_and_saveexec_b64 s[6:7], s[10:11]
	s_cbranch_execz .LBB267_24
; %bb.21:
	v_mul_f64 v[0:1], s[42:43], v[24:25]
	v_mul_f64 v[2:3], s[40:41], v[24:25]
	v_fma_f64 v[0:1], s[40:41], v[22:23], -v[0:1]
	v_fmac_f64_e32 v[2:3], s[42:43], v[22:23]
	s_and_b64 vcc, exec, s[0:1]
	v_lshl_add_u64 v[8:9], v[6:7], 4, v[8:9]
	s_cbranch_vccnz .LBB267_23
; %bb.22:
	global_load_dwordx4 v[22:25], v[8:9], off
	s_waitcnt vmcnt(0)
	v_mul_f64 v[12:13], s[38:39], v[24:25]
	v_mul_f64 v[24:25], s[36:37], v[24:25]
	v_fma_f64 v[12:13], s[36:37], v[22:23], -v[12:13]
	v_fmac_f64_e32 v[24:25], s[38:39], v[22:23]
	v_add_f64 v[0:1], v[0:1], v[12:13]
	v_add_f64 v[2:3], v[2:3], v[24:25]
.LBB267_23:
	global_store_dwordx4 v[8:9], v[0:3], off
.LBB267_24:
	s_or_b64 exec, exec, s[6:7]
	v_add_u32_e32 v10, 16, v10
	v_ashrrev_i32_e32 v0, 31, v10
	v_mul_lo_u32 v2, s28, v0
	v_mul_lo_u32 v3, s29, v10
	v_mad_u64_u32 v[0:1], s[6:7], s28, v10, 0
	v_add3_u32 v1, v1, v2, v3
	v_cmp_le_i32_e32 vcc, v10, v4
	v_lshl_add_u64 v[8:9], v[0:1], 4, s[8:9]
	s_and_b64 s[6:7], vcc, s[2:3]
	s_and_saveexec_b64 s[2:3], s[6:7]
	s_cbranch_execz .LBB267_28
; %bb.25:
	v_mul_f64 v[0:1], s[42:43], v[20:21]
	v_mul_f64 v[2:3], s[40:41], v[20:21]
	v_fma_f64 v[0:1], s[40:41], v[18:19], -v[0:1]
	v_fmac_f64_e32 v[2:3], s[42:43], v[18:19]
	s_and_b64 vcc, exec, s[0:1]
	v_lshl_add_u64 v[4:5], v[4:5], 4, v[8:9]
	s_cbranch_vccnz .LBB267_27
; %bb.26:
	global_load_dwordx4 v[18:21], v[4:5], off
	s_waitcnt vmcnt(0)
	v_mul_f64 v[12:13], s[38:39], v[20:21]
	v_mul_f64 v[20:21], s[36:37], v[20:21]
	v_fma_f64 v[12:13], s[36:37], v[18:19], -v[12:13]
	v_fmac_f64_e32 v[20:21], s[38:39], v[18:19]
	v_add_f64 v[0:1], v[0:1], v[12:13]
	v_add_f64 v[2:3], v[2:3], v[20:21]
.LBB267_27:
	global_store_dwordx4 v[4:5], v[0:3], off
.LBB267_28:
	s_or_b64 exec, exec, s[2:3]
	v_cmp_le_i32_e32 vcc, v10, v6
	s_and_b64 s[2:3], vcc, s[4:5]
	s_and_saveexec_b64 s[4:5], s[2:3]
	s_cbranch_execz .LBB267_32
; %bb.29:
	v_mul_f64 v[0:1], s[42:43], v[14:15]
	v_mul_f64 v[2:3], s[40:41], v[14:15]
	v_fma_f64 v[0:1], s[40:41], v[16:17], -v[0:1]
	v_fmac_f64_e32 v[2:3], s[42:43], v[16:17]
	s_and_b64 vcc, exec, s[0:1]
	v_lshl_add_u64 v[4:5], v[6:7], 4, v[8:9]
	s_cbranch_vccnz .LBB267_31
; %bb.30:
	global_load_dwordx4 v[6:9], v[4:5], off
	s_waitcnt vmcnt(0)
	v_mul_f64 v[10:11], s[38:39], v[8:9]
	v_mul_f64 v[8:9], s[36:37], v[8:9]
	v_fma_f64 v[10:11], s[36:37], v[6:7], -v[10:11]
	v_fmac_f64_e32 v[8:9], s[38:39], v[6:7]
	v_add_f64 v[0:1], v[0:1], v[10:11]
	v_add_f64 v[2:3], v[2:3], v[8:9]
.LBB267_31:
	global_store_dwordx4 v[4:5], v[0:3], off
.LBB267_32:
	s_endpgm
	.section	.rodata,"a",@progbits
	.p2align	6, 0x0
	.amdhsa_kernel _ZL29rocblas_internal_gemmt_kernelIlLi16ELi32ELi8ELc67ELc78ELc76ELb1ELb0E19rocblas_complex_numIdEPKS1_S3_PS1_EviT_T9_T10_S5_lS7_S5_lS6_T11_S5_li
		.amdhsa_group_segment_fixed_size 8192
		.amdhsa_private_segment_fixed_size 0
		.amdhsa_kernarg_size 108
		.amdhsa_user_sgpr_count 2
		.amdhsa_user_sgpr_dispatch_ptr 0
		.amdhsa_user_sgpr_queue_ptr 0
		.amdhsa_user_sgpr_kernarg_segment_ptr 1
		.amdhsa_user_sgpr_dispatch_id 0
		.amdhsa_user_sgpr_kernarg_preload_length 0
		.amdhsa_user_sgpr_kernarg_preload_offset 0
		.amdhsa_user_sgpr_private_segment_size 0
		.amdhsa_uses_dynamic_stack 0
		.amdhsa_enable_private_segment 0
		.amdhsa_system_sgpr_workgroup_id_x 1
		.amdhsa_system_sgpr_workgroup_id_y 1
		.amdhsa_system_sgpr_workgroup_id_z 1
		.amdhsa_system_sgpr_workgroup_info 0
		.amdhsa_system_vgpr_workitem_id 1
		.amdhsa_next_free_vgpr 64
		.amdhsa_next_free_sgpr 44
		.amdhsa_accum_offset 64
		.amdhsa_reserve_vcc 1
		.amdhsa_float_round_mode_32 0
		.amdhsa_float_round_mode_16_64 0
		.amdhsa_float_denorm_mode_32 3
		.amdhsa_float_denorm_mode_16_64 3
		.amdhsa_dx10_clamp 1
		.amdhsa_ieee_mode 1
		.amdhsa_fp16_overflow 0
		.amdhsa_tg_split 0
		.amdhsa_exception_fp_ieee_invalid_op 0
		.amdhsa_exception_fp_denorm_src 0
		.amdhsa_exception_fp_ieee_div_zero 0
		.amdhsa_exception_fp_ieee_overflow 0
		.amdhsa_exception_fp_ieee_underflow 0
		.amdhsa_exception_fp_ieee_inexact 0
		.amdhsa_exception_int_div_zero 0
	.end_amdhsa_kernel
	.section	.text._ZL29rocblas_internal_gemmt_kernelIlLi16ELi32ELi8ELc67ELc78ELc76ELb1ELb0E19rocblas_complex_numIdEPKS1_S3_PS1_EviT_T9_T10_S5_lS7_S5_lS6_T11_S5_li,"axG",@progbits,_ZL29rocblas_internal_gemmt_kernelIlLi16ELi32ELi8ELc67ELc78ELc76ELb1ELb0E19rocblas_complex_numIdEPKS1_S3_PS1_EviT_T9_T10_S5_lS7_S5_lS6_T11_S5_li,comdat
.Lfunc_end267:
	.size	_ZL29rocblas_internal_gemmt_kernelIlLi16ELi32ELi8ELc67ELc78ELc76ELb1ELb0E19rocblas_complex_numIdEPKS1_S3_PS1_EviT_T9_T10_S5_lS7_S5_lS6_T11_S5_li, .Lfunc_end267-_ZL29rocblas_internal_gemmt_kernelIlLi16ELi32ELi8ELc67ELc78ELc76ELb1ELb0E19rocblas_complex_numIdEPKS1_S3_PS1_EviT_T9_T10_S5_lS7_S5_lS6_T11_S5_li
                                        ; -- End function
	.set _ZL29rocblas_internal_gemmt_kernelIlLi16ELi32ELi8ELc67ELc78ELc76ELb1ELb0E19rocblas_complex_numIdEPKS1_S3_PS1_EviT_T9_T10_S5_lS7_S5_lS6_T11_S5_li.num_vgpr, 64
	.set _ZL29rocblas_internal_gemmt_kernelIlLi16ELi32ELi8ELc67ELc78ELc76ELb1ELb0E19rocblas_complex_numIdEPKS1_S3_PS1_EviT_T9_T10_S5_lS7_S5_lS6_T11_S5_li.num_agpr, 0
	.set _ZL29rocblas_internal_gemmt_kernelIlLi16ELi32ELi8ELc67ELc78ELc76ELb1ELb0E19rocblas_complex_numIdEPKS1_S3_PS1_EviT_T9_T10_S5_lS7_S5_lS6_T11_S5_li.numbered_sgpr, 44
	.set _ZL29rocblas_internal_gemmt_kernelIlLi16ELi32ELi8ELc67ELc78ELc76ELb1ELb0E19rocblas_complex_numIdEPKS1_S3_PS1_EviT_T9_T10_S5_lS7_S5_lS6_T11_S5_li.num_named_barrier, 0
	.set _ZL29rocblas_internal_gemmt_kernelIlLi16ELi32ELi8ELc67ELc78ELc76ELb1ELb0E19rocblas_complex_numIdEPKS1_S3_PS1_EviT_T9_T10_S5_lS7_S5_lS6_T11_S5_li.private_seg_size, 0
	.set _ZL29rocblas_internal_gemmt_kernelIlLi16ELi32ELi8ELc67ELc78ELc76ELb1ELb0E19rocblas_complex_numIdEPKS1_S3_PS1_EviT_T9_T10_S5_lS7_S5_lS6_T11_S5_li.uses_vcc, 1
	.set _ZL29rocblas_internal_gemmt_kernelIlLi16ELi32ELi8ELc67ELc78ELc76ELb1ELb0E19rocblas_complex_numIdEPKS1_S3_PS1_EviT_T9_T10_S5_lS7_S5_lS6_T11_S5_li.uses_flat_scratch, 0
	.set _ZL29rocblas_internal_gemmt_kernelIlLi16ELi32ELi8ELc67ELc78ELc76ELb1ELb0E19rocblas_complex_numIdEPKS1_S3_PS1_EviT_T9_T10_S5_lS7_S5_lS6_T11_S5_li.has_dyn_sized_stack, 0
	.set _ZL29rocblas_internal_gemmt_kernelIlLi16ELi32ELi8ELc67ELc78ELc76ELb1ELb0E19rocblas_complex_numIdEPKS1_S3_PS1_EviT_T9_T10_S5_lS7_S5_lS6_T11_S5_li.has_recursion, 0
	.set _ZL29rocblas_internal_gemmt_kernelIlLi16ELi32ELi8ELc67ELc78ELc76ELb1ELb0E19rocblas_complex_numIdEPKS1_S3_PS1_EviT_T9_T10_S5_lS7_S5_lS6_T11_S5_li.has_indirect_call, 0
	.section	.AMDGPU.csdata,"",@progbits
; Kernel info:
; codeLenInByte = 3160
; TotalNumSgprs: 50
; NumVgprs: 64
; NumAgprs: 0
; TotalNumVgprs: 64
; ScratchSize: 0
; MemoryBound: 1
; FloatMode: 240
; IeeeMode: 1
; LDSByteSize: 8192 bytes/workgroup (compile time only)
; SGPRBlocks: 6
; VGPRBlocks: 7
; NumSGPRsForWavesPerEU: 50
; NumVGPRsForWavesPerEU: 64
; AccumOffset: 64
; Occupancy: 8
; WaveLimiterHint : 0
; COMPUTE_PGM_RSRC2:SCRATCH_EN: 0
; COMPUTE_PGM_RSRC2:USER_SGPR: 2
; COMPUTE_PGM_RSRC2:TRAP_HANDLER: 0
; COMPUTE_PGM_RSRC2:TGID_X_EN: 1
; COMPUTE_PGM_RSRC2:TGID_Y_EN: 1
; COMPUTE_PGM_RSRC2:TGID_Z_EN: 1
; COMPUTE_PGM_RSRC2:TIDIG_COMP_CNT: 1
; COMPUTE_PGM_RSRC3_GFX90A:ACCUM_OFFSET: 15
; COMPUTE_PGM_RSRC3_GFX90A:TG_SPLIT: 0
	.section	.text._ZL29rocblas_internal_gemmt_kernelIlLi16ELi32ELi8ELc67ELc84ELc76ELb1ELb0E19rocblas_complex_numIdEPKS1_S3_PS1_EviT_T9_T10_S5_lS7_S5_lS6_T11_S5_li,"axG",@progbits,_ZL29rocblas_internal_gemmt_kernelIlLi16ELi32ELi8ELc67ELc84ELc76ELb1ELb0E19rocblas_complex_numIdEPKS1_S3_PS1_EviT_T9_T10_S5_lS7_S5_lS6_T11_S5_li,comdat
	.globl	_ZL29rocblas_internal_gemmt_kernelIlLi16ELi32ELi8ELc67ELc84ELc76ELb1ELb0E19rocblas_complex_numIdEPKS1_S3_PS1_EviT_T9_T10_S5_lS7_S5_lS6_T11_S5_li ; -- Begin function _ZL29rocblas_internal_gemmt_kernelIlLi16ELi32ELi8ELc67ELc84ELc76ELb1ELb0E19rocblas_complex_numIdEPKS1_S3_PS1_EviT_T9_T10_S5_lS7_S5_lS6_T11_S5_li
	.p2align	8
	.type	_ZL29rocblas_internal_gemmt_kernelIlLi16ELi32ELi8ELc67ELc84ELc76ELb1ELb0E19rocblas_complex_numIdEPKS1_S3_PS1_EviT_T9_T10_S5_lS7_S5_lS6_T11_S5_li,@function
_ZL29rocblas_internal_gemmt_kernelIlLi16ELi32ELi8ELc67ELc84ELc76ELb1ELb0E19rocblas_complex_numIdEPKS1_S3_PS1_EviT_T9_T10_S5_lS7_S5_lS6_T11_S5_li: ; @_ZL29rocblas_internal_gemmt_kernelIlLi16ELi32ELi8ELc67ELc84ELc76ELb1ELb0E19rocblas_complex_numIdEPKS1_S3_PS1_EviT_T9_T10_S5_lS7_S5_lS6_T11_S5_li
; %bb.0:
	s_load_dwordx8 s[24:31], s[0:1], 0x48
	s_load_dwordx16 s[8:23], s[0:1], 0x8
	s_waitcnt lgkmcnt(0)
	s_load_dwordx4 s[36:39], s[24:25], 0x0
	s_load_dwordx4 s[40:43], s[10:11], 0x0
	s_mov_b64 s[24:25], 0
	s_waitcnt lgkmcnt(0)
	v_cmp_eq_f64_e64 s[10:11], s[36:37], 1.0
	v_cmp_eq_f64_e64 s[6:7], s[38:39], 0
	s_and_b64 s[10:11], s[10:11], s[6:7]
	s_andn2_b64 vcc, exec, s[10:11]
	s_mov_b64 s[10:11], -1
	s_cbranch_vccnz .LBB268_4
; %bb.1:
	s_cmp_lg_u64 s[8:9], 0
	s_cbranch_scc0 .LBB268_3
; %bb.2:
	v_cmp_neq_f64_e64 s[10:11], s[40:41], 0
	v_cmp_neq_f64_e64 s[24:25], s[42:43], 0
	s_or_b64 s[24:25], s[10:11], s[24:25]
.LBB268_3:
	s_mov_b64 s[10:11], s[24:25]
.LBB268_4:
	s_and_b64 vcc, exec, s[10:11]
	s_cbranch_vccz .LBB268_32
; %bb.5:
	s_load_dword s24, s[0:1], 0x0
	s_lshl_b32 s5, s2, 5
	s_lshl_b32 s25, s3, 5
	v_cmp_eq_f64_e64 s[0:1], s[40:41], 0
	v_cmp_eq_f64_e64 s[2:3], s[42:43], 0
	s_and_b64 s[0:1], s[0:1], s[2:3]
	v_cmp_lt_i64_e64 s[2:3], s[8:9], 1
	s_or_b64 s[0:1], s[0:1], s[2:3]
	v_and_b32_e32 v5, 0x3ff, v0
	v_bfe_u32 v7, v0, 10, 10
	v_mov_b64_e32 v[26:27], 0
	s_and_b64 vcc, exec, s[0:1]
	v_mov_b64_e32 v[28:29], 0
	v_mov_b64_e32 v[22:23], 0
	;; [unrolled: 1-line block ×7, first 2 shown]
	s_cbranch_vccnz .LBB268_16
; %bb.6:
	s_mul_i32 s0, s23, s4
	s_mul_hi_u32 s1, s22, s4
	s_add_i32 s1, s1, s0
	s_mul_i32 s0, s22, s4
	s_lshl_b64 s[0:1], s[0:1], 4
	s_add_u32 s2, s18, s0
	s_addc_u32 s3, s19, s1
	s_mul_i32 s0, s17, s4
	s_mul_hi_u32 s1, s16, s4
	v_lshl_add_u32 v1, v7, 4, v5
	s_add_i32 s1, s1, s0
	s_mul_i32 s0, s16, s4
	v_lshrrev_b32_e32 v6, 5, v1
	v_lshrrev_b32_e32 v10, 3, v1
	v_and_b32_e32 v1, 31, v1
	s_lshl_b64 s[0:1], s[0:1], 4
	v_or_b32_e32 v2, s5, v1
	s_add_u32 s10, s12, s0
	v_lshlrev_b32_e32 v1, 4, v1
	s_addc_u32 s11, s13, s1
	s_waitcnt lgkmcnt(0)
	v_cmp_gt_i32_e64 s[0:1], s24, v2
	v_lshl_or_b32 v30, v6, 9, v1
	s_ashr_i32 s16, s5, 31
	v_mul_lo_u32 v1, s15, v2
	v_mad_u64_u32 v[2:3], s[12:13], s14, v2, 0
	v_and_b32_e32 v4, 7, v5
	s_mul_i32 s12, s14, s16
	v_add3_u32 v3, v3, s12, v1
	v_lshlrev_b32_e32 v1, 4, v4
	v_add_u32_e32 v0, s25, v10
	v_lshl_or_b32 v1, v10, 7, v1
	v_add_u32_e32 v31, 0x1000, v1
	v_ashrrev_i32_e32 v1, 31, v0
	v_cmp_gt_i32_e32 vcc, s24, v0
	v_lshl_add_u64 v[10:11], v[0:1], 4, s[2:3]
	v_mov_b32_e32 v0, 0x1000
	v_mov_b32_e32 v13, 0
	v_lshl_add_u64 v[8:9], v[2:3], 4, s[10:11]
	v_lshlrev_b32_e32 v32, 4, v5
	v_lshl_add_u32 v33, v7, 7, v0
	v_mov_b64_e32 v[14:15], 0
	s_mov_b64 s[2:3], 0
	s_xor_b64 s[10:11], vcc, -1
	v_mov_b32_e32 v34, v13
	v_mov_b32_e32 v35, v13
	v_mov_b32_e32 v36, v13
	v_mov_b32_e32 v37, v13
	v_mov_b64_e32 v[16:17], 0
	v_mov_b64_e32 v[20:21], 0
	;; [unrolled: 1-line block ×7, first 2 shown]
	s_branch .LBB268_8
.LBB268_7:                              ;   in Loop: Header=BB268_8 Depth=1
	s_or_b64 exec, exec, s[12:13]
	s_waitcnt lgkmcnt(0)
	s_barrier
	ds_read_b128 v[0:3], v32
	ds_read_b128 v[38:41], v33
	ds_read_b128 v[42:45], v33 offset:16
	ds_read_b128 v[46:49], v33 offset:32
	;; [unrolled: 1-line block ×4, first 2 shown]
	s_waitcnt lgkmcnt(4)
	v_mul_f64 v[58:59], v[40:41], v[2:3]
	v_fma_f64 v[58:59], v[38:39], v[0:1], -v[58:59]
	v_mul_f64 v[60:61], v[38:39], v[2:3]
	v_fmac_f64_e32 v[60:61], v[40:41], v[0:1]
	v_add_f64 v[58:59], v[26:27], v[58:59]
	s_waitcnt lgkmcnt(0)
	v_mul_f64 v[26:27], v[40:41], v[56:57]
	v_add_f64 v[60:61], v[60:61], v[28:29]
	v_fma_f64 v[62:63], v[38:39], v[54:55], -v[26:27]
	ds_read_b128 v[26:29], v33 offset:2048
	v_mul_f64 v[38:39], v[38:39], v[56:57]
	v_fmac_f64_e32 v[38:39], v[40:41], v[54:55]
	v_add_f64 v[40:41], v[22:23], v[62:63]
	v_add_f64 v[38:39], v[38:39], v[24:25]
	ds_read_b128 v[22:25], v33 offset:2064
	s_waitcnt lgkmcnt(1)
	v_mul_f64 v[62:63], v[28:29], v[2:3]
	v_mul_f64 v[2:3], v[26:27], v[2:3]
	v_fma_f64 v[62:63], v[26:27], v[0:1], -v[62:63]
	v_fmac_f64_e32 v[2:3], v[28:29], v[0:1]
	v_mul_f64 v[0:1], v[28:29], v[56:57]
	v_add_f64 v[18:19], v[18:19], v[62:63]
	v_add_f64 v[20:21], v[2:3], v[20:21]
	v_fma_f64 v[62:63], v[26:27], v[54:55], -v[0:1]
	v_mul_f64 v[26:27], v[26:27], v[56:57]
	ds_read_b128 v[0:3], v32 offset:512
	v_fmac_f64_e32 v[26:27], v[28:29], v[54:55]
	v_add_f64 v[28:29], v[16:17], v[62:63]
	v_add_f64 v[26:27], v[26:27], v[14:15]
	ds_read_b128 v[14:17], v32 offset:768
	s_waitcnt lgkmcnt(1)
	v_mul_f64 v[54:55], v[44:45], v[2:3]
	v_fma_f64 v[54:55], v[42:43], v[0:1], -v[54:55]
	v_add_f64 v[54:55], v[58:59], v[54:55]
	v_mul_f64 v[56:57], v[42:43], v[2:3]
	s_waitcnt lgkmcnt(0)
	v_mul_f64 v[58:59], v[44:45], v[16:17]
	v_fma_f64 v[58:59], v[42:43], v[14:15], -v[58:59]
	v_mul_f64 v[42:43], v[42:43], v[16:17]
	v_fmac_f64_e32 v[42:43], v[44:45], v[14:15]
	v_add_f64 v[38:39], v[42:43], v[38:39]
	v_mul_f64 v[42:43], v[24:25], v[2:3]
	v_mul_f64 v[2:3], v[22:23], v[2:3]
	v_fmac_f64_e32 v[56:57], v[44:45], v[0:1]
	v_fma_f64 v[42:43], v[22:23], v[0:1], -v[42:43]
	v_fmac_f64_e32 v[2:3], v[24:25], v[0:1]
	v_mul_f64 v[0:1], v[24:25], v[16:17]
	v_add_f64 v[42:43], v[18:19], v[42:43]
	v_add_f64 v[44:45], v[2:3], v[20:21]
	v_fma_f64 v[18:19], v[22:23], v[14:15], -v[0:1]
	v_mul_f64 v[16:17], v[22:23], v[16:17]
	ds_read_b128 v[0:3], v32 offset:1024
	v_fmac_f64_e32 v[16:17], v[24:25], v[14:15]
	v_add_f64 v[26:27], v[16:17], v[26:27]
	ds_read_b128 v[14:17], v32 offset:1280
	v_add_f64 v[28:29], v[28:29], v[18:19]
	s_waitcnt lgkmcnt(1)
	v_mul_f64 v[18:19], v[48:49], v[2:3]
	v_fma_f64 v[18:19], v[46:47], v[0:1], -v[18:19]
	v_mul_f64 v[20:21], v[46:47], v[2:3]
	v_add_f64 v[56:57], v[56:57], v[60:61]
	v_fmac_f64_e32 v[20:21], v[48:49], v[0:1]
	v_add_f64 v[54:55], v[54:55], v[18:19]
	s_waitcnt lgkmcnt(0)
	v_mul_f64 v[18:19], v[48:49], v[16:17]
	v_add_f64 v[56:57], v[20:21], v[56:57]
	v_fma_f64 v[22:23], v[46:47], v[14:15], -v[18:19]
	ds_read_b128 v[18:21], v33 offset:2080
	v_mul_f64 v[24:25], v[46:47], v[16:17]
	v_add_f64 v[40:41], v[40:41], v[58:59]
	v_fmac_f64_e32 v[24:25], v[48:49], v[14:15]
	v_add_f64 v[40:41], v[40:41], v[22:23]
	v_add_f64 v[38:39], v[24:25], v[38:39]
	ds_read_b128 v[22:25], v33 offset:2096
	s_waitcnt lgkmcnt(1)
	v_mul_f64 v[46:47], v[20:21], v[2:3]
	v_mul_f64 v[2:3], v[18:19], v[2:3]
	v_fma_f64 v[46:47], v[18:19], v[0:1], -v[46:47]
	v_fmac_f64_e32 v[2:3], v[20:21], v[0:1]
	v_mul_f64 v[0:1], v[20:21], v[16:17]
	v_mul_f64 v[16:17], v[18:19], v[16:17]
	v_fmac_f64_e32 v[16:17], v[20:21], v[14:15]
	v_add_f64 v[42:43], v[42:43], v[46:47]
	v_add_f64 v[44:45], v[2:3], v[44:45]
	v_fma_f64 v[46:47], v[18:19], v[14:15], -v[0:1]
	ds_read_b128 v[0:3], v32 offset:1536
	v_add_f64 v[20:21], v[16:17], v[26:27]
	ds_read_b128 v[14:17], v32 offset:1792
	v_add_f64 v[18:19], v[28:29], v[46:47]
	s_add_u32 s2, s2, 8
	s_waitcnt lgkmcnt(1)
	v_mul_f64 v[26:27], v[52:53], v[2:3]
	v_mul_f64 v[28:29], v[50:51], v[2:3]
	s_waitcnt lgkmcnt(0)
	v_mul_f64 v[46:47], v[52:53], v[16:17]
	v_fma_f64 v[46:47], v[50:51], v[14:15], -v[46:47]
	v_add_f64 v[40:41], v[40:41], v[46:47]
	v_mul_f64 v[46:47], v[24:25], v[2:3]
	v_mul_f64 v[2:3], v[22:23], v[2:3]
	v_fma_f64 v[26:27], v[50:51], v[0:1], -v[26:27]
	v_fmac_f64_e32 v[28:29], v[52:53], v[0:1]
	v_fma_f64 v[46:47], v[22:23], v[0:1], -v[46:47]
	v_fmac_f64_e32 v[2:3], v[24:25], v[0:1]
	v_mul_f64 v[0:1], v[24:25], v[16:17]
	v_mul_f64 v[48:49], v[50:51], v[16:17]
	v_add_f64 v[42:43], v[42:43], v[46:47]
	v_fma_f64 v[46:47], v[22:23], v[14:15], -v[0:1]
	v_mul_f64 v[22:23], v[22:23], v[16:17]
	v_fmac_f64_e32 v[48:49], v[52:53], v[14:15]
	v_add_f64 v[44:45], v[2:3], v[44:45]
	v_fmac_f64_e32 v[22:23], v[24:25], v[14:15]
	ds_read_b128 v[0:3], v33 offset:64
	ds_read_b128 v[14:17], v32 offset:2048
	v_add_f64 v[38:39], v[48:49], v[38:39]
	v_add_f64 v[46:47], v[18:19], v[46:47]
	;; [unrolled: 1-line block ×3, first 2 shown]
	ds_read_b128 v[18:21], v32 offset:2304
	ds_read_b128 v[22:25], v33 offset:80
	s_waitcnt lgkmcnt(2)
	v_mul_f64 v[50:51], v[2:3], v[16:17]
	v_add_f64 v[26:27], v[54:55], v[26:27]
	v_fma_f64 v[50:51], v[0:1], v[14:15], -v[50:51]
	v_mul_f64 v[52:53], v[0:1], v[16:17]
	v_add_f64 v[28:29], v[28:29], v[56:57]
	v_fmac_f64_e32 v[52:53], v[2:3], v[14:15]
	v_add_f64 v[50:51], v[26:27], v[50:51]
	s_waitcnt lgkmcnt(1)
	v_mul_f64 v[26:27], v[2:3], v[20:21]
	v_add_f64 v[52:53], v[52:53], v[28:29]
	v_fma_f64 v[54:55], v[0:1], v[18:19], -v[26:27]
	ds_read_b128 v[26:29], v33 offset:2112
	v_mul_f64 v[0:1], v[0:1], v[20:21]
	v_fmac_f64_e32 v[0:1], v[2:3], v[18:19]
	v_add_f64 v[40:41], v[40:41], v[54:55]
	v_add_f64 v[38:39], v[0:1], v[38:39]
	ds_read_b128 v[0:3], v33 offset:2128
	s_waitcnt lgkmcnt(1)
	v_mul_f64 v[54:55], v[28:29], v[16:17]
	v_mul_f64 v[16:17], v[26:27], v[16:17]
	v_fma_f64 v[54:55], v[26:27], v[14:15], -v[54:55]
	v_fmac_f64_e32 v[16:17], v[28:29], v[14:15]
	v_mul_f64 v[14:15], v[28:29], v[20:21]
	v_add_f64 v[42:43], v[42:43], v[54:55]
	v_add_f64 v[44:45], v[16:17], v[44:45]
	v_fma_f64 v[54:55], v[26:27], v[18:19], -v[14:15]
	v_mul_f64 v[20:21], v[26:27], v[20:21]
	ds_read_b128 v[14:17], v32 offset:2560
	v_fmac_f64_e32 v[20:21], v[28:29], v[18:19]
	v_add_f64 v[28:29], v[20:21], v[48:49]
	ds_read_b128 v[18:21], v32 offset:2816
	v_add_f64 v[26:27], v[46:47], v[54:55]
	s_waitcnt lgkmcnt(1)
	v_mul_f64 v[46:47], v[24:25], v[16:17]
	v_fma_f64 v[46:47], v[22:23], v[14:15], -v[46:47]
	v_add_f64 v[46:47], v[50:51], v[46:47]
	s_waitcnt lgkmcnt(0)
	v_mul_f64 v[50:51], v[24:25], v[20:21]
	v_mul_f64 v[48:49], v[22:23], v[16:17]
	v_fma_f64 v[50:51], v[22:23], v[18:19], -v[50:51]
	v_mul_f64 v[22:23], v[22:23], v[20:21]
	v_fmac_f64_e32 v[22:23], v[24:25], v[18:19]
	v_add_f64 v[38:39], v[22:23], v[38:39]
	v_mul_f64 v[22:23], v[2:3], v[16:17]
	v_mul_f64 v[16:17], v[0:1], v[16:17]
	v_fmac_f64_e32 v[48:49], v[24:25], v[14:15]
	v_fma_f64 v[22:23], v[0:1], v[14:15], -v[22:23]
	v_fmac_f64_e32 v[16:17], v[2:3], v[14:15]
	v_mul_f64 v[14:15], v[2:3], v[20:21]
	v_mul_f64 v[20:21], v[0:1], v[20:21]
	v_add_f64 v[42:43], v[42:43], v[22:23]
	v_add_f64 v[44:45], v[16:17], v[44:45]
	v_fma_f64 v[22:23], v[0:1], v[18:19], -v[14:15]
	v_fmac_f64_e32 v[20:21], v[2:3], v[18:19]
	ds_read_b128 v[0:3], v33 offset:96
	ds_read_b128 v[14:17], v32 offset:3072
	v_add_f64 v[48:49], v[48:49], v[52:53]
	v_add_f64 v[40:41], v[40:41], v[50:51]
	v_add_f64 v[50:51], v[26:27], v[22:23]
	v_add_f64 v[52:53], v[20:21], v[28:29]
	ds_read_b128 v[18:21], v32 offset:3328
	ds_read_b128 v[22:25], v33 offset:112
	s_waitcnt lgkmcnt(2)
	v_mul_f64 v[26:27], v[2:3], v[16:17]
	v_fma_f64 v[26:27], v[0:1], v[14:15], -v[26:27]
	v_mul_f64 v[28:29], v[0:1], v[16:17]
	v_fmac_f64_e32 v[28:29], v[2:3], v[14:15]
	v_add_f64 v[46:47], v[46:47], v[26:27]
	s_waitcnt lgkmcnt(1)
	v_mul_f64 v[26:27], v[2:3], v[20:21]
	v_add_f64 v[48:49], v[28:29], v[48:49]
	v_fma_f64 v[54:55], v[0:1], v[18:19], -v[26:27]
	ds_read_b128 v[26:29], v33 offset:2144
	v_mul_f64 v[0:1], v[0:1], v[20:21]
	v_fmac_f64_e32 v[0:1], v[2:3], v[18:19]
	v_add_f64 v[56:57], v[0:1], v[38:39]
	ds_read_b128 v[0:3], v33 offset:2160
	s_waitcnt lgkmcnt(1)
	v_mul_f64 v[38:39], v[28:29], v[16:17]
	v_mul_f64 v[16:17], v[26:27], v[16:17]
	v_fma_f64 v[38:39], v[26:27], v[14:15], -v[38:39]
	v_fmac_f64_e32 v[16:17], v[28:29], v[14:15]
	v_mul_f64 v[14:15], v[28:29], v[20:21]
	v_add_f64 v[42:43], v[42:43], v[38:39]
	v_add_f64 v[44:45], v[16:17], v[44:45]
	v_fma_f64 v[38:39], v[26:27], v[18:19], -v[14:15]
	ds_read_b128 v[14:17], v32 offset:3584
	v_add_f64 v[54:55], v[40:41], v[54:55]
	v_add_f64 v[50:51], v[50:51], v[38:39]
	ds_read_b128 v[38:41], v32 offset:3840
	v_mul_f64 v[20:21], v[26:27], v[20:21]
	v_fmac_f64_e32 v[20:21], v[28:29], v[18:19]
	s_waitcnt lgkmcnt(1)
	v_mul_f64 v[18:19], v[24:25], v[16:17]
	v_fma_f64 v[18:19], v[22:23], v[14:15], -v[18:19]
	v_add_f64 v[52:53], v[20:21], v[52:53]
	v_mul_f64 v[20:21], v[22:23], v[16:17]
	v_add_f64 v[26:27], v[46:47], v[18:19]
	s_waitcnt lgkmcnt(0)
	v_mul_f64 v[18:19], v[24:25], v[40:41]
	v_fmac_f64_e32 v[20:21], v[24:25], v[14:15]
	v_fma_f64 v[18:19], v[22:23], v[38:39], -v[18:19]
	v_add_f64 v[28:29], v[20:21], v[48:49]
	v_mul_f64 v[20:21], v[22:23], v[40:41]
	v_add_f64 v[22:23], v[54:55], v[18:19]
	v_mul_f64 v[18:19], v[2:3], v[16:17]
	v_mul_f64 v[16:17], v[0:1], v[16:17]
	v_fma_f64 v[18:19], v[0:1], v[14:15], -v[18:19]
	v_fmac_f64_e32 v[16:17], v[2:3], v[14:15]
	v_mul_f64 v[14:15], v[2:3], v[40:41]
	v_fma_f64 v[14:15], v[0:1], v[38:39], -v[14:15]
	v_mul_f64 v[0:1], v[0:1], v[40:41]
	v_fmac_f64_e32 v[20:21], v[24:25], v[38:39]
	v_fmac_f64_e32 v[0:1], v[2:3], v[38:39]
	s_addc_u32 s3, s3, 0
	v_add_f64 v[24:25], v[20:21], v[56:57]
	v_add_f64 v[20:21], v[16:17], v[44:45]
	;; [unrolled: 1-line block ×4, first 2 shown]
	v_mov_b64_e32 v[0:1], s[2:3]
	v_cmp_gt_i64_e32 vcc, s[8:9], v[0:1]
	v_add_f64 v[18:19], v[42:43], v[18:19]
	s_barrier
	s_cbranch_vccz .LBB268_16
.LBB268_8:                              ; =>This Inner Loop Header: Depth=1
	v_mov_b64_e32 v[0:1], 0
	v_mov_b64_e32 v[2:3], 0
	s_and_saveexec_b64 s[12:13], s[0:1]
	s_cbranch_execz .LBB268_12
; %bb.9:                                ;   in Loop: Header=BB268_8 Depth=1
	v_add_u32_e32 v12, s2, v6
	v_cmp_gt_u64_e32 vcc, s[8:9], v[12:13]
	v_mov_b64_e32 v[2:3], 0
	v_mov_b64_e32 v[0:1], 0
	s_and_saveexec_b64 s[14:15], vcc
	s_cbranch_execz .LBB268_11
; %bb.10:                               ;   in Loop: Header=BB268_8 Depth=1
	v_lshl_add_u64 v[0:1], v[12:13], 4, v[8:9]
	global_load_dwordx4 v[0:3], v[0:1], off
	s_waitcnt vmcnt(0)
	v_xor_b32_e32 v3, 0x80000000, v3
.LBB268_11:                             ;   in Loop: Header=BB268_8 Depth=1
	s_or_b64 exec, exec, s[14:15]
.LBB268_12:                             ;   in Loop: Header=BB268_8 Depth=1
	s_or_b64 exec, exec, s[12:13]
	v_add_u32_e32 v12, s2, v4
	v_cmp_le_u64_e32 vcc, s[8:9], v[12:13]
	s_or_b64 s[12:13], vcc, s[10:11]
	ds_write_b128 v30, v[0:3]
	s_and_saveexec_b64 s[14:15], s[12:13]
	s_xor_b64 s[12:13], exec, s[14:15]
; %bb.13:                               ;   in Loop: Header=BB268_8 Depth=1
	ds_write_b128 v31, v[34:37]
; %bb.14:                               ;   in Loop: Header=BB268_8 Depth=1
	s_andn2_saveexec_b64 s[12:13], s[12:13]
	s_cbranch_execz .LBB268_7
; %bb.15:                               ;   in Loop: Header=BB268_8 Depth=1
	v_mad_u64_u32 v[0:1], s[14:15], s20, v12, 0
	v_mov_b32_e32 v2, v1
	v_mad_u64_u32 v[2:3], s[14:15], s21, v12, v[2:3]
	v_mov_b32_e32 v1, v2
	v_lshl_add_u64 v[0:1], v[0:1], 4, v[10:11]
	global_load_dwordx4 v[0:3], v[0:1], off
	s_waitcnt vmcnt(0)
	ds_write2_b64 v31, v[0:1], v[2:3] offset1:1
	s_branch .LBB268_7
.LBB268_16:
	s_mul_i32 s0, s31, s4
	s_mul_hi_u32 s1, s30, s4
	s_add_i32 s1, s1, s0
	s_mul_i32 s0, s30, s4
	s_lshl_b64 s[0:1], s[0:1], 4
	v_add_u32_e32 v10, s25, v7
	s_add_u32 s8, s26, s0
	v_ashrrev_i32_e32 v0, 31, v10
	s_addc_u32 s9, s27, s1
	v_add_u32_e32 v4, s5, v5
	v_cmp_neq_f64_e64 s[0:1], s[36:37], 0
	s_xor_b64 s[4:5], s[6:7], -1
	v_mul_lo_u32 v2, s28, v0
	v_mul_lo_u32 v3, s29, v10
	v_mad_u64_u32 v[0:1], s[2:3], s28, v10, 0
	v_add3_u32 v1, v1, v2, v3
	s_or_b64 s[0:1], s[0:1], s[4:5]
	v_lshl_add_u64 v[8:9], v[0:1], 4, s[8:9]
	v_cmp_le_i32_e32 vcc, v10, v4
	s_waitcnt lgkmcnt(0)
	v_cmp_gt_i32_e64 s[2:3], s24, v4
	v_cndmask_b32_e64 v0, 0, 1, s[0:1]
	s_and_b64 s[6:7], vcc, s[2:3]
	v_ashrrev_i32_e32 v5, 31, v4
	v_cmp_ne_u32_e64 s[0:1], 1, v0
	s_and_saveexec_b64 s[4:5], s[6:7]
	s_cbranch_execz .LBB268_20
; %bb.17:
	v_mul_f64 v[0:1], s[42:43], v[28:29]
	v_mul_f64 v[2:3], s[40:41], v[28:29]
	v_fma_f64 v[0:1], s[40:41], v[26:27], -v[0:1]
	v_fmac_f64_e32 v[2:3], s[42:43], v[26:27]
	s_and_b64 vcc, exec, s[0:1]
	v_lshl_add_u64 v[6:7], v[4:5], 4, v[8:9]
	s_cbranch_vccnz .LBB268_19
; %bb.18:
	global_load_dwordx4 v[26:29], v[6:7], off
	s_waitcnt vmcnt(0)
	v_mul_f64 v[12:13], s[38:39], v[28:29]
	v_mul_f64 v[28:29], s[36:37], v[28:29]
	v_fma_f64 v[12:13], s[36:37], v[26:27], -v[12:13]
	v_fmac_f64_e32 v[28:29], s[38:39], v[26:27]
	v_add_f64 v[0:1], v[0:1], v[12:13]
	v_add_f64 v[2:3], v[2:3], v[28:29]
.LBB268_19:
	global_store_dwordx4 v[6:7], v[0:3], off
.LBB268_20:
	s_or_b64 exec, exec, s[4:5]
	v_add_u32_e32 v6, 16, v4
	v_cmp_le_i32_e32 vcc, v10, v6
	v_cmp_gt_i32_e64 s[4:5], s24, v6
	s_and_b64 s[10:11], vcc, s[4:5]
	v_ashrrev_i32_e32 v7, 31, v6
	s_and_saveexec_b64 s[6:7], s[10:11]
	s_cbranch_execz .LBB268_24
; %bb.21:
	v_mul_f64 v[0:1], s[42:43], v[24:25]
	v_mul_f64 v[2:3], s[40:41], v[24:25]
	v_fma_f64 v[0:1], s[40:41], v[22:23], -v[0:1]
	v_fmac_f64_e32 v[2:3], s[42:43], v[22:23]
	s_and_b64 vcc, exec, s[0:1]
	v_lshl_add_u64 v[8:9], v[6:7], 4, v[8:9]
	s_cbranch_vccnz .LBB268_23
; %bb.22:
	global_load_dwordx4 v[22:25], v[8:9], off
	s_waitcnt vmcnt(0)
	v_mul_f64 v[12:13], s[38:39], v[24:25]
	v_mul_f64 v[24:25], s[36:37], v[24:25]
	v_fma_f64 v[12:13], s[36:37], v[22:23], -v[12:13]
	v_fmac_f64_e32 v[24:25], s[38:39], v[22:23]
	v_add_f64 v[0:1], v[0:1], v[12:13]
	v_add_f64 v[2:3], v[2:3], v[24:25]
.LBB268_23:
	global_store_dwordx4 v[8:9], v[0:3], off
.LBB268_24:
	s_or_b64 exec, exec, s[6:7]
	v_add_u32_e32 v10, 16, v10
	v_ashrrev_i32_e32 v0, 31, v10
	v_mul_lo_u32 v2, s28, v0
	v_mul_lo_u32 v3, s29, v10
	v_mad_u64_u32 v[0:1], s[6:7], s28, v10, 0
	v_add3_u32 v1, v1, v2, v3
	v_cmp_le_i32_e32 vcc, v10, v4
	v_lshl_add_u64 v[8:9], v[0:1], 4, s[8:9]
	s_and_b64 s[6:7], vcc, s[2:3]
	s_and_saveexec_b64 s[2:3], s[6:7]
	s_cbranch_execz .LBB268_28
; %bb.25:
	v_mul_f64 v[0:1], s[42:43], v[20:21]
	v_mul_f64 v[2:3], s[40:41], v[20:21]
	v_fma_f64 v[0:1], s[40:41], v[18:19], -v[0:1]
	v_fmac_f64_e32 v[2:3], s[42:43], v[18:19]
	s_and_b64 vcc, exec, s[0:1]
	v_lshl_add_u64 v[4:5], v[4:5], 4, v[8:9]
	s_cbranch_vccnz .LBB268_27
; %bb.26:
	global_load_dwordx4 v[18:21], v[4:5], off
	s_waitcnt vmcnt(0)
	v_mul_f64 v[12:13], s[38:39], v[20:21]
	v_mul_f64 v[20:21], s[36:37], v[20:21]
	v_fma_f64 v[12:13], s[36:37], v[18:19], -v[12:13]
	v_fmac_f64_e32 v[20:21], s[38:39], v[18:19]
	v_add_f64 v[0:1], v[0:1], v[12:13]
	v_add_f64 v[2:3], v[2:3], v[20:21]
.LBB268_27:
	global_store_dwordx4 v[4:5], v[0:3], off
.LBB268_28:
	s_or_b64 exec, exec, s[2:3]
	v_cmp_le_i32_e32 vcc, v10, v6
	s_and_b64 s[2:3], vcc, s[4:5]
	s_and_saveexec_b64 s[4:5], s[2:3]
	s_cbranch_execz .LBB268_32
; %bb.29:
	v_mul_f64 v[0:1], s[42:43], v[14:15]
	v_mul_f64 v[2:3], s[40:41], v[14:15]
	v_fma_f64 v[0:1], s[40:41], v[16:17], -v[0:1]
	v_fmac_f64_e32 v[2:3], s[42:43], v[16:17]
	s_and_b64 vcc, exec, s[0:1]
	v_lshl_add_u64 v[4:5], v[6:7], 4, v[8:9]
	s_cbranch_vccnz .LBB268_31
; %bb.30:
	global_load_dwordx4 v[6:9], v[4:5], off
	s_waitcnt vmcnt(0)
	v_mul_f64 v[10:11], s[38:39], v[8:9]
	v_mul_f64 v[8:9], s[36:37], v[8:9]
	v_fma_f64 v[10:11], s[36:37], v[6:7], -v[10:11]
	v_fmac_f64_e32 v[8:9], s[38:39], v[6:7]
	v_add_f64 v[0:1], v[0:1], v[10:11]
	v_add_f64 v[2:3], v[2:3], v[8:9]
.LBB268_31:
	global_store_dwordx4 v[4:5], v[0:3], off
.LBB268_32:
	s_endpgm
	.section	.rodata,"a",@progbits
	.p2align	6, 0x0
	.amdhsa_kernel _ZL29rocblas_internal_gemmt_kernelIlLi16ELi32ELi8ELc67ELc84ELc76ELb1ELb0E19rocblas_complex_numIdEPKS1_S3_PS1_EviT_T9_T10_S5_lS7_S5_lS6_T11_S5_li
		.amdhsa_group_segment_fixed_size 8192
		.amdhsa_private_segment_fixed_size 0
		.amdhsa_kernarg_size 108
		.amdhsa_user_sgpr_count 2
		.amdhsa_user_sgpr_dispatch_ptr 0
		.amdhsa_user_sgpr_queue_ptr 0
		.amdhsa_user_sgpr_kernarg_segment_ptr 1
		.amdhsa_user_sgpr_dispatch_id 0
		.amdhsa_user_sgpr_kernarg_preload_length 0
		.amdhsa_user_sgpr_kernarg_preload_offset 0
		.amdhsa_user_sgpr_private_segment_size 0
		.amdhsa_uses_dynamic_stack 0
		.amdhsa_enable_private_segment 0
		.amdhsa_system_sgpr_workgroup_id_x 1
		.amdhsa_system_sgpr_workgroup_id_y 1
		.amdhsa_system_sgpr_workgroup_id_z 1
		.amdhsa_system_sgpr_workgroup_info 0
		.amdhsa_system_vgpr_workitem_id 1
		.amdhsa_next_free_vgpr 64
		.amdhsa_next_free_sgpr 44
		.amdhsa_accum_offset 64
		.amdhsa_reserve_vcc 1
		.amdhsa_float_round_mode_32 0
		.amdhsa_float_round_mode_16_64 0
		.amdhsa_float_denorm_mode_32 3
		.amdhsa_float_denorm_mode_16_64 3
		.amdhsa_dx10_clamp 1
		.amdhsa_ieee_mode 1
		.amdhsa_fp16_overflow 0
		.amdhsa_tg_split 0
		.amdhsa_exception_fp_ieee_invalid_op 0
		.amdhsa_exception_fp_denorm_src 0
		.amdhsa_exception_fp_ieee_div_zero 0
		.amdhsa_exception_fp_ieee_overflow 0
		.amdhsa_exception_fp_ieee_underflow 0
		.amdhsa_exception_fp_ieee_inexact 0
		.amdhsa_exception_int_div_zero 0
	.end_amdhsa_kernel
	.section	.text._ZL29rocblas_internal_gemmt_kernelIlLi16ELi32ELi8ELc67ELc84ELc76ELb1ELb0E19rocblas_complex_numIdEPKS1_S3_PS1_EviT_T9_T10_S5_lS7_S5_lS6_T11_S5_li,"axG",@progbits,_ZL29rocblas_internal_gemmt_kernelIlLi16ELi32ELi8ELc67ELc84ELc76ELb1ELb0E19rocblas_complex_numIdEPKS1_S3_PS1_EviT_T9_T10_S5_lS7_S5_lS6_T11_S5_li,comdat
.Lfunc_end268:
	.size	_ZL29rocblas_internal_gemmt_kernelIlLi16ELi32ELi8ELc67ELc84ELc76ELb1ELb0E19rocblas_complex_numIdEPKS1_S3_PS1_EviT_T9_T10_S5_lS7_S5_lS6_T11_S5_li, .Lfunc_end268-_ZL29rocblas_internal_gemmt_kernelIlLi16ELi32ELi8ELc67ELc84ELc76ELb1ELb0E19rocblas_complex_numIdEPKS1_S3_PS1_EviT_T9_T10_S5_lS7_S5_lS6_T11_S5_li
                                        ; -- End function
	.set _ZL29rocblas_internal_gemmt_kernelIlLi16ELi32ELi8ELc67ELc84ELc76ELb1ELb0E19rocblas_complex_numIdEPKS1_S3_PS1_EviT_T9_T10_S5_lS7_S5_lS6_T11_S5_li.num_vgpr, 64
	.set _ZL29rocblas_internal_gemmt_kernelIlLi16ELi32ELi8ELc67ELc84ELc76ELb1ELb0E19rocblas_complex_numIdEPKS1_S3_PS1_EviT_T9_T10_S5_lS7_S5_lS6_T11_S5_li.num_agpr, 0
	.set _ZL29rocblas_internal_gemmt_kernelIlLi16ELi32ELi8ELc67ELc84ELc76ELb1ELb0E19rocblas_complex_numIdEPKS1_S3_PS1_EviT_T9_T10_S5_lS7_S5_lS6_T11_S5_li.numbered_sgpr, 44
	.set _ZL29rocblas_internal_gemmt_kernelIlLi16ELi32ELi8ELc67ELc84ELc76ELb1ELb0E19rocblas_complex_numIdEPKS1_S3_PS1_EviT_T9_T10_S5_lS7_S5_lS6_T11_S5_li.num_named_barrier, 0
	.set _ZL29rocblas_internal_gemmt_kernelIlLi16ELi32ELi8ELc67ELc84ELc76ELb1ELb0E19rocblas_complex_numIdEPKS1_S3_PS1_EviT_T9_T10_S5_lS7_S5_lS6_T11_S5_li.private_seg_size, 0
	.set _ZL29rocblas_internal_gemmt_kernelIlLi16ELi32ELi8ELc67ELc84ELc76ELb1ELb0E19rocblas_complex_numIdEPKS1_S3_PS1_EviT_T9_T10_S5_lS7_S5_lS6_T11_S5_li.uses_vcc, 1
	.set _ZL29rocblas_internal_gemmt_kernelIlLi16ELi32ELi8ELc67ELc84ELc76ELb1ELb0E19rocblas_complex_numIdEPKS1_S3_PS1_EviT_T9_T10_S5_lS7_S5_lS6_T11_S5_li.uses_flat_scratch, 0
	.set _ZL29rocblas_internal_gemmt_kernelIlLi16ELi32ELi8ELc67ELc84ELc76ELb1ELb0E19rocblas_complex_numIdEPKS1_S3_PS1_EviT_T9_T10_S5_lS7_S5_lS6_T11_S5_li.has_dyn_sized_stack, 0
	.set _ZL29rocblas_internal_gemmt_kernelIlLi16ELi32ELi8ELc67ELc84ELc76ELb1ELb0E19rocblas_complex_numIdEPKS1_S3_PS1_EviT_T9_T10_S5_lS7_S5_lS6_T11_S5_li.has_recursion, 0
	.set _ZL29rocblas_internal_gemmt_kernelIlLi16ELi32ELi8ELc67ELc84ELc76ELb1ELb0E19rocblas_complex_numIdEPKS1_S3_PS1_EviT_T9_T10_S5_lS7_S5_lS6_T11_S5_li.has_indirect_call, 0
	.section	.AMDGPU.csdata,"",@progbits
; Kernel info:
; codeLenInByte = 3152
; TotalNumSgprs: 50
; NumVgprs: 64
; NumAgprs: 0
; TotalNumVgprs: 64
; ScratchSize: 0
; MemoryBound: 1
; FloatMode: 240
; IeeeMode: 1
; LDSByteSize: 8192 bytes/workgroup (compile time only)
; SGPRBlocks: 6
; VGPRBlocks: 7
; NumSGPRsForWavesPerEU: 50
; NumVGPRsForWavesPerEU: 64
; AccumOffset: 64
; Occupancy: 8
; WaveLimiterHint : 0
; COMPUTE_PGM_RSRC2:SCRATCH_EN: 0
; COMPUTE_PGM_RSRC2:USER_SGPR: 2
; COMPUTE_PGM_RSRC2:TRAP_HANDLER: 0
; COMPUTE_PGM_RSRC2:TGID_X_EN: 1
; COMPUTE_PGM_RSRC2:TGID_Y_EN: 1
; COMPUTE_PGM_RSRC2:TGID_Z_EN: 1
; COMPUTE_PGM_RSRC2:TIDIG_COMP_CNT: 1
; COMPUTE_PGM_RSRC3_GFX90A:ACCUM_OFFSET: 15
; COMPUTE_PGM_RSRC3_GFX90A:TG_SPLIT: 0
	.section	.text._ZL29rocblas_internal_gemmt_kernelIlLi16ELi32ELi8ELc67ELc67ELc76ELb1ELb1E19rocblas_complex_numIdEPKS1_S3_PS1_EviT_T9_T10_S5_lS7_S5_lS6_T11_S5_li,"axG",@progbits,_ZL29rocblas_internal_gemmt_kernelIlLi16ELi32ELi8ELc67ELc67ELc76ELb1ELb1E19rocblas_complex_numIdEPKS1_S3_PS1_EviT_T9_T10_S5_lS7_S5_lS6_T11_S5_li,comdat
	.globl	_ZL29rocblas_internal_gemmt_kernelIlLi16ELi32ELi8ELc67ELc67ELc76ELb1ELb1E19rocblas_complex_numIdEPKS1_S3_PS1_EviT_T9_T10_S5_lS7_S5_lS6_T11_S5_li ; -- Begin function _ZL29rocblas_internal_gemmt_kernelIlLi16ELi32ELi8ELc67ELc67ELc76ELb1ELb1E19rocblas_complex_numIdEPKS1_S3_PS1_EviT_T9_T10_S5_lS7_S5_lS6_T11_S5_li
	.p2align	8
	.type	_ZL29rocblas_internal_gemmt_kernelIlLi16ELi32ELi8ELc67ELc67ELc76ELb1ELb1E19rocblas_complex_numIdEPKS1_S3_PS1_EviT_T9_T10_S5_lS7_S5_lS6_T11_S5_li,@function
_ZL29rocblas_internal_gemmt_kernelIlLi16ELi32ELi8ELc67ELc67ELc76ELb1ELb1E19rocblas_complex_numIdEPKS1_S3_PS1_EviT_T9_T10_S5_lS7_S5_lS6_T11_S5_li: ; @_ZL29rocblas_internal_gemmt_kernelIlLi16ELi32ELi8ELc67ELc67ELc76ELb1ELb1E19rocblas_complex_numIdEPKS1_S3_PS1_EviT_T9_T10_S5_lS7_S5_lS6_T11_S5_li
; %bb.0:
	s_load_dwordx8 s[24:31], s[0:1], 0x48
	s_load_dwordx16 s[8:23], s[0:1], 0x8
	s_waitcnt lgkmcnt(0)
	s_load_dwordx4 s[36:39], s[24:25], 0x0
	s_load_dwordx4 s[40:43], s[10:11], 0x0
	s_mov_b64 s[24:25], 0
	s_waitcnt lgkmcnt(0)
	v_cmp_eq_f64_e64 s[10:11], s[36:37], 1.0
	v_cmp_eq_f64_e64 s[6:7], s[38:39], 0
	s_and_b64 s[10:11], s[10:11], s[6:7]
	s_andn2_b64 vcc, exec, s[10:11]
	s_mov_b64 s[10:11], -1
	s_cbranch_vccnz .LBB269_4
; %bb.1:
	s_cmp_lg_u64 s[8:9], 0
	s_cbranch_scc0 .LBB269_3
; %bb.2:
	v_cmp_neq_f64_e64 s[10:11], s[40:41], 0
	v_cmp_neq_f64_e64 s[24:25], s[42:43], 0
	s_or_b64 s[24:25], s[10:11], s[24:25]
.LBB269_3:
	s_mov_b64 s[10:11], s[24:25]
.LBB269_4:
	s_and_b64 vcc, exec, s[10:11]
	s_cbranch_vccz .LBB269_30
; %bb.5:
	s_load_dword s24, s[0:1], 0x0
	s_lshl_b32 s5, s2, 5
	s_lshl_b32 s25, s3, 5
	v_cmp_eq_f64_e64 s[0:1], s[40:41], 0
	v_cmp_eq_f64_e64 s[2:3], s[42:43], 0
	s_and_b64 s[0:1], s[0:1], s[2:3]
	v_cmp_lt_i64_e64 s[2:3], s[8:9], 1
	s_or_b64 s[0:1], s[0:1], s[2:3]
	v_and_b32_e32 v5, 0x3ff, v0
	v_bfe_u32 v7, v0, 10, 10
	v_mov_b64_e32 v[26:27], 0
	s_and_b64 vcc, exec, s[0:1]
	v_mov_b64_e32 v[28:29], 0
	v_mov_b64_e32 v[22:23], 0
	;; [unrolled: 1-line block ×7, first 2 shown]
	s_cbranch_vccnz .LBB269_14
; %bb.6:
	s_mul_i32 s0, s23, s4
	s_mul_hi_u32 s1, s22, s4
	s_add_i32 s1, s1, s0
	s_mul_i32 s0, s22, s4
	s_lshl_b64 s[0:1], s[0:1], 4
	s_add_u32 s10, s18, s0
	s_addc_u32 s11, s19, s1
	s_mul_i32 s0, s17, s4
	s_mul_hi_u32 s1, s16, s4
	v_lshl_add_u32 v1, v7, 4, v5
	s_add_i32 s1, s1, s0
	s_mul_i32 s0, s16, s4
	v_lshrrev_b32_e32 v6, 5, v1
	v_lshrrev_b32_e32 v10, 3, v1
	v_and_b32_e32 v1, 31, v1
	s_lshl_b64 s[0:1], s[0:1], 4
	v_or_b32_e32 v2, s5, v1
	s_add_u32 s2, s12, s0
	v_lshlrev_b32_e32 v1, 4, v1
	s_addc_u32 s3, s13, s1
	s_waitcnt lgkmcnt(0)
	v_cmp_gt_i32_e64 s[0:1], s24, v2
	v_lshl_or_b32 v30, v6, 9, v1
	s_ashr_i32 s16, s5, 31
	v_mul_lo_u32 v1, s15, v2
	v_mad_u64_u32 v[2:3], s[12:13], s14, v2, 0
	v_and_b32_e32 v4, 7, v5
	s_mul_i32 s12, s14, s16
	v_add3_u32 v3, v3, s12, v1
	v_lshlrev_b32_e32 v1, 4, v4
	v_add_u32_e32 v0, s25, v10
	v_lshl_or_b32 v1, v10, 7, v1
	v_add_u32_e32 v31, 0x1000, v1
	v_ashrrev_i32_e32 v1, 31, v0
	v_lshl_add_u64 v[8:9], v[2:3], 4, s[2:3]
	v_cmp_gt_i32_e64 s[2:3], s24, v0
	v_lshl_add_u64 v[10:11], v[0:1], 4, s[10:11]
	v_mov_b32_e32 v0, 0x1000
	v_lshlrev_b32_e32 v32, 4, v5
	v_lshl_add_u32 v33, v7, 7, v0
	v_mov_b32_e32 v13, 0
	v_mov_b64_e32 v[14:15], 0
	s_mov_b64 s[10:11], 0
	v_mov_b64_e32 v[16:17], 0
	v_mov_b64_e32 v[20:21], 0
	v_mov_b64_e32 v[18:19], 0
	v_mov_b64_e32 v[24:25], 0
	v_mov_b64_e32 v[22:23], 0
	v_mov_b64_e32 v[28:29], 0
	v_mov_b64_e32 v[26:27], 0
	s_branch .LBB269_8
.LBB269_7:                              ;   in Loop: Header=BB269_8 Depth=1
	s_or_b64 exec, exec, s[12:13]
	ds_write_b128 v31, v[0:3]
	s_waitcnt lgkmcnt(0)
	s_barrier
	ds_read_b128 v[0:3], v32
	ds_read_b128 v[34:37], v33
	ds_read_b128 v[38:41], v33 offset:16
	ds_read_b128 v[42:45], v33 offset:32
	ds_read_b128 v[46:49], v33 offset:48
	ds_read_b128 v[50:53], v32 offset:256
	s_waitcnt lgkmcnt(4)
	v_mul_f64 v[54:55], v[36:37], v[2:3]
	v_fma_f64 v[54:55], v[34:35], v[0:1], -v[54:55]
	v_mul_f64 v[56:57], v[34:35], v[2:3]
	v_fmac_f64_e32 v[56:57], v[36:37], v[0:1]
	v_add_f64 v[54:55], v[26:27], v[54:55]
	s_waitcnt lgkmcnt(0)
	v_mul_f64 v[26:27], v[36:37], v[52:53]
	v_add_f64 v[56:57], v[56:57], v[28:29]
	v_fma_f64 v[58:59], v[34:35], v[50:51], -v[26:27]
	ds_read_b128 v[26:29], v33 offset:2048
	v_mul_f64 v[34:35], v[34:35], v[52:53]
	v_fmac_f64_e32 v[34:35], v[36:37], v[50:51]
	v_add_f64 v[36:37], v[22:23], v[58:59]
	v_add_f64 v[34:35], v[34:35], v[24:25]
	ds_read_b128 v[22:25], v33 offset:2064
	s_waitcnt lgkmcnt(1)
	v_mul_f64 v[58:59], v[28:29], v[2:3]
	v_mul_f64 v[2:3], v[26:27], v[2:3]
	v_fma_f64 v[58:59], v[26:27], v[0:1], -v[58:59]
	v_fmac_f64_e32 v[2:3], v[28:29], v[0:1]
	v_mul_f64 v[0:1], v[28:29], v[52:53]
	v_add_f64 v[18:19], v[18:19], v[58:59]
	v_add_f64 v[20:21], v[2:3], v[20:21]
	v_fma_f64 v[58:59], v[26:27], v[50:51], -v[0:1]
	v_mul_f64 v[26:27], v[26:27], v[52:53]
	ds_read_b128 v[0:3], v32 offset:512
	v_fmac_f64_e32 v[26:27], v[28:29], v[50:51]
	v_add_f64 v[28:29], v[16:17], v[58:59]
	v_add_f64 v[26:27], v[26:27], v[14:15]
	ds_read_b128 v[14:17], v32 offset:768
	s_waitcnt lgkmcnt(1)
	v_mul_f64 v[50:51], v[40:41], v[2:3]
	v_fma_f64 v[50:51], v[38:39], v[0:1], -v[50:51]
	v_add_f64 v[50:51], v[54:55], v[50:51]
	v_mul_f64 v[52:53], v[38:39], v[2:3]
	s_waitcnt lgkmcnt(0)
	v_mul_f64 v[54:55], v[40:41], v[16:17]
	v_fma_f64 v[54:55], v[38:39], v[14:15], -v[54:55]
	v_mul_f64 v[38:39], v[38:39], v[16:17]
	v_fmac_f64_e32 v[38:39], v[40:41], v[14:15]
	v_add_f64 v[34:35], v[38:39], v[34:35]
	v_mul_f64 v[38:39], v[24:25], v[2:3]
	v_mul_f64 v[2:3], v[22:23], v[2:3]
	v_fmac_f64_e32 v[52:53], v[40:41], v[0:1]
	v_fma_f64 v[38:39], v[22:23], v[0:1], -v[38:39]
	v_fmac_f64_e32 v[2:3], v[24:25], v[0:1]
	v_mul_f64 v[0:1], v[24:25], v[16:17]
	v_add_f64 v[38:39], v[18:19], v[38:39]
	v_add_f64 v[40:41], v[2:3], v[20:21]
	v_fma_f64 v[18:19], v[22:23], v[14:15], -v[0:1]
	v_mul_f64 v[16:17], v[22:23], v[16:17]
	ds_read_b128 v[0:3], v32 offset:1024
	v_fmac_f64_e32 v[16:17], v[24:25], v[14:15]
	v_add_f64 v[26:27], v[16:17], v[26:27]
	ds_read_b128 v[14:17], v32 offset:1280
	v_add_f64 v[28:29], v[28:29], v[18:19]
	s_waitcnt lgkmcnt(1)
	v_mul_f64 v[18:19], v[44:45], v[2:3]
	v_fma_f64 v[18:19], v[42:43], v[0:1], -v[18:19]
	v_mul_f64 v[20:21], v[42:43], v[2:3]
	v_add_f64 v[52:53], v[52:53], v[56:57]
	v_fmac_f64_e32 v[20:21], v[44:45], v[0:1]
	v_add_f64 v[50:51], v[50:51], v[18:19]
	s_waitcnt lgkmcnt(0)
	v_mul_f64 v[18:19], v[44:45], v[16:17]
	v_add_f64 v[52:53], v[20:21], v[52:53]
	v_fma_f64 v[22:23], v[42:43], v[14:15], -v[18:19]
	ds_read_b128 v[18:21], v33 offset:2080
	v_mul_f64 v[24:25], v[42:43], v[16:17]
	v_add_f64 v[36:37], v[36:37], v[54:55]
	v_fmac_f64_e32 v[24:25], v[44:45], v[14:15]
	v_add_f64 v[36:37], v[36:37], v[22:23]
	v_add_f64 v[34:35], v[24:25], v[34:35]
	ds_read_b128 v[22:25], v33 offset:2096
	s_waitcnt lgkmcnt(1)
	v_mul_f64 v[42:43], v[20:21], v[2:3]
	v_mul_f64 v[2:3], v[18:19], v[2:3]
	v_fma_f64 v[42:43], v[18:19], v[0:1], -v[42:43]
	v_fmac_f64_e32 v[2:3], v[20:21], v[0:1]
	v_mul_f64 v[0:1], v[20:21], v[16:17]
	v_mul_f64 v[16:17], v[18:19], v[16:17]
	v_fmac_f64_e32 v[16:17], v[20:21], v[14:15]
	v_add_f64 v[38:39], v[38:39], v[42:43]
	v_add_f64 v[40:41], v[2:3], v[40:41]
	v_fma_f64 v[42:43], v[18:19], v[14:15], -v[0:1]
	ds_read_b128 v[0:3], v32 offset:1536
	v_add_f64 v[20:21], v[16:17], v[26:27]
	ds_read_b128 v[14:17], v32 offset:1792
	v_add_f64 v[18:19], v[28:29], v[42:43]
	s_add_u32 s10, s10, 8
	s_waitcnt lgkmcnt(1)
	v_mul_f64 v[26:27], v[48:49], v[2:3]
	v_mul_f64 v[28:29], v[46:47], v[2:3]
	s_waitcnt lgkmcnt(0)
	v_mul_f64 v[42:43], v[48:49], v[16:17]
	v_fma_f64 v[42:43], v[46:47], v[14:15], -v[42:43]
	v_add_f64 v[36:37], v[36:37], v[42:43]
	v_mul_f64 v[42:43], v[24:25], v[2:3]
	v_mul_f64 v[2:3], v[22:23], v[2:3]
	v_fma_f64 v[26:27], v[46:47], v[0:1], -v[26:27]
	v_fmac_f64_e32 v[28:29], v[48:49], v[0:1]
	v_fma_f64 v[42:43], v[22:23], v[0:1], -v[42:43]
	v_fmac_f64_e32 v[2:3], v[24:25], v[0:1]
	v_mul_f64 v[0:1], v[24:25], v[16:17]
	v_mul_f64 v[44:45], v[46:47], v[16:17]
	v_add_f64 v[38:39], v[38:39], v[42:43]
	v_fma_f64 v[42:43], v[22:23], v[14:15], -v[0:1]
	v_mul_f64 v[22:23], v[22:23], v[16:17]
	v_fmac_f64_e32 v[44:45], v[48:49], v[14:15]
	v_add_f64 v[40:41], v[2:3], v[40:41]
	v_fmac_f64_e32 v[22:23], v[24:25], v[14:15]
	ds_read_b128 v[0:3], v33 offset:64
	ds_read_b128 v[14:17], v32 offset:2048
	v_add_f64 v[34:35], v[44:45], v[34:35]
	v_add_f64 v[42:43], v[18:19], v[42:43]
	;; [unrolled: 1-line block ×3, first 2 shown]
	ds_read_b128 v[18:21], v32 offset:2304
	ds_read_b128 v[22:25], v33 offset:80
	s_waitcnt lgkmcnt(2)
	v_mul_f64 v[46:47], v[2:3], v[16:17]
	v_add_f64 v[26:27], v[50:51], v[26:27]
	v_fma_f64 v[46:47], v[0:1], v[14:15], -v[46:47]
	v_mul_f64 v[48:49], v[0:1], v[16:17]
	v_add_f64 v[28:29], v[28:29], v[52:53]
	v_fmac_f64_e32 v[48:49], v[2:3], v[14:15]
	v_add_f64 v[46:47], v[26:27], v[46:47]
	s_waitcnt lgkmcnt(1)
	v_mul_f64 v[26:27], v[2:3], v[20:21]
	v_add_f64 v[48:49], v[48:49], v[28:29]
	v_fma_f64 v[50:51], v[0:1], v[18:19], -v[26:27]
	ds_read_b128 v[26:29], v33 offset:2112
	v_mul_f64 v[0:1], v[0:1], v[20:21]
	v_fmac_f64_e32 v[0:1], v[2:3], v[18:19]
	v_add_f64 v[36:37], v[36:37], v[50:51]
	v_add_f64 v[34:35], v[0:1], v[34:35]
	ds_read_b128 v[0:3], v33 offset:2128
	s_waitcnt lgkmcnt(1)
	v_mul_f64 v[50:51], v[28:29], v[16:17]
	v_mul_f64 v[16:17], v[26:27], v[16:17]
	v_fma_f64 v[50:51], v[26:27], v[14:15], -v[50:51]
	v_fmac_f64_e32 v[16:17], v[28:29], v[14:15]
	v_mul_f64 v[14:15], v[28:29], v[20:21]
	v_add_f64 v[38:39], v[38:39], v[50:51]
	v_add_f64 v[40:41], v[16:17], v[40:41]
	v_fma_f64 v[50:51], v[26:27], v[18:19], -v[14:15]
	v_mul_f64 v[20:21], v[26:27], v[20:21]
	ds_read_b128 v[14:17], v32 offset:2560
	v_fmac_f64_e32 v[20:21], v[28:29], v[18:19]
	v_add_f64 v[28:29], v[20:21], v[44:45]
	ds_read_b128 v[18:21], v32 offset:2816
	v_add_f64 v[26:27], v[42:43], v[50:51]
	s_waitcnt lgkmcnt(1)
	v_mul_f64 v[42:43], v[24:25], v[16:17]
	v_fma_f64 v[42:43], v[22:23], v[14:15], -v[42:43]
	v_add_f64 v[42:43], v[46:47], v[42:43]
	s_waitcnt lgkmcnt(0)
	v_mul_f64 v[46:47], v[24:25], v[20:21]
	v_mul_f64 v[44:45], v[22:23], v[16:17]
	v_fma_f64 v[46:47], v[22:23], v[18:19], -v[46:47]
	v_mul_f64 v[22:23], v[22:23], v[20:21]
	v_fmac_f64_e32 v[22:23], v[24:25], v[18:19]
	v_add_f64 v[34:35], v[22:23], v[34:35]
	v_mul_f64 v[22:23], v[2:3], v[16:17]
	v_mul_f64 v[16:17], v[0:1], v[16:17]
	v_fmac_f64_e32 v[44:45], v[24:25], v[14:15]
	v_fma_f64 v[22:23], v[0:1], v[14:15], -v[22:23]
	v_fmac_f64_e32 v[16:17], v[2:3], v[14:15]
	v_mul_f64 v[14:15], v[2:3], v[20:21]
	v_mul_f64 v[20:21], v[0:1], v[20:21]
	v_add_f64 v[38:39], v[38:39], v[22:23]
	v_add_f64 v[40:41], v[16:17], v[40:41]
	v_fma_f64 v[22:23], v[0:1], v[18:19], -v[14:15]
	v_fmac_f64_e32 v[20:21], v[2:3], v[18:19]
	ds_read_b128 v[0:3], v33 offset:96
	ds_read_b128 v[14:17], v32 offset:3072
	v_add_f64 v[44:45], v[44:45], v[48:49]
	v_add_f64 v[36:37], v[36:37], v[46:47]
	;; [unrolled: 1-line block ×4, first 2 shown]
	ds_read_b128 v[18:21], v32 offset:3328
	ds_read_b128 v[22:25], v33 offset:112
	s_waitcnt lgkmcnt(2)
	v_mul_f64 v[26:27], v[2:3], v[16:17]
	v_fma_f64 v[26:27], v[0:1], v[14:15], -v[26:27]
	v_mul_f64 v[28:29], v[0:1], v[16:17]
	v_fmac_f64_e32 v[28:29], v[2:3], v[14:15]
	v_add_f64 v[42:43], v[42:43], v[26:27]
	s_waitcnt lgkmcnt(1)
	v_mul_f64 v[26:27], v[2:3], v[20:21]
	v_add_f64 v[44:45], v[28:29], v[44:45]
	v_fma_f64 v[50:51], v[0:1], v[18:19], -v[26:27]
	ds_read_b128 v[26:29], v33 offset:2144
	v_mul_f64 v[0:1], v[0:1], v[20:21]
	v_fmac_f64_e32 v[0:1], v[2:3], v[18:19]
	v_add_f64 v[52:53], v[0:1], v[34:35]
	ds_read_b128 v[0:3], v33 offset:2160
	s_waitcnt lgkmcnt(1)
	v_mul_f64 v[34:35], v[28:29], v[16:17]
	v_mul_f64 v[16:17], v[26:27], v[16:17]
	v_fma_f64 v[34:35], v[26:27], v[14:15], -v[34:35]
	v_fmac_f64_e32 v[16:17], v[28:29], v[14:15]
	v_mul_f64 v[14:15], v[28:29], v[20:21]
	v_add_f64 v[38:39], v[38:39], v[34:35]
	v_add_f64 v[40:41], v[16:17], v[40:41]
	v_fma_f64 v[34:35], v[26:27], v[18:19], -v[14:15]
	ds_read_b128 v[14:17], v32 offset:3584
	v_add_f64 v[50:51], v[36:37], v[50:51]
	v_add_f64 v[46:47], v[46:47], v[34:35]
	ds_read_b128 v[34:37], v32 offset:3840
	v_mul_f64 v[20:21], v[26:27], v[20:21]
	v_fmac_f64_e32 v[20:21], v[28:29], v[18:19]
	s_waitcnt lgkmcnt(1)
	v_mul_f64 v[18:19], v[24:25], v[16:17]
	v_fma_f64 v[18:19], v[22:23], v[14:15], -v[18:19]
	v_add_f64 v[48:49], v[20:21], v[48:49]
	v_mul_f64 v[20:21], v[22:23], v[16:17]
	v_add_f64 v[26:27], v[42:43], v[18:19]
	s_waitcnt lgkmcnt(0)
	v_mul_f64 v[18:19], v[24:25], v[36:37]
	v_fmac_f64_e32 v[20:21], v[24:25], v[14:15]
	v_fma_f64 v[18:19], v[22:23], v[34:35], -v[18:19]
	v_add_f64 v[28:29], v[20:21], v[44:45]
	v_mul_f64 v[20:21], v[22:23], v[36:37]
	v_add_f64 v[22:23], v[50:51], v[18:19]
	v_mul_f64 v[18:19], v[2:3], v[16:17]
	v_mul_f64 v[16:17], v[0:1], v[16:17]
	v_fma_f64 v[18:19], v[0:1], v[14:15], -v[18:19]
	v_fmac_f64_e32 v[16:17], v[2:3], v[14:15]
	v_mul_f64 v[14:15], v[2:3], v[36:37]
	v_fma_f64 v[14:15], v[0:1], v[34:35], -v[14:15]
	v_mul_f64 v[0:1], v[0:1], v[36:37]
	v_fmac_f64_e32 v[20:21], v[24:25], v[34:35]
	v_fmac_f64_e32 v[0:1], v[2:3], v[34:35]
	s_addc_u32 s11, s11, 0
	v_add_f64 v[24:25], v[20:21], v[52:53]
	v_add_f64 v[20:21], v[16:17], v[40:41]
	;; [unrolled: 1-line block ×4, first 2 shown]
	v_mov_b64_e32 v[0:1], s[10:11]
	v_cmp_gt_i64_e32 vcc, s[8:9], v[0:1]
	v_add_f64 v[18:19], v[38:39], v[18:19]
	s_barrier
	s_cbranch_vccz .LBB269_14
.LBB269_8:                              ; =>This Inner Loop Header: Depth=1
	v_mov_b64_e32 v[0:1], 0
	v_mov_b64_e32 v[2:3], 0
	s_and_saveexec_b64 s[12:13], s[0:1]
	s_cbranch_execz .LBB269_12
; %bb.9:                                ;   in Loop: Header=BB269_8 Depth=1
	v_add_u32_e32 v12, s10, v6
	v_cmp_gt_u64_e32 vcc, s[8:9], v[12:13]
	v_mov_b64_e32 v[2:3], 0
	v_mov_b64_e32 v[0:1], 0
	s_and_saveexec_b64 s[14:15], vcc
	s_cbranch_execz .LBB269_11
; %bb.10:                               ;   in Loop: Header=BB269_8 Depth=1
	v_lshl_add_u64 v[0:1], v[12:13], 4, v[8:9]
	global_load_dwordx4 v[0:3], v[0:1], off
	s_waitcnt vmcnt(0)
	v_xor_b32_e32 v3, 0x80000000, v3
.LBB269_11:                             ;   in Loop: Header=BB269_8 Depth=1
	s_or_b64 exec, exec, s[14:15]
.LBB269_12:                             ;   in Loop: Header=BB269_8 Depth=1
	s_or_b64 exec, exec, s[12:13]
	v_add_u32_e32 v12, s10, v4
	v_cmp_gt_u64_e32 vcc, s[8:9], v[12:13]
	ds_write_b128 v30, v[0:3]
	s_and_b64 s[14:15], vcc, s[2:3]
	v_mov_b64_e32 v[0:1], 0
	v_mov_b64_e32 v[2:3], 0
	s_and_saveexec_b64 s[12:13], s[14:15]
	s_cbranch_execz .LBB269_7
; %bb.13:                               ;   in Loop: Header=BB269_8 Depth=1
	v_mad_u64_u32 v[0:1], s[14:15], s20, v12, 0
	v_mov_b32_e32 v2, v1
	v_mad_u64_u32 v[2:3], s[14:15], s21, v12, v[2:3]
	v_mov_b32_e32 v1, v2
	v_lshl_add_u64 v[0:1], v[0:1], 4, v[10:11]
	global_load_dwordx4 v[0:3], v[0:1], off
	s_waitcnt vmcnt(0)
	v_xor_b32_e32 v3, 0x80000000, v3
	s_branch .LBB269_7
.LBB269_14:
	s_mul_i32 s0, s31, s4
	s_mul_hi_u32 s1, s30, s4
	s_add_i32 s1, s1, s0
	s_mul_i32 s0, s30, s4
	s_lshl_b64 s[0:1], s[0:1], 4
	v_add_u32_e32 v10, s25, v7
	s_add_u32 s8, s26, s0
	v_ashrrev_i32_e32 v0, 31, v10
	s_addc_u32 s9, s27, s1
	v_add_u32_e32 v4, s5, v5
	v_cmp_neq_f64_e64 s[0:1], s[36:37], 0
	s_xor_b64 s[4:5], s[6:7], -1
	v_mul_lo_u32 v2, s28, v0
	v_mul_lo_u32 v3, s29, v10
	v_mad_u64_u32 v[0:1], s[2:3], s28, v10, 0
	v_add3_u32 v1, v1, v2, v3
	s_or_b64 s[0:1], s[0:1], s[4:5]
	v_lshl_add_u64 v[8:9], v[0:1], 4, s[8:9]
	v_cmp_le_i32_e32 vcc, v10, v4
	s_waitcnt lgkmcnt(0)
	v_cmp_gt_i32_e64 s[2:3], s24, v4
	v_cndmask_b32_e64 v0, 0, 1, s[0:1]
	s_and_b64 s[6:7], vcc, s[2:3]
	v_ashrrev_i32_e32 v5, 31, v4
	v_cmp_ne_u32_e64 s[0:1], 1, v0
	s_and_saveexec_b64 s[4:5], s[6:7]
	s_cbranch_execz .LBB269_18
; %bb.15:
	v_mul_f64 v[0:1], s[42:43], v[28:29]
	v_mul_f64 v[2:3], s[40:41], v[28:29]
	v_fma_f64 v[0:1], s[40:41], v[26:27], -v[0:1]
	v_fmac_f64_e32 v[2:3], s[42:43], v[26:27]
	s_and_b64 vcc, exec, s[0:1]
	v_lshl_add_u64 v[6:7], v[4:5], 4, v[8:9]
	s_cbranch_vccnz .LBB269_17
; %bb.16:
	global_load_dwordx4 v[26:29], v[6:7], off
	s_waitcnt vmcnt(0)
	v_mul_f64 v[12:13], s[38:39], v[28:29]
	v_mul_f64 v[28:29], s[36:37], v[28:29]
	v_fma_f64 v[12:13], s[36:37], v[26:27], -v[12:13]
	v_fmac_f64_e32 v[28:29], s[38:39], v[26:27]
	v_add_f64 v[0:1], v[0:1], v[12:13]
	v_add_f64 v[2:3], v[2:3], v[28:29]
.LBB269_17:
	global_store_dwordx4 v[6:7], v[0:3], off
.LBB269_18:
	s_or_b64 exec, exec, s[4:5]
	v_add_u32_e32 v6, 16, v4
	v_cmp_le_i32_e32 vcc, v10, v6
	v_cmp_gt_i32_e64 s[4:5], s24, v6
	s_and_b64 s[10:11], vcc, s[4:5]
	v_ashrrev_i32_e32 v7, 31, v6
	s_and_saveexec_b64 s[6:7], s[10:11]
	s_cbranch_execz .LBB269_22
; %bb.19:
	v_mul_f64 v[0:1], s[42:43], v[24:25]
	v_mul_f64 v[2:3], s[40:41], v[24:25]
	v_fma_f64 v[0:1], s[40:41], v[22:23], -v[0:1]
	v_fmac_f64_e32 v[2:3], s[42:43], v[22:23]
	s_and_b64 vcc, exec, s[0:1]
	v_lshl_add_u64 v[8:9], v[6:7], 4, v[8:9]
	s_cbranch_vccnz .LBB269_21
; %bb.20:
	global_load_dwordx4 v[22:25], v[8:9], off
	s_waitcnt vmcnt(0)
	v_mul_f64 v[12:13], s[38:39], v[24:25]
	v_mul_f64 v[24:25], s[36:37], v[24:25]
	v_fma_f64 v[12:13], s[36:37], v[22:23], -v[12:13]
	v_fmac_f64_e32 v[24:25], s[38:39], v[22:23]
	v_add_f64 v[0:1], v[0:1], v[12:13]
	v_add_f64 v[2:3], v[2:3], v[24:25]
.LBB269_21:
	global_store_dwordx4 v[8:9], v[0:3], off
.LBB269_22:
	s_or_b64 exec, exec, s[6:7]
	v_add_u32_e32 v10, 16, v10
	v_ashrrev_i32_e32 v0, 31, v10
	v_mul_lo_u32 v2, s28, v0
	v_mul_lo_u32 v3, s29, v10
	v_mad_u64_u32 v[0:1], s[6:7], s28, v10, 0
	v_add3_u32 v1, v1, v2, v3
	v_cmp_le_i32_e32 vcc, v10, v4
	v_lshl_add_u64 v[8:9], v[0:1], 4, s[8:9]
	s_and_b64 s[6:7], vcc, s[2:3]
	s_and_saveexec_b64 s[2:3], s[6:7]
	s_cbranch_execz .LBB269_26
; %bb.23:
	v_mul_f64 v[0:1], s[42:43], v[20:21]
	v_mul_f64 v[2:3], s[40:41], v[20:21]
	v_fma_f64 v[0:1], s[40:41], v[18:19], -v[0:1]
	v_fmac_f64_e32 v[2:3], s[42:43], v[18:19]
	s_and_b64 vcc, exec, s[0:1]
	v_lshl_add_u64 v[4:5], v[4:5], 4, v[8:9]
	s_cbranch_vccnz .LBB269_25
; %bb.24:
	global_load_dwordx4 v[18:21], v[4:5], off
	s_waitcnt vmcnt(0)
	v_mul_f64 v[12:13], s[38:39], v[20:21]
	v_mul_f64 v[20:21], s[36:37], v[20:21]
	v_fma_f64 v[12:13], s[36:37], v[18:19], -v[12:13]
	v_fmac_f64_e32 v[20:21], s[38:39], v[18:19]
	v_add_f64 v[0:1], v[0:1], v[12:13]
	v_add_f64 v[2:3], v[2:3], v[20:21]
.LBB269_25:
	global_store_dwordx4 v[4:5], v[0:3], off
.LBB269_26:
	s_or_b64 exec, exec, s[2:3]
	v_cmp_le_i32_e32 vcc, v10, v6
	s_and_b64 s[2:3], vcc, s[4:5]
	s_and_saveexec_b64 s[4:5], s[2:3]
	s_cbranch_execz .LBB269_30
; %bb.27:
	v_mul_f64 v[0:1], s[42:43], v[14:15]
	v_mul_f64 v[2:3], s[40:41], v[14:15]
	v_fma_f64 v[0:1], s[40:41], v[16:17], -v[0:1]
	v_fmac_f64_e32 v[2:3], s[42:43], v[16:17]
	s_and_b64 vcc, exec, s[0:1]
	v_lshl_add_u64 v[4:5], v[6:7], 4, v[8:9]
	s_cbranch_vccnz .LBB269_29
; %bb.28:
	global_load_dwordx4 v[6:9], v[4:5], off
	s_waitcnt vmcnt(0)
	v_mul_f64 v[10:11], s[38:39], v[8:9]
	v_mul_f64 v[8:9], s[36:37], v[8:9]
	v_fma_f64 v[10:11], s[36:37], v[6:7], -v[10:11]
	v_fmac_f64_e32 v[8:9], s[38:39], v[6:7]
	v_add_f64 v[0:1], v[0:1], v[10:11]
	v_add_f64 v[2:3], v[2:3], v[8:9]
.LBB269_29:
	global_store_dwordx4 v[4:5], v[0:3], off
.LBB269_30:
	s_endpgm
	.section	.rodata,"a",@progbits
	.p2align	6, 0x0
	.amdhsa_kernel _ZL29rocblas_internal_gemmt_kernelIlLi16ELi32ELi8ELc67ELc67ELc76ELb1ELb1E19rocblas_complex_numIdEPKS1_S3_PS1_EviT_T9_T10_S5_lS7_S5_lS6_T11_S5_li
		.amdhsa_group_segment_fixed_size 8192
		.amdhsa_private_segment_fixed_size 0
		.amdhsa_kernarg_size 108
		.amdhsa_user_sgpr_count 2
		.amdhsa_user_sgpr_dispatch_ptr 0
		.amdhsa_user_sgpr_queue_ptr 0
		.amdhsa_user_sgpr_kernarg_segment_ptr 1
		.amdhsa_user_sgpr_dispatch_id 0
		.amdhsa_user_sgpr_kernarg_preload_length 0
		.amdhsa_user_sgpr_kernarg_preload_offset 0
		.amdhsa_user_sgpr_private_segment_size 0
		.amdhsa_uses_dynamic_stack 0
		.amdhsa_enable_private_segment 0
		.amdhsa_system_sgpr_workgroup_id_x 1
		.amdhsa_system_sgpr_workgroup_id_y 1
		.amdhsa_system_sgpr_workgroup_id_z 1
		.amdhsa_system_sgpr_workgroup_info 0
		.amdhsa_system_vgpr_workitem_id 1
		.amdhsa_next_free_vgpr 60
		.amdhsa_next_free_sgpr 44
		.amdhsa_accum_offset 60
		.amdhsa_reserve_vcc 1
		.amdhsa_float_round_mode_32 0
		.amdhsa_float_round_mode_16_64 0
		.amdhsa_float_denorm_mode_32 3
		.amdhsa_float_denorm_mode_16_64 3
		.amdhsa_dx10_clamp 1
		.amdhsa_ieee_mode 1
		.amdhsa_fp16_overflow 0
		.amdhsa_tg_split 0
		.amdhsa_exception_fp_ieee_invalid_op 0
		.amdhsa_exception_fp_denorm_src 0
		.amdhsa_exception_fp_ieee_div_zero 0
		.amdhsa_exception_fp_ieee_overflow 0
		.amdhsa_exception_fp_ieee_underflow 0
		.amdhsa_exception_fp_ieee_inexact 0
		.amdhsa_exception_int_div_zero 0
	.end_amdhsa_kernel
	.section	.text._ZL29rocblas_internal_gemmt_kernelIlLi16ELi32ELi8ELc67ELc67ELc76ELb1ELb1E19rocblas_complex_numIdEPKS1_S3_PS1_EviT_T9_T10_S5_lS7_S5_lS6_T11_S5_li,"axG",@progbits,_ZL29rocblas_internal_gemmt_kernelIlLi16ELi32ELi8ELc67ELc67ELc76ELb1ELb1E19rocblas_complex_numIdEPKS1_S3_PS1_EviT_T9_T10_S5_lS7_S5_lS6_T11_S5_li,comdat
.Lfunc_end269:
	.size	_ZL29rocblas_internal_gemmt_kernelIlLi16ELi32ELi8ELc67ELc67ELc76ELb1ELb1E19rocblas_complex_numIdEPKS1_S3_PS1_EviT_T9_T10_S5_lS7_S5_lS6_T11_S5_li, .Lfunc_end269-_ZL29rocblas_internal_gemmt_kernelIlLi16ELi32ELi8ELc67ELc67ELc76ELb1ELb1E19rocblas_complex_numIdEPKS1_S3_PS1_EviT_T9_T10_S5_lS7_S5_lS6_T11_S5_li
                                        ; -- End function
	.set _ZL29rocblas_internal_gemmt_kernelIlLi16ELi32ELi8ELc67ELc67ELc76ELb1ELb1E19rocblas_complex_numIdEPKS1_S3_PS1_EviT_T9_T10_S5_lS7_S5_lS6_T11_S5_li.num_vgpr, 60
	.set _ZL29rocblas_internal_gemmt_kernelIlLi16ELi32ELi8ELc67ELc67ELc76ELb1ELb1E19rocblas_complex_numIdEPKS1_S3_PS1_EviT_T9_T10_S5_lS7_S5_lS6_T11_S5_li.num_agpr, 0
	.set _ZL29rocblas_internal_gemmt_kernelIlLi16ELi32ELi8ELc67ELc67ELc76ELb1ELb1E19rocblas_complex_numIdEPKS1_S3_PS1_EviT_T9_T10_S5_lS7_S5_lS6_T11_S5_li.numbered_sgpr, 44
	.set _ZL29rocblas_internal_gemmt_kernelIlLi16ELi32ELi8ELc67ELc67ELc76ELb1ELb1E19rocblas_complex_numIdEPKS1_S3_PS1_EviT_T9_T10_S5_lS7_S5_lS6_T11_S5_li.num_named_barrier, 0
	.set _ZL29rocblas_internal_gemmt_kernelIlLi16ELi32ELi8ELc67ELc67ELc76ELb1ELb1E19rocblas_complex_numIdEPKS1_S3_PS1_EviT_T9_T10_S5_lS7_S5_lS6_T11_S5_li.private_seg_size, 0
	.set _ZL29rocblas_internal_gemmt_kernelIlLi16ELi32ELi8ELc67ELc67ELc76ELb1ELb1E19rocblas_complex_numIdEPKS1_S3_PS1_EviT_T9_T10_S5_lS7_S5_lS6_T11_S5_li.uses_vcc, 1
	.set _ZL29rocblas_internal_gemmt_kernelIlLi16ELi32ELi8ELc67ELc67ELc76ELb1ELb1E19rocblas_complex_numIdEPKS1_S3_PS1_EviT_T9_T10_S5_lS7_S5_lS6_T11_S5_li.uses_flat_scratch, 0
	.set _ZL29rocblas_internal_gemmt_kernelIlLi16ELi32ELi8ELc67ELc67ELc76ELb1ELb1E19rocblas_complex_numIdEPKS1_S3_PS1_EviT_T9_T10_S5_lS7_S5_lS6_T11_S5_li.has_dyn_sized_stack, 0
	.set _ZL29rocblas_internal_gemmt_kernelIlLi16ELi32ELi8ELc67ELc67ELc76ELb1ELb1E19rocblas_complex_numIdEPKS1_S3_PS1_EviT_T9_T10_S5_lS7_S5_lS6_T11_S5_li.has_recursion, 0
	.set _ZL29rocblas_internal_gemmt_kernelIlLi16ELi32ELi8ELc67ELc67ELc76ELb1ELb1E19rocblas_complex_numIdEPKS1_S3_PS1_EviT_T9_T10_S5_lS7_S5_lS6_T11_S5_li.has_indirect_call, 0
	.section	.AMDGPU.csdata,"",@progbits
; Kernel info:
; codeLenInByte = 3136
; TotalNumSgprs: 50
; NumVgprs: 60
; NumAgprs: 0
; TotalNumVgprs: 60
; ScratchSize: 0
; MemoryBound: 1
; FloatMode: 240
; IeeeMode: 1
; LDSByteSize: 8192 bytes/workgroup (compile time only)
; SGPRBlocks: 6
; VGPRBlocks: 7
; NumSGPRsForWavesPerEU: 50
; NumVGPRsForWavesPerEU: 60
; AccumOffset: 60
; Occupancy: 8
; WaveLimiterHint : 0
; COMPUTE_PGM_RSRC2:SCRATCH_EN: 0
; COMPUTE_PGM_RSRC2:USER_SGPR: 2
; COMPUTE_PGM_RSRC2:TRAP_HANDLER: 0
; COMPUTE_PGM_RSRC2:TGID_X_EN: 1
; COMPUTE_PGM_RSRC2:TGID_Y_EN: 1
; COMPUTE_PGM_RSRC2:TGID_Z_EN: 1
; COMPUTE_PGM_RSRC2:TIDIG_COMP_CNT: 1
; COMPUTE_PGM_RSRC3_GFX90A:ACCUM_OFFSET: 14
; COMPUTE_PGM_RSRC3_GFX90A:TG_SPLIT: 0
	.section	.text._ZL29rocblas_internal_gemmt_kernelIlLi16ELi32ELi8ELc78ELc78ELc85ELb0ELb0E19rocblas_complex_numIdES1_PKS1_PS1_EviT_T9_T10_S5_lS7_S5_lS6_T11_S5_li,"axG",@progbits,_ZL29rocblas_internal_gemmt_kernelIlLi16ELi32ELi8ELc78ELc78ELc85ELb0ELb0E19rocblas_complex_numIdES1_PKS1_PS1_EviT_T9_T10_S5_lS7_S5_lS6_T11_S5_li,comdat
	.globl	_ZL29rocblas_internal_gemmt_kernelIlLi16ELi32ELi8ELc78ELc78ELc85ELb0ELb0E19rocblas_complex_numIdES1_PKS1_PS1_EviT_T9_T10_S5_lS7_S5_lS6_T11_S5_li ; -- Begin function _ZL29rocblas_internal_gemmt_kernelIlLi16ELi32ELi8ELc78ELc78ELc85ELb0ELb0E19rocblas_complex_numIdES1_PKS1_PS1_EviT_T9_T10_S5_lS7_S5_lS6_T11_S5_li
	.p2align	8
	.type	_ZL29rocblas_internal_gemmt_kernelIlLi16ELi32ELi8ELc78ELc78ELc85ELb0ELb0E19rocblas_complex_numIdES1_PKS1_PS1_EviT_T9_T10_S5_lS7_S5_lS6_T11_S5_li,@function
_ZL29rocblas_internal_gemmt_kernelIlLi16ELi32ELi8ELc78ELc78ELc85ELb0ELb0E19rocblas_complex_numIdES1_PKS1_PS1_EviT_T9_T10_S5_lS7_S5_lS6_T11_S5_li: ; @_ZL29rocblas_internal_gemmt_kernelIlLi16ELi32ELi8ELc78ELc78ELc85ELb0ELb0E19rocblas_complex_numIdES1_PKS1_PS1_EviT_T9_T10_S5_lS7_S5_lS6_T11_S5_li
; %bb.0:
	s_load_dwordx8 s[24:31], s[0:1], 0x48
	s_load_dwordx16 s[8:23], s[0:1], 0x8
	s_mov_b64 s[34:35], 0
	s_waitcnt lgkmcnt(0)
	v_cmp_eq_f64_e64 s[36:37], s[26:27], 1.0
	v_cmp_eq_f64_e64 s[6:7], s[28:29], 0
	s_and_b64 s[36:37], s[36:37], s[6:7]
	s_andn2_b64 vcc, exec, s[36:37]
	s_mov_b64 s[36:37], -1
	s_cbranch_vccnz .LBB270_4
; %bb.1:
	s_cmp_lg_u64 s[8:9], 0
	s_cbranch_scc0 .LBB270_3
; %bb.2:
	v_cmp_neq_f64_e64 s[34:35], s[10:11], 0
	v_cmp_neq_f64_e64 s[36:37], s[12:13], 0
	s_or_b64 s[34:35], s[34:35], s[36:37]
.LBB270_3:
	s_mov_b64 s[36:37], s[34:35]
.LBB270_4:
	s_and_b64 vcc, exec, s[36:37]
	s_cbranch_vccz .LBB270_34
; %bb.5:
	s_load_dwordx4 s[36:39], s[0:1], 0x68
	s_load_dword s33, s[0:1], 0x0
	s_lshl_b32 s34, s2, 5
	s_lshl_b32 s35, s3, 5
	v_cmp_eq_f64_e64 s[0:1], s[10:11], 0
	v_cmp_eq_f64_e64 s[2:3], s[12:13], 0
	s_and_b64 s[0:1], s[0:1], s[2:3]
	v_cmp_lt_i64_e64 s[2:3], s[8:9], 1
	s_or_b64 s[0:1], s[0:1], s[2:3]
	v_and_b32_e32 v1, 0x3ff, v0
	v_bfe_u32 v3, v0, 10, 10
	v_mov_b64_e32 v[24:25], 0
	s_and_b64 vcc, exec, s[0:1]
	v_mov_b64_e32 v[26:27], 0
	v_mov_b64_e32 v[16:17], 0
	;; [unrolled: 1-line block ×7, first 2 shown]
	s_cbranch_vccnz .LBB270_18
; %bb.6:
	s_mul_i32 s0, s25, s4
	s_mul_hi_u32 s1, s24, s4
	s_add_i32 s1, s1, s0
	s_mul_i32 s0, s24, s4
	s_lshl_b64 s[0:1], s[0:1], 4
	s_add_u32 s20, s20, s0
	s_addc_u32 s21, s21, s1
	s_mul_i32 s0, s19, s4
	s_mul_hi_u32 s1, s18, s4
	v_lshl_add_u32 v4, v3, 4, v1
	v_and_b32_e32 v0, 7, v1
	s_add_i32 s1, s1, s0
	s_mul_i32 s0, s18, s4
	v_lshrrev_b32_e32 v6, 3, v4
	v_and_b32_e32 v5, 31, v4
	s_lshl_b64 s[0:1], s[0:1], 4
	v_lshlrev_b32_e32 v8, 4, v0
	v_lshrrev_b32_e32 v2, 5, v4
	v_add_u32_e32 v7, s35, v6
	v_or_b32_e32 v4, s34, v5
	s_add_u32 s14, s14, s0
	v_lshlrev_b32_e32 v5, 4, v5
	v_lshl_or_b32 v6, v6, 7, v8
	s_addc_u32 s15, s15, s1
	v_lshl_or_b32 v28, v2, 9, v5
	v_ashrrev_i32_e32 v5, 31, v4
	v_add_u32_e32 v29, 0x1000, v6
	v_ashrrev_i32_e32 v6, 31, v7
	s_waitcnt lgkmcnt(0)
	v_cmp_gt_i32_e64 s[0:1], s33, v4
	v_cmp_le_i32_e64 s[2:3], s33, v4
	v_lshl_add_u64 v[4:5], v[4:5], 4, s[14:15]
	v_cmp_gt_i32_e32 vcc, s33, v7
	v_mul_lo_u32 v8, s22, v6
	v_mul_lo_u32 v9, s23, v7
	v_mad_u64_u32 v[6:7], s[14:15], s22, v7, 0
	v_add3_u32 v7, v7, v8, v9
	v_mov_b32_e32 v8, 0x1000
	v_mov_b32_e32 v9, 0
	v_lshl_add_u64 v[6:7], v[6:7], 4, s[20:21]
	v_lshlrev_b32_e32 v30, 4, v1
	v_lshl_add_u32 v31, v3, 7, v8
	v_mov_b64_e32 v[12:13], 0
	s_mov_b64 s[14:15], 0
	s_xor_b64 s[18:19], vcc, -1
	v_mov_b32_e32 v32, v9
	v_mov_b32_e32 v33, v9
	;; [unrolled: 1-line block ×4, first 2 shown]
	v_mov_b64_e32 v[14:15], 0
	v_mov_b64_e32 v[22:23], 0
	;; [unrolled: 1-line block ×7, first 2 shown]
                                        ; implicit-def: $vgpr10_vgpr11
	s_branch .LBB270_8
.LBB270_7:                              ;   in Loop: Header=BB270_8 Depth=1
	s_or_b64 exec, exec, s[20:21]
	s_waitcnt lgkmcnt(0)
	s_barrier
	ds_read_b128 v[36:39], v31
	ds_read_b128 v[40:43], v31 offset:16
	ds_read_b128 v[44:47], v31 offset:32
	;; [unrolled: 1-line block ×3, first 2 shown]
	ds_read_b128 v[52:55], v30
	s_add_u32 s14, s14, 8
	s_addc_u32 s15, s15, 0
	s_waitcnt lgkmcnt(0)
	v_mul_f64 v[56:57], v[38:39], v[54:55]
	v_mul_f64 v[58:59], v[36:37], v[54:55]
	v_fma_f64 v[56:57], v[36:37], v[52:53], -v[56:57]
	v_fmac_f64_e32 v[58:59], v[38:39], v[52:53]
	v_add_f64 v[56:57], v[24:25], v[56:57]
	v_add_f64 v[58:59], v[58:59], v[26:27]
	ds_read_b128 v[24:27], v30 offset:256
	s_waitcnt lgkmcnt(0)
	v_mul_f64 v[60:61], v[38:39], v[26:27]
	v_fma_f64 v[60:61], v[36:37], v[24:25], -v[60:61]
	v_mul_f64 v[36:37], v[36:37], v[26:27]
	v_fmac_f64_e32 v[36:37], v[38:39], v[24:25]
	v_add_f64 v[38:39], v[16:17], v[60:61]
	v_add_f64 v[36:37], v[36:37], v[18:19]
	ds_read_b128 v[16:19], v31 offset:2048
	s_waitcnt lgkmcnt(0)
	v_mul_f64 v[60:61], v[18:19], v[54:55]
	v_fma_f64 v[60:61], v[16:17], v[52:53], -v[60:61]
	v_mul_f64 v[54:55], v[16:17], v[54:55]
	v_fmac_f64_e32 v[54:55], v[18:19], v[52:53]
	v_add_f64 v[52:53], v[20:21], v[60:61]
	v_mul_f64 v[20:21], v[18:19], v[26:27]
	v_fma_f64 v[20:21], v[16:17], v[24:25], -v[20:21]
	v_mul_f64 v[16:17], v[16:17], v[26:27]
	v_fmac_f64_e32 v[16:17], v[18:19], v[24:25]
	v_add_f64 v[24:25], v[14:15], v[20:21]
	v_add_f64 v[26:27], v[16:17], v[12:13]
	ds_read_b128 v[12:15], v30 offset:512
	v_add_f64 v[54:55], v[54:55], v[22:23]
	s_waitcnt lgkmcnt(0)
	v_mul_f64 v[16:17], v[42:43], v[14:15]
	v_mul_f64 v[18:19], v[40:41], v[14:15]
	v_fma_f64 v[16:17], v[40:41], v[12:13], -v[16:17]
	v_fmac_f64_e32 v[18:19], v[42:43], v[12:13]
	v_add_f64 v[56:57], v[56:57], v[16:17]
	v_add_f64 v[58:59], v[18:19], v[58:59]
	ds_read_b128 v[16:19], v30 offset:768
	s_waitcnt lgkmcnt(0)
	v_mul_f64 v[20:21], v[42:43], v[18:19]
	v_mul_f64 v[22:23], v[40:41], v[18:19]
	v_fma_f64 v[20:21], v[40:41], v[16:17], -v[20:21]
	v_fmac_f64_e32 v[22:23], v[42:43], v[16:17]
	v_add_f64 v[38:39], v[38:39], v[20:21]
	v_add_f64 v[36:37], v[22:23], v[36:37]
	ds_read_b128 v[20:23], v31 offset:2064
	s_waitcnt lgkmcnt(0)
	v_mul_f64 v[40:41], v[22:23], v[14:15]
	v_mul_f64 v[14:15], v[20:21], v[14:15]
	v_fmac_f64_e32 v[14:15], v[22:23], v[12:13]
	v_fma_f64 v[40:41], v[20:21], v[12:13], -v[40:41]
	v_add_f64 v[42:43], v[14:15], v[54:55]
	v_mul_f64 v[12:13], v[22:23], v[18:19]
	v_mul_f64 v[14:15], v[20:21], v[18:19]
	v_fma_f64 v[12:13], v[20:21], v[16:17], -v[12:13]
	v_fmac_f64_e32 v[14:15], v[22:23], v[16:17]
	v_add_f64 v[24:25], v[24:25], v[12:13]
	v_add_f64 v[26:27], v[14:15], v[26:27]
	ds_read_b128 v[12:15], v30 offset:1024
	v_add_f64 v[40:41], v[52:53], v[40:41]
	s_waitcnt lgkmcnt(0)
	v_mul_f64 v[16:17], v[46:47], v[14:15]
	v_mul_f64 v[18:19], v[44:45], v[14:15]
	v_fma_f64 v[16:17], v[44:45], v[12:13], -v[16:17]
	v_fmac_f64_e32 v[18:19], v[46:47], v[12:13]
	v_add_f64 v[52:53], v[56:57], v[16:17]
	v_add_f64 v[54:55], v[18:19], v[58:59]
	ds_read_b128 v[16:19], v30 offset:1280
	s_waitcnt lgkmcnt(0)
	v_mul_f64 v[20:21], v[46:47], v[18:19]
	v_mul_f64 v[22:23], v[44:45], v[18:19]
	v_fma_f64 v[20:21], v[44:45], v[16:17], -v[20:21]
	v_fmac_f64_e32 v[22:23], v[46:47], v[16:17]
	v_add_f64 v[38:39], v[38:39], v[20:21]
	v_add_f64 v[36:37], v[22:23], v[36:37]
	ds_read_b128 v[20:23], v31 offset:2080
	s_waitcnt lgkmcnt(0)
	v_mul_f64 v[44:45], v[22:23], v[14:15]
	v_mul_f64 v[14:15], v[20:21], v[14:15]
	v_fmac_f64_e32 v[14:15], v[22:23], v[12:13]
	v_fma_f64 v[44:45], v[20:21], v[12:13], -v[44:45]
	v_add_f64 v[42:43], v[14:15], v[42:43]
	v_mul_f64 v[12:13], v[22:23], v[18:19]
	v_mul_f64 v[14:15], v[20:21], v[18:19]
	v_fma_f64 v[12:13], v[20:21], v[16:17], -v[12:13]
	v_fmac_f64_e32 v[14:15], v[22:23], v[16:17]
	v_add_f64 v[24:25], v[24:25], v[12:13]
	v_add_f64 v[26:27], v[14:15], v[26:27]
	ds_read_b128 v[12:15], v30 offset:1536
	v_add_f64 v[40:41], v[40:41], v[44:45]
	s_waitcnt lgkmcnt(0)
	v_mul_f64 v[16:17], v[50:51], v[14:15]
	v_mul_f64 v[18:19], v[48:49], v[14:15]
	v_fma_f64 v[16:17], v[48:49], v[12:13], -v[16:17]
	v_fmac_f64_e32 v[18:19], v[50:51], v[12:13]
	v_add_f64 v[44:45], v[52:53], v[16:17]
	v_add_f64 v[46:47], v[18:19], v[54:55]
	ds_read_b128 v[16:19], v30 offset:1792
	s_waitcnt lgkmcnt(0)
	v_mul_f64 v[20:21], v[50:51], v[18:19]
	v_mul_f64 v[22:23], v[48:49], v[18:19]
	v_fma_f64 v[20:21], v[48:49], v[16:17], -v[20:21]
	v_fmac_f64_e32 v[22:23], v[50:51], v[16:17]
	v_add_f64 v[38:39], v[38:39], v[20:21]
	v_add_f64 v[36:37], v[22:23], v[36:37]
	ds_read_b128 v[20:23], v31 offset:2096
	s_waitcnt lgkmcnt(0)
	v_mul_f64 v[48:49], v[22:23], v[14:15]
	v_mul_f64 v[14:15], v[20:21], v[14:15]
	v_fmac_f64_e32 v[14:15], v[22:23], v[12:13]
	v_fma_f64 v[48:49], v[20:21], v[12:13], -v[48:49]
	v_add_f64 v[42:43], v[14:15], v[42:43]
	v_mul_f64 v[12:13], v[22:23], v[18:19]
	v_mul_f64 v[14:15], v[20:21], v[18:19]
	v_fma_f64 v[12:13], v[20:21], v[16:17], -v[12:13]
	v_fmac_f64_e32 v[14:15], v[22:23], v[16:17]
	v_add_f64 v[24:25], v[24:25], v[12:13]
	v_add_f64 v[26:27], v[14:15], v[26:27]
	ds_read_b128 v[12:15], v31 offset:64
	ds_read_b128 v[16:19], v30 offset:2048
	v_add_f64 v[40:41], v[40:41], v[48:49]
	s_waitcnt lgkmcnt(0)
	v_mul_f64 v[20:21], v[14:15], v[18:19]
	v_mul_f64 v[22:23], v[12:13], v[18:19]
	v_fma_f64 v[20:21], v[12:13], v[16:17], -v[20:21]
	v_fmac_f64_e32 v[22:23], v[14:15], v[16:17]
	v_add_f64 v[44:45], v[44:45], v[20:21]
	v_add_f64 v[46:47], v[22:23], v[46:47]
	ds_read_b128 v[20:23], v30 offset:2304
	s_waitcnt lgkmcnt(0)
	v_mul_f64 v[48:49], v[14:15], v[22:23]
	v_fma_f64 v[48:49], v[12:13], v[20:21], -v[48:49]
	v_mul_f64 v[12:13], v[12:13], v[22:23]
	v_fmac_f64_e32 v[12:13], v[14:15], v[20:21]
	v_add_f64 v[36:37], v[12:13], v[36:37]
	ds_read_b128 v[12:15], v31 offset:2112
	v_add_f64 v[38:39], v[38:39], v[48:49]
	s_waitcnt lgkmcnt(0)
	v_mul_f64 v[48:49], v[14:15], v[18:19]
	v_mul_f64 v[18:19], v[12:13], v[18:19]
	v_fma_f64 v[48:49], v[12:13], v[16:17], -v[48:49]
	v_fmac_f64_e32 v[18:19], v[14:15], v[16:17]
	v_mul_f64 v[16:17], v[14:15], v[22:23]
	v_fma_f64 v[16:17], v[12:13], v[20:21], -v[16:17]
	v_mul_f64 v[12:13], v[12:13], v[22:23]
	v_fmac_f64_e32 v[12:13], v[14:15], v[20:21]
	v_add_f64 v[42:43], v[18:19], v[42:43]
	v_add_f64 v[24:25], v[24:25], v[16:17]
	v_add_f64 v[26:27], v[12:13], v[26:27]
	ds_read_b128 v[12:15], v31 offset:80
	ds_read_b128 v[16:19], v30 offset:2560
	v_add_f64 v[40:41], v[40:41], v[48:49]
	s_waitcnt lgkmcnt(0)
	v_mul_f64 v[20:21], v[14:15], v[18:19]
	v_mul_f64 v[22:23], v[12:13], v[18:19]
	v_fma_f64 v[20:21], v[12:13], v[16:17], -v[20:21]
	v_fmac_f64_e32 v[22:23], v[14:15], v[16:17]
	v_add_f64 v[44:45], v[44:45], v[20:21]
	v_add_f64 v[46:47], v[22:23], v[46:47]
	ds_read_b128 v[20:23], v30 offset:2816
	s_waitcnt lgkmcnt(0)
	v_mul_f64 v[48:49], v[14:15], v[22:23]
	v_fma_f64 v[48:49], v[12:13], v[20:21], -v[48:49]
	v_mul_f64 v[12:13], v[12:13], v[22:23]
	v_fmac_f64_e32 v[12:13], v[14:15], v[20:21]
	v_add_f64 v[36:37], v[12:13], v[36:37]
	ds_read_b128 v[12:15], v31 offset:2128
	v_add_f64 v[38:39], v[38:39], v[48:49]
	s_waitcnt lgkmcnt(0)
	v_mul_f64 v[48:49], v[14:15], v[18:19]
	v_mul_f64 v[18:19], v[12:13], v[18:19]
	v_fma_f64 v[48:49], v[12:13], v[16:17], -v[48:49]
	v_fmac_f64_e32 v[18:19], v[14:15], v[16:17]
	v_mul_f64 v[16:17], v[14:15], v[22:23]
	v_fma_f64 v[16:17], v[12:13], v[20:21], -v[16:17]
	v_mul_f64 v[12:13], v[12:13], v[22:23]
	v_fmac_f64_e32 v[12:13], v[14:15], v[20:21]
	v_add_f64 v[42:43], v[18:19], v[42:43]
	;; [unrolled: 31-line block ×3, first 2 shown]
	ds_read_b128 v[12:15], v31 offset:112
	ds_read_b128 v[20:23], v30 offset:3584
	v_add_f64 v[40:41], v[40:41], v[36:37]
	ds_read_b128 v[36:39], v30 offset:3840
	v_add_f64 v[52:53], v[24:25], v[16:17]
	v_add_f64 v[42:43], v[18:19], v[42:43]
	s_waitcnt lgkmcnt(1)
	v_mul_f64 v[16:17], v[14:15], v[22:23]
	v_fma_f64 v[16:17], v[12:13], v[20:21], -v[16:17]
	v_add_f64 v[24:25], v[44:45], v[16:17]
	s_waitcnt lgkmcnt(0)
	v_mul_f64 v[16:17], v[14:15], v[38:39]
	v_mul_f64 v[18:19], v[12:13], v[22:23]
	v_fma_f64 v[16:17], v[12:13], v[36:37], -v[16:17]
	v_mul_f64 v[12:13], v[12:13], v[38:39]
	v_fmac_f64_e32 v[18:19], v[14:15], v[20:21]
	v_fmac_f64_e32 v[12:13], v[14:15], v[36:37]
	v_add_f64 v[26:27], v[18:19], v[46:47]
	v_add_f64 v[18:19], v[12:13], v[50:51]
	ds_read_b128 v[12:15], v31 offset:2160
	v_add_f64 v[16:17], v[48:49], v[16:17]
	s_waitcnt lgkmcnt(0)
	s_barrier
	v_mul_f64 v[44:45], v[14:15], v[22:23]
	v_fma_f64 v[44:45], v[12:13], v[20:21], -v[44:45]
	v_mul_f64 v[22:23], v[12:13], v[22:23]
	v_fmac_f64_e32 v[22:23], v[14:15], v[20:21]
	v_add_f64 v[20:21], v[40:41], v[44:45]
	v_mul_f64 v[40:41], v[14:15], v[38:39]
	v_fma_f64 v[40:41], v[12:13], v[36:37], -v[40:41]
	v_mul_f64 v[12:13], v[12:13], v[38:39]
	v_fmac_f64_e32 v[12:13], v[14:15], v[36:37]
	v_mov_b64_e32 v[36:37], s[14:15]
	v_cmp_gt_i64_e32 vcc, s[8:9], v[36:37]
	v_add_f64 v[22:23], v[22:23], v[42:43]
	v_add_f64 v[14:15], v[52:53], v[40:41]
	;; [unrolled: 1-line block ×3, first 2 shown]
	s_cbranch_vccz .LBB270_18
.LBB270_8:                              ; =>This Inner Loop Header: Depth=1
	s_mov_b64 s[24:25], s[2:3]
	s_mov_b64 s[20:21], 0
	s_and_saveexec_b64 s[22:23], s[0:1]
	s_cbranch_execnz .LBB270_16
; %bb.9:                                ;   in Loop: Header=BB270_8 Depth=1
	s_or_b64 exec, exec, s[22:23]
	s_and_saveexec_b64 s[22:23], s[24:25]
	s_xor_b64 s[22:23], exec, s[22:23]
	s_cbranch_execnz .LBB270_17
.LBB270_10:                             ;   in Loop: Header=BB270_8 Depth=1
	s_or_b64 exec, exec, s[22:23]
	s_and_saveexec_b64 s[22:23], s[20:21]
	s_cbranch_execz .LBB270_12
.LBB270_11:                             ;   in Loop: Header=BB270_8 Depth=1
	v_mul_lo_u32 v8, s17, v10
	v_mul_lo_u32 v38, s16, v11
	v_mad_u64_u32 v[36:37], s[20:21], s16, v10, 0
	v_add3_u32 v37, v37, v38, v8
	v_lshl_add_u64 v[36:37], v[36:37], 4, v[4:5]
	global_load_dwordx4 v[36:39], v[36:37], off
	s_waitcnt vmcnt(0)
	ds_write2_b64 v28, v[36:37], v[38:39] offset1:1
.LBB270_12:                             ;   in Loop: Header=BB270_8 Depth=1
	s_or_b64 exec, exec, s[22:23]
	v_add_u32_e32 v8, s14, v0
	v_cmp_le_u64_e32 vcc, s[8:9], v[8:9]
	s_or_b64 s[20:21], vcc, s[18:19]
	s_and_saveexec_b64 s[22:23], s[20:21]
	s_xor_b64 s[20:21], exec, s[22:23]
; %bb.13:                               ;   in Loop: Header=BB270_8 Depth=1
	ds_write_b128 v29, v[32:35]
; %bb.14:                               ;   in Loop: Header=BB270_8 Depth=1
	s_andn2_saveexec_b64 s[20:21], s[20:21]
	s_cbranch_execz .LBB270_7
; %bb.15:                               ;   in Loop: Header=BB270_8 Depth=1
	v_lshl_add_u64 v[36:37], v[8:9], 4, v[6:7]
	global_load_dwordx4 v[36:39], v[36:37], off
	s_waitcnt vmcnt(0)
	ds_write2_b64 v29, v[36:37], v[38:39] offset1:1
	s_branch .LBB270_7
.LBB270_16:                             ;   in Loop: Header=BB270_8 Depth=1
	v_add_u32_e32 v8, s14, v2
	v_cmp_le_u64_e32 vcc, s[8:9], v[8:9]
	s_andn2_b64 s[24:25], s[2:3], exec
	s_and_b64 s[40:41], vcc, exec
	s_mov_b64 s[20:21], exec
	s_or_b64 s[24:25], s[24:25], s[40:41]
	v_mov_b64_e32 v[10:11], v[8:9]
	s_or_b64 exec, exec, s[22:23]
	s_and_saveexec_b64 s[22:23], s[24:25]
	s_xor_b64 s[22:23], exec, s[22:23]
	s_cbranch_execz .LBB270_10
.LBB270_17:                             ;   in Loop: Header=BB270_8 Depth=1
	ds_write_b128 v28, v[32:35]
	s_andn2_b64 s[20:21], s[20:21], exec
	s_or_b64 exec, exec, s[22:23]
	s_and_saveexec_b64 s[22:23], s[20:21]
	s_cbranch_execnz .LBB270_11
	s_branch .LBB270_12
.LBB270_18:
	s_waitcnt lgkmcnt(0)
	s_mul_i32 s0, s39, s4
	s_mul_hi_u32 s1, s38, s4
	s_add_i32 s1, s1, s0
	s_mul_i32 s0, s38, s4
	s_lshl_b64 s[0:1], s[0:1], 4
	v_add_u32_e32 v10, s35, v3
	s_add_u32 s4, s30, s0
	v_ashrrev_i32_e32 v0, 31, v10
	s_addc_u32 s5, s31, s1
	v_add_u32_e32 v4, s34, v1
	v_cmp_neq_f64_e64 s[0:1], s[26:27], 0
	s_xor_b64 s[6:7], s[6:7], -1
	v_mul_lo_u32 v2, s36, v0
	v_mul_lo_u32 v3, s37, v10
	v_mad_u64_u32 v[0:1], s[8:9], s36, v10, 0
	v_add3_u32 v1, v1, v2, v3
	s_or_b64 s[0:1], s[0:1], s[6:7]
	v_cmp_gt_i32_e64 s[2:3], s33, v10
	v_lshl_add_u64 v[8:9], v[0:1], 4, s[4:5]
	v_cmp_le_i32_e32 vcc, v4, v10
	v_cndmask_b32_e64 v0, 0, 1, s[0:1]
	s_and_b64 s[8:9], s[2:3], vcc
	v_ashrrev_i32_e32 v5, 31, v4
	v_cmp_ne_u32_e64 s[0:1], 1, v0
	s_and_saveexec_b64 s[6:7], s[8:9]
	s_cbranch_execz .LBB270_22
; %bb.19:
	v_mul_f64 v[0:1], s[12:13], v[26:27]
	v_mul_f64 v[2:3], s[10:11], v[26:27]
	v_fma_f64 v[0:1], s[10:11], v[24:25], -v[0:1]
	v_fmac_f64_e32 v[2:3], s[12:13], v[24:25]
	s_and_b64 vcc, exec, s[0:1]
	v_lshl_add_u64 v[6:7], v[4:5], 4, v[8:9]
	s_cbranch_vccnz .LBB270_21
; %bb.20:
	global_load_dwordx4 v[24:27], v[6:7], off
	s_waitcnt vmcnt(0)
	v_mul_f64 v[28:29], s[28:29], v[26:27]
	v_mul_f64 v[26:27], s[26:27], v[26:27]
	v_fma_f64 v[28:29], s[26:27], v[24:25], -v[28:29]
	v_fmac_f64_e32 v[26:27], s[28:29], v[24:25]
	v_add_f64 v[0:1], v[0:1], v[28:29]
	v_add_f64 v[2:3], v[2:3], v[26:27]
.LBB270_21:
	global_store_dwordx4 v[6:7], v[0:3], off
.LBB270_22:
	s_or_b64 exec, exec, s[6:7]
	v_add_u32_e32 v6, 16, v4
	v_cmp_le_i32_e32 vcc, v6, v10
	s_and_b64 s[6:7], s[2:3], vcc
	v_ashrrev_i32_e32 v7, 31, v6
	s_and_saveexec_b64 s[2:3], s[6:7]
	s_cbranch_execz .LBB270_26
; %bb.23:
	v_mul_f64 v[0:1], s[12:13], v[18:19]
	v_mul_f64 v[2:3], s[10:11], v[18:19]
	v_fma_f64 v[0:1], s[10:11], v[16:17], -v[0:1]
	v_fmac_f64_e32 v[2:3], s[12:13], v[16:17]
	s_and_b64 vcc, exec, s[0:1]
	v_lshl_add_u64 v[8:9], v[6:7], 4, v[8:9]
	s_cbranch_vccnz .LBB270_25
; %bb.24:
	global_load_dwordx4 v[16:19], v[8:9], off
	s_waitcnt vmcnt(0)
	v_mul_f64 v[24:25], s[28:29], v[18:19]
	v_mul_f64 v[18:19], s[26:27], v[18:19]
	v_fma_f64 v[24:25], s[26:27], v[16:17], -v[24:25]
	v_fmac_f64_e32 v[18:19], s[28:29], v[16:17]
	v_add_f64 v[0:1], v[0:1], v[24:25]
	v_add_f64 v[2:3], v[2:3], v[18:19]
.LBB270_25:
	global_store_dwordx4 v[8:9], v[0:3], off
.LBB270_26:
	s_or_b64 exec, exec, s[2:3]
	v_add_u32_e32 v10, 16, v10
	v_ashrrev_i32_e32 v0, 31, v10
	v_mul_lo_u32 v2, s36, v0
	v_mul_lo_u32 v3, s37, v10
	v_mad_u64_u32 v[0:1], s[6:7], s36, v10, 0
	v_cmp_gt_i32_e64 s[2:3], s33, v10
	v_add3_u32 v1, v1, v2, v3
	v_cmp_le_i32_e32 vcc, v4, v10
	v_lshl_add_u64 v[8:9], v[0:1], 4, s[4:5]
	s_and_b64 s[6:7], s[2:3], vcc
	s_and_saveexec_b64 s[4:5], s[6:7]
	s_cbranch_execz .LBB270_30
; %bb.27:
	v_mul_f64 v[0:1], s[12:13], v[22:23]
	v_mul_f64 v[2:3], s[10:11], v[22:23]
	v_fma_f64 v[0:1], s[10:11], v[20:21], -v[0:1]
	v_fmac_f64_e32 v[2:3], s[12:13], v[20:21]
	s_and_b64 vcc, exec, s[0:1]
	v_lshl_add_u64 v[4:5], v[4:5], 4, v[8:9]
	s_cbranch_vccnz .LBB270_29
; %bb.28:
	global_load_dwordx4 v[16:19], v[4:5], off
	s_waitcnt vmcnt(0)
	v_mul_f64 v[20:21], s[28:29], v[18:19]
	v_mul_f64 v[18:19], s[26:27], v[18:19]
	v_fma_f64 v[20:21], s[26:27], v[16:17], -v[20:21]
	v_fmac_f64_e32 v[18:19], s[28:29], v[16:17]
	v_add_f64 v[0:1], v[0:1], v[20:21]
	v_add_f64 v[2:3], v[2:3], v[18:19]
.LBB270_29:
	global_store_dwordx4 v[4:5], v[0:3], off
.LBB270_30:
	s_or_b64 exec, exec, s[4:5]
	v_cmp_le_i32_e32 vcc, v6, v10
	s_and_b64 s[2:3], s[2:3], vcc
	s_and_saveexec_b64 s[4:5], s[2:3]
	s_cbranch_execz .LBB270_34
; %bb.31:
	v_mul_f64 v[0:1], s[12:13], v[12:13]
	v_mul_f64 v[2:3], s[10:11], v[12:13]
	v_fma_f64 v[0:1], s[10:11], v[14:15], -v[0:1]
	v_fmac_f64_e32 v[2:3], s[12:13], v[14:15]
	s_and_b64 vcc, exec, s[0:1]
	v_lshl_add_u64 v[4:5], v[6:7], 4, v[8:9]
	s_cbranch_vccnz .LBB270_33
; %bb.32:
	global_load_dwordx4 v[6:9], v[4:5], off
	s_waitcnt vmcnt(0)
	v_mul_f64 v[10:11], s[28:29], v[8:9]
	v_mul_f64 v[8:9], s[26:27], v[8:9]
	v_fma_f64 v[10:11], s[26:27], v[6:7], -v[10:11]
	v_fmac_f64_e32 v[8:9], s[28:29], v[6:7]
	v_add_f64 v[0:1], v[0:1], v[10:11]
	v_add_f64 v[2:3], v[2:3], v[8:9]
.LBB270_33:
	global_store_dwordx4 v[4:5], v[0:3], off
.LBB270_34:
	s_endpgm
	.section	.rodata,"a",@progbits
	.p2align	6, 0x0
	.amdhsa_kernel _ZL29rocblas_internal_gemmt_kernelIlLi16ELi32ELi8ELc78ELc78ELc85ELb0ELb0E19rocblas_complex_numIdES1_PKS1_PS1_EviT_T9_T10_S5_lS7_S5_lS6_T11_S5_li
		.amdhsa_group_segment_fixed_size 8192
		.amdhsa_private_segment_fixed_size 0
		.amdhsa_kernarg_size 124
		.amdhsa_user_sgpr_count 2
		.amdhsa_user_sgpr_dispatch_ptr 0
		.amdhsa_user_sgpr_queue_ptr 0
		.amdhsa_user_sgpr_kernarg_segment_ptr 1
		.amdhsa_user_sgpr_dispatch_id 0
		.amdhsa_user_sgpr_kernarg_preload_length 0
		.amdhsa_user_sgpr_kernarg_preload_offset 0
		.amdhsa_user_sgpr_private_segment_size 0
		.amdhsa_uses_dynamic_stack 0
		.amdhsa_enable_private_segment 0
		.amdhsa_system_sgpr_workgroup_id_x 1
		.amdhsa_system_sgpr_workgroup_id_y 1
		.amdhsa_system_sgpr_workgroup_id_z 1
		.amdhsa_system_sgpr_workgroup_info 0
		.amdhsa_system_vgpr_workitem_id 1
		.amdhsa_next_free_vgpr 62
		.amdhsa_next_free_sgpr 42
		.amdhsa_accum_offset 64
		.amdhsa_reserve_vcc 1
		.amdhsa_float_round_mode_32 0
		.amdhsa_float_round_mode_16_64 0
		.amdhsa_float_denorm_mode_32 3
		.amdhsa_float_denorm_mode_16_64 3
		.amdhsa_dx10_clamp 1
		.amdhsa_ieee_mode 1
		.amdhsa_fp16_overflow 0
		.amdhsa_tg_split 0
		.amdhsa_exception_fp_ieee_invalid_op 0
		.amdhsa_exception_fp_denorm_src 0
		.amdhsa_exception_fp_ieee_div_zero 0
		.amdhsa_exception_fp_ieee_overflow 0
		.amdhsa_exception_fp_ieee_underflow 0
		.amdhsa_exception_fp_ieee_inexact 0
		.amdhsa_exception_int_div_zero 0
	.end_amdhsa_kernel
	.section	.text._ZL29rocblas_internal_gemmt_kernelIlLi16ELi32ELi8ELc78ELc78ELc85ELb0ELb0E19rocblas_complex_numIdES1_PKS1_PS1_EviT_T9_T10_S5_lS7_S5_lS6_T11_S5_li,"axG",@progbits,_ZL29rocblas_internal_gemmt_kernelIlLi16ELi32ELi8ELc78ELc78ELc85ELb0ELb0E19rocblas_complex_numIdES1_PKS1_PS1_EviT_T9_T10_S5_lS7_S5_lS6_T11_S5_li,comdat
.Lfunc_end270:
	.size	_ZL29rocblas_internal_gemmt_kernelIlLi16ELi32ELi8ELc78ELc78ELc85ELb0ELb0E19rocblas_complex_numIdES1_PKS1_PS1_EviT_T9_T10_S5_lS7_S5_lS6_T11_S5_li, .Lfunc_end270-_ZL29rocblas_internal_gemmt_kernelIlLi16ELi32ELi8ELc78ELc78ELc85ELb0ELb0E19rocblas_complex_numIdES1_PKS1_PS1_EviT_T9_T10_S5_lS7_S5_lS6_T11_S5_li
                                        ; -- End function
	.set _ZL29rocblas_internal_gemmt_kernelIlLi16ELi32ELi8ELc78ELc78ELc85ELb0ELb0E19rocblas_complex_numIdES1_PKS1_PS1_EviT_T9_T10_S5_lS7_S5_lS6_T11_S5_li.num_vgpr, 62
	.set _ZL29rocblas_internal_gemmt_kernelIlLi16ELi32ELi8ELc78ELc78ELc85ELb0ELb0E19rocblas_complex_numIdES1_PKS1_PS1_EviT_T9_T10_S5_lS7_S5_lS6_T11_S5_li.num_agpr, 0
	.set _ZL29rocblas_internal_gemmt_kernelIlLi16ELi32ELi8ELc78ELc78ELc85ELb0ELb0E19rocblas_complex_numIdES1_PKS1_PS1_EviT_T9_T10_S5_lS7_S5_lS6_T11_S5_li.numbered_sgpr, 42
	.set _ZL29rocblas_internal_gemmt_kernelIlLi16ELi32ELi8ELc78ELc78ELc85ELb0ELb0E19rocblas_complex_numIdES1_PKS1_PS1_EviT_T9_T10_S5_lS7_S5_lS6_T11_S5_li.num_named_barrier, 0
	.set _ZL29rocblas_internal_gemmt_kernelIlLi16ELi32ELi8ELc78ELc78ELc85ELb0ELb0E19rocblas_complex_numIdES1_PKS1_PS1_EviT_T9_T10_S5_lS7_S5_lS6_T11_S5_li.private_seg_size, 0
	.set _ZL29rocblas_internal_gemmt_kernelIlLi16ELi32ELi8ELc78ELc78ELc85ELb0ELb0E19rocblas_complex_numIdES1_PKS1_PS1_EviT_T9_T10_S5_lS7_S5_lS6_T11_S5_li.uses_vcc, 1
	.set _ZL29rocblas_internal_gemmt_kernelIlLi16ELi32ELi8ELc78ELc78ELc85ELb0ELb0E19rocblas_complex_numIdES1_PKS1_PS1_EviT_T9_T10_S5_lS7_S5_lS6_T11_S5_li.uses_flat_scratch, 0
	.set _ZL29rocblas_internal_gemmt_kernelIlLi16ELi32ELi8ELc78ELc78ELc85ELb0ELb0E19rocblas_complex_numIdES1_PKS1_PS1_EviT_T9_T10_S5_lS7_S5_lS6_T11_S5_li.has_dyn_sized_stack, 0
	.set _ZL29rocblas_internal_gemmt_kernelIlLi16ELi32ELi8ELc78ELc78ELc85ELb0ELb0E19rocblas_complex_numIdES1_PKS1_PS1_EviT_T9_T10_S5_lS7_S5_lS6_T11_S5_li.has_recursion, 0
	.set _ZL29rocblas_internal_gemmt_kernelIlLi16ELi32ELi8ELc78ELc78ELc85ELb0ELb0E19rocblas_complex_numIdES1_PKS1_PS1_EviT_T9_T10_S5_lS7_S5_lS6_T11_S5_li.has_indirect_call, 0
	.section	.AMDGPU.csdata,"",@progbits
; Kernel info:
; codeLenInByte = 3240
; TotalNumSgprs: 48
; NumVgprs: 62
; NumAgprs: 0
; TotalNumVgprs: 62
; ScratchSize: 0
; MemoryBound: 0
; FloatMode: 240
; IeeeMode: 1
; LDSByteSize: 8192 bytes/workgroup (compile time only)
; SGPRBlocks: 5
; VGPRBlocks: 7
; NumSGPRsForWavesPerEU: 48
; NumVGPRsForWavesPerEU: 62
; AccumOffset: 64
; Occupancy: 8
; WaveLimiterHint : 0
; COMPUTE_PGM_RSRC2:SCRATCH_EN: 0
; COMPUTE_PGM_RSRC2:USER_SGPR: 2
; COMPUTE_PGM_RSRC2:TRAP_HANDLER: 0
; COMPUTE_PGM_RSRC2:TGID_X_EN: 1
; COMPUTE_PGM_RSRC2:TGID_Y_EN: 1
; COMPUTE_PGM_RSRC2:TGID_Z_EN: 1
; COMPUTE_PGM_RSRC2:TIDIG_COMP_CNT: 1
; COMPUTE_PGM_RSRC3_GFX90A:ACCUM_OFFSET: 15
; COMPUTE_PGM_RSRC3_GFX90A:TG_SPLIT: 0
	.section	.text._ZL29rocblas_internal_gemmt_kernelIlLi16ELi32ELi8ELc78ELc84ELc85ELb0ELb0E19rocblas_complex_numIdES1_PKS1_PS1_EviT_T9_T10_S5_lS7_S5_lS6_T11_S5_li,"axG",@progbits,_ZL29rocblas_internal_gemmt_kernelIlLi16ELi32ELi8ELc78ELc84ELc85ELb0ELb0E19rocblas_complex_numIdES1_PKS1_PS1_EviT_T9_T10_S5_lS7_S5_lS6_T11_S5_li,comdat
	.globl	_ZL29rocblas_internal_gemmt_kernelIlLi16ELi32ELi8ELc78ELc84ELc85ELb0ELb0E19rocblas_complex_numIdES1_PKS1_PS1_EviT_T9_T10_S5_lS7_S5_lS6_T11_S5_li ; -- Begin function _ZL29rocblas_internal_gemmt_kernelIlLi16ELi32ELi8ELc78ELc84ELc85ELb0ELb0E19rocblas_complex_numIdES1_PKS1_PS1_EviT_T9_T10_S5_lS7_S5_lS6_T11_S5_li
	.p2align	8
	.type	_ZL29rocblas_internal_gemmt_kernelIlLi16ELi32ELi8ELc78ELc84ELc85ELb0ELb0E19rocblas_complex_numIdES1_PKS1_PS1_EviT_T9_T10_S5_lS7_S5_lS6_T11_S5_li,@function
_ZL29rocblas_internal_gemmt_kernelIlLi16ELi32ELi8ELc78ELc84ELc85ELb0ELb0E19rocblas_complex_numIdES1_PKS1_PS1_EviT_T9_T10_S5_lS7_S5_lS6_T11_S5_li: ; @_ZL29rocblas_internal_gemmt_kernelIlLi16ELi32ELi8ELc78ELc84ELc85ELb0ELb0E19rocblas_complex_numIdES1_PKS1_PS1_EviT_T9_T10_S5_lS7_S5_lS6_T11_S5_li
; %bb.0:
	s_load_dwordx8 s[24:31], s[0:1], 0x48
	s_load_dwordx16 s[8:23], s[0:1], 0x8
	s_mov_b64 s[34:35], 0
	s_waitcnt lgkmcnt(0)
	v_cmp_eq_f64_e64 s[36:37], s[26:27], 1.0
	v_cmp_eq_f64_e64 s[6:7], s[28:29], 0
	s_and_b64 s[36:37], s[36:37], s[6:7]
	s_andn2_b64 vcc, exec, s[36:37]
	s_mov_b64 s[36:37], -1
	s_cbranch_vccnz .LBB271_4
; %bb.1:
	s_cmp_lg_u64 s[8:9], 0
	s_cbranch_scc0 .LBB271_3
; %bb.2:
	v_cmp_neq_f64_e64 s[34:35], s[10:11], 0
	v_cmp_neq_f64_e64 s[36:37], s[12:13], 0
	s_or_b64 s[34:35], s[34:35], s[36:37]
.LBB271_3:
	s_mov_b64 s[36:37], s[34:35]
.LBB271_4:
	s_and_b64 vcc, exec, s[36:37]
	s_cbranch_vccz .LBB271_34
; %bb.5:
	s_load_dwordx4 s[36:39], s[0:1], 0x68
	s_load_dword s33, s[0:1], 0x0
	s_lshl_b32 s40, s2, 5
	s_lshl_b32 s41, s3, 5
	v_cmp_eq_f64_e64 s[0:1], s[10:11], 0
	v_cmp_eq_f64_e64 s[2:3], s[12:13], 0
	s_and_b64 s[0:1], s[0:1], s[2:3]
	v_cmp_lt_i64_e64 s[2:3], s[8:9], 1
	s_or_b64 s[0:1], s[0:1], s[2:3]
	v_and_b32_e32 v1, 0x3ff, v0
	v_bfe_u32 v3, v0, 10, 10
	v_mov_b64_e32 v[24:25], 0
	s_and_b64 vcc, exec, s[0:1]
	v_mov_b64_e32 v[26:27], 0
	v_mov_b64_e32 v[16:17], 0
	;; [unrolled: 1-line block ×7, first 2 shown]
	s_cbranch_vccnz .LBB271_18
; %bb.6:
	s_mul_i32 s0, s25, s4
	s_mul_hi_u32 s1, s24, s4
	s_add_i32 s1, s1, s0
	s_mul_i32 s0, s24, s4
	s_lshl_b64 s[0:1], s[0:1], 4
	s_add_u32 s20, s20, s0
	s_addc_u32 s21, s21, s1
	s_mul_i32 s0, s19, s4
	s_mul_hi_u32 s1, s18, s4
	v_lshl_add_u32 v4, v3, 4, v1
	v_and_b32_e32 v0, 7, v1
	s_add_i32 s1, s1, s0
	s_mul_i32 s0, s18, s4
	v_lshrrev_b32_e32 v7, 3, v4
	v_and_b32_e32 v5, 31, v4
	s_lshl_b64 s[0:1], s[0:1], 4
	v_lshlrev_b32_e32 v8, 4, v0
	v_lshrrev_b32_e32 v2, 5, v4
	v_add_u32_e32 v6, s41, v7
	v_or_b32_e32 v4, s40, v5
	s_add_u32 s14, s14, s0
	v_lshlrev_b32_e32 v5, 4, v5
	v_lshl_or_b32 v7, v7, 7, v8
	s_addc_u32 s15, s15, s1
	v_lshl_or_b32 v28, v2, 9, v5
	v_ashrrev_i32_e32 v5, 31, v4
	s_waitcnt lgkmcnt(0)
	v_cmp_gt_i32_e32 vcc, s33, v6
	v_add_u32_e32 v29, 0x1000, v7
	v_ashrrev_i32_e32 v7, 31, v6
	v_mov_b32_e32 v8, 0x1000
	v_mov_b32_e32 v9, 0
	v_cmp_gt_i32_e64 s[0:1], s33, v4
	v_cmp_le_i32_e64 s[2:3], s33, v4
	v_lshl_add_u64 v[4:5], v[4:5], 4, s[14:15]
	v_lshl_add_u64 v[6:7], v[6:7], 4, s[20:21]
	v_lshlrev_b32_e32 v30, 4, v1
	v_lshl_add_u32 v31, v3, 7, v8
	v_mov_b64_e32 v[12:13], 0
	s_mov_b64 s[14:15], 0
	s_xor_b64 s[18:19], vcc, -1
	v_mov_b32_e32 v32, v9
	v_mov_b32_e32 v33, v9
	;; [unrolled: 1-line block ×4, first 2 shown]
	v_mov_b64_e32 v[14:15], 0
	v_mov_b64_e32 v[22:23], 0
	;; [unrolled: 1-line block ×7, first 2 shown]
                                        ; implicit-def: $vgpr10_vgpr11
	s_branch .LBB271_8
.LBB271_7:                              ;   in Loop: Header=BB271_8 Depth=1
	s_or_b64 exec, exec, s[20:21]
	s_waitcnt lgkmcnt(0)
	s_barrier
	ds_read_b128 v[36:39], v31
	ds_read_b128 v[40:43], v31 offset:16
	ds_read_b128 v[44:47], v31 offset:32
	;; [unrolled: 1-line block ×3, first 2 shown]
	ds_read_b128 v[52:55], v30
	s_add_u32 s14, s14, 8
	s_addc_u32 s15, s15, 0
	s_waitcnt lgkmcnt(0)
	v_mul_f64 v[56:57], v[38:39], v[54:55]
	v_mul_f64 v[58:59], v[36:37], v[54:55]
	v_fma_f64 v[56:57], v[36:37], v[52:53], -v[56:57]
	v_fmac_f64_e32 v[58:59], v[38:39], v[52:53]
	v_add_f64 v[56:57], v[24:25], v[56:57]
	v_add_f64 v[58:59], v[58:59], v[26:27]
	ds_read_b128 v[24:27], v30 offset:256
	s_waitcnt lgkmcnt(0)
	v_mul_f64 v[60:61], v[38:39], v[26:27]
	v_fma_f64 v[60:61], v[36:37], v[24:25], -v[60:61]
	v_mul_f64 v[36:37], v[36:37], v[26:27]
	v_fmac_f64_e32 v[36:37], v[38:39], v[24:25]
	v_add_f64 v[38:39], v[16:17], v[60:61]
	v_add_f64 v[36:37], v[36:37], v[18:19]
	ds_read_b128 v[16:19], v31 offset:2048
	s_waitcnt lgkmcnt(0)
	v_mul_f64 v[60:61], v[18:19], v[54:55]
	v_fma_f64 v[60:61], v[16:17], v[52:53], -v[60:61]
	v_mul_f64 v[54:55], v[16:17], v[54:55]
	v_fmac_f64_e32 v[54:55], v[18:19], v[52:53]
	v_add_f64 v[52:53], v[20:21], v[60:61]
	v_mul_f64 v[20:21], v[18:19], v[26:27]
	v_fma_f64 v[20:21], v[16:17], v[24:25], -v[20:21]
	v_mul_f64 v[16:17], v[16:17], v[26:27]
	v_fmac_f64_e32 v[16:17], v[18:19], v[24:25]
	v_add_f64 v[24:25], v[14:15], v[20:21]
	v_add_f64 v[26:27], v[16:17], v[12:13]
	ds_read_b128 v[12:15], v30 offset:512
	v_add_f64 v[54:55], v[54:55], v[22:23]
	s_waitcnt lgkmcnt(0)
	v_mul_f64 v[16:17], v[42:43], v[14:15]
	v_mul_f64 v[18:19], v[40:41], v[14:15]
	v_fma_f64 v[16:17], v[40:41], v[12:13], -v[16:17]
	v_fmac_f64_e32 v[18:19], v[42:43], v[12:13]
	v_add_f64 v[56:57], v[56:57], v[16:17]
	v_add_f64 v[58:59], v[18:19], v[58:59]
	ds_read_b128 v[16:19], v30 offset:768
	s_waitcnt lgkmcnt(0)
	v_mul_f64 v[20:21], v[42:43], v[18:19]
	v_mul_f64 v[22:23], v[40:41], v[18:19]
	v_fma_f64 v[20:21], v[40:41], v[16:17], -v[20:21]
	v_fmac_f64_e32 v[22:23], v[42:43], v[16:17]
	v_add_f64 v[38:39], v[38:39], v[20:21]
	v_add_f64 v[36:37], v[22:23], v[36:37]
	ds_read_b128 v[20:23], v31 offset:2064
	s_waitcnt lgkmcnt(0)
	v_mul_f64 v[40:41], v[22:23], v[14:15]
	v_mul_f64 v[14:15], v[20:21], v[14:15]
	v_fmac_f64_e32 v[14:15], v[22:23], v[12:13]
	v_fma_f64 v[40:41], v[20:21], v[12:13], -v[40:41]
	v_add_f64 v[42:43], v[14:15], v[54:55]
	v_mul_f64 v[12:13], v[22:23], v[18:19]
	v_mul_f64 v[14:15], v[20:21], v[18:19]
	v_fma_f64 v[12:13], v[20:21], v[16:17], -v[12:13]
	v_fmac_f64_e32 v[14:15], v[22:23], v[16:17]
	v_add_f64 v[24:25], v[24:25], v[12:13]
	v_add_f64 v[26:27], v[14:15], v[26:27]
	ds_read_b128 v[12:15], v30 offset:1024
	v_add_f64 v[40:41], v[52:53], v[40:41]
	s_waitcnt lgkmcnt(0)
	v_mul_f64 v[16:17], v[46:47], v[14:15]
	v_mul_f64 v[18:19], v[44:45], v[14:15]
	v_fma_f64 v[16:17], v[44:45], v[12:13], -v[16:17]
	v_fmac_f64_e32 v[18:19], v[46:47], v[12:13]
	v_add_f64 v[52:53], v[56:57], v[16:17]
	v_add_f64 v[54:55], v[18:19], v[58:59]
	ds_read_b128 v[16:19], v30 offset:1280
	s_waitcnt lgkmcnt(0)
	v_mul_f64 v[20:21], v[46:47], v[18:19]
	v_mul_f64 v[22:23], v[44:45], v[18:19]
	v_fma_f64 v[20:21], v[44:45], v[16:17], -v[20:21]
	v_fmac_f64_e32 v[22:23], v[46:47], v[16:17]
	v_add_f64 v[38:39], v[38:39], v[20:21]
	v_add_f64 v[36:37], v[22:23], v[36:37]
	ds_read_b128 v[20:23], v31 offset:2080
	s_waitcnt lgkmcnt(0)
	v_mul_f64 v[44:45], v[22:23], v[14:15]
	v_mul_f64 v[14:15], v[20:21], v[14:15]
	v_fmac_f64_e32 v[14:15], v[22:23], v[12:13]
	v_fma_f64 v[44:45], v[20:21], v[12:13], -v[44:45]
	v_add_f64 v[42:43], v[14:15], v[42:43]
	v_mul_f64 v[12:13], v[22:23], v[18:19]
	v_mul_f64 v[14:15], v[20:21], v[18:19]
	v_fma_f64 v[12:13], v[20:21], v[16:17], -v[12:13]
	;; [unrolled: 30-line block ×3, first 2 shown]
	v_fmac_f64_e32 v[14:15], v[22:23], v[16:17]
	v_add_f64 v[24:25], v[24:25], v[12:13]
	v_add_f64 v[26:27], v[14:15], v[26:27]
	ds_read_b128 v[12:15], v31 offset:64
	ds_read_b128 v[16:19], v30 offset:2048
	v_add_f64 v[40:41], v[40:41], v[48:49]
	s_waitcnt lgkmcnt(0)
	v_mul_f64 v[20:21], v[14:15], v[18:19]
	v_mul_f64 v[22:23], v[12:13], v[18:19]
	v_fma_f64 v[20:21], v[12:13], v[16:17], -v[20:21]
	v_fmac_f64_e32 v[22:23], v[14:15], v[16:17]
	v_add_f64 v[44:45], v[44:45], v[20:21]
	v_add_f64 v[46:47], v[22:23], v[46:47]
	ds_read_b128 v[20:23], v30 offset:2304
	s_waitcnt lgkmcnt(0)
	v_mul_f64 v[48:49], v[14:15], v[22:23]
	v_fma_f64 v[48:49], v[12:13], v[20:21], -v[48:49]
	v_mul_f64 v[12:13], v[12:13], v[22:23]
	v_fmac_f64_e32 v[12:13], v[14:15], v[20:21]
	v_add_f64 v[36:37], v[12:13], v[36:37]
	ds_read_b128 v[12:15], v31 offset:2112
	v_add_f64 v[38:39], v[38:39], v[48:49]
	s_waitcnt lgkmcnt(0)
	v_mul_f64 v[48:49], v[14:15], v[18:19]
	v_mul_f64 v[18:19], v[12:13], v[18:19]
	v_fma_f64 v[48:49], v[12:13], v[16:17], -v[48:49]
	v_fmac_f64_e32 v[18:19], v[14:15], v[16:17]
	v_mul_f64 v[16:17], v[14:15], v[22:23]
	v_fma_f64 v[16:17], v[12:13], v[20:21], -v[16:17]
	v_mul_f64 v[12:13], v[12:13], v[22:23]
	v_fmac_f64_e32 v[12:13], v[14:15], v[20:21]
	v_add_f64 v[42:43], v[18:19], v[42:43]
	v_add_f64 v[24:25], v[24:25], v[16:17]
	v_add_f64 v[26:27], v[12:13], v[26:27]
	ds_read_b128 v[12:15], v31 offset:80
	ds_read_b128 v[16:19], v30 offset:2560
	v_add_f64 v[40:41], v[40:41], v[48:49]
	s_waitcnt lgkmcnt(0)
	v_mul_f64 v[20:21], v[14:15], v[18:19]
	v_mul_f64 v[22:23], v[12:13], v[18:19]
	v_fma_f64 v[20:21], v[12:13], v[16:17], -v[20:21]
	v_fmac_f64_e32 v[22:23], v[14:15], v[16:17]
	v_add_f64 v[44:45], v[44:45], v[20:21]
	v_add_f64 v[46:47], v[22:23], v[46:47]
	ds_read_b128 v[20:23], v30 offset:2816
	s_waitcnt lgkmcnt(0)
	v_mul_f64 v[48:49], v[14:15], v[22:23]
	v_fma_f64 v[48:49], v[12:13], v[20:21], -v[48:49]
	v_mul_f64 v[12:13], v[12:13], v[22:23]
	v_fmac_f64_e32 v[12:13], v[14:15], v[20:21]
	v_add_f64 v[36:37], v[12:13], v[36:37]
	ds_read_b128 v[12:15], v31 offset:2128
	v_add_f64 v[38:39], v[38:39], v[48:49]
	s_waitcnt lgkmcnt(0)
	v_mul_f64 v[48:49], v[14:15], v[18:19]
	v_mul_f64 v[18:19], v[12:13], v[18:19]
	v_fma_f64 v[48:49], v[12:13], v[16:17], -v[48:49]
	v_fmac_f64_e32 v[18:19], v[14:15], v[16:17]
	v_mul_f64 v[16:17], v[14:15], v[22:23]
	v_fma_f64 v[16:17], v[12:13], v[20:21], -v[16:17]
	v_mul_f64 v[12:13], v[12:13], v[22:23]
	v_fmac_f64_e32 v[12:13], v[14:15], v[20:21]
	v_add_f64 v[42:43], v[18:19], v[42:43]
	;; [unrolled: 31-line block ×3, first 2 shown]
	ds_read_b128 v[12:15], v31 offset:112
	ds_read_b128 v[20:23], v30 offset:3584
	v_add_f64 v[40:41], v[40:41], v[36:37]
	ds_read_b128 v[36:39], v30 offset:3840
	v_add_f64 v[52:53], v[24:25], v[16:17]
	v_add_f64 v[42:43], v[18:19], v[42:43]
	s_waitcnt lgkmcnt(1)
	v_mul_f64 v[16:17], v[14:15], v[22:23]
	v_fma_f64 v[16:17], v[12:13], v[20:21], -v[16:17]
	v_add_f64 v[24:25], v[44:45], v[16:17]
	s_waitcnt lgkmcnt(0)
	v_mul_f64 v[16:17], v[14:15], v[38:39]
	v_mul_f64 v[18:19], v[12:13], v[22:23]
	v_fma_f64 v[16:17], v[12:13], v[36:37], -v[16:17]
	v_mul_f64 v[12:13], v[12:13], v[38:39]
	v_fmac_f64_e32 v[18:19], v[14:15], v[20:21]
	v_fmac_f64_e32 v[12:13], v[14:15], v[36:37]
	v_add_f64 v[26:27], v[18:19], v[46:47]
	v_add_f64 v[18:19], v[12:13], v[50:51]
	ds_read_b128 v[12:15], v31 offset:2160
	v_add_f64 v[16:17], v[48:49], v[16:17]
	s_waitcnt lgkmcnt(0)
	s_barrier
	v_mul_f64 v[44:45], v[14:15], v[22:23]
	v_fma_f64 v[44:45], v[12:13], v[20:21], -v[44:45]
	v_mul_f64 v[22:23], v[12:13], v[22:23]
	v_fmac_f64_e32 v[22:23], v[14:15], v[20:21]
	v_add_f64 v[20:21], v[40:41], v[44:45]
	v_mul_f64 v[40:41], v[14:15], v[38:39]
	v_fma_f64 v[40:41], v[12:13], v[36:37], -v[40:41]
	v_mul_f64 v[12:13], v[12:13], v[38:39]
	v_fmac_f64_e32 v[12:13], v[14:15], v[36:37]
	v_mov_b64_e32 v[36:37], s[14:15]
	v_cmp_gt_i64_e32 vcc, s[8:9], v[36:37]
	v_add_f64 v[22:23], v[22:23], v[42:43]
	v_add_f64 v[14:15], v[52:53], v[40:41]
	;; [unrolled: 1-line block ×3, first 2 shown]
	s_cbranch_vccz .LBB271_18
.LBB271_8:                              ; =>This Inner Loop Header: Depth=1
	s_mov_b64 s[34:35], s[2:3]
	s_mov_b64 s[20:21], 0
	s_and_saveexec_b64 s[24:25], s[0:1]
	s_cbranch_execnz .LBB271_16
; %bb.9:                                ;   in Loop: Header=BB271_8 Depth=1
	s_or_b64 exec, exec, s[24:25]
	s_and_saveexec_b64 s[24:25], s[34:35]
	s_xor_b64 s[24:25], exec, s[24:25]
	s_cbranch_execnz .LBB271_17
.LBB271_10:                             ;   in Loop: Header=BB271_8 Depth=1
	s_or_b64 exec, exec, s[24:25]
	s_and_saveexec_b64 s[24:25], s[20:21]
	s_cbranch_execz .LBB271_12
.LBB271_11:                             ;   in Loop: Header=BB271_8 Depth=1
	v_mul_lo_u32 v8, s17, v10
	v_mul_lo_u32 v38, s16, v11
	v_mad_u64_u32 v[36:37], s[20:21], s16, v10, 0
	v_add3_u32 v37, v37, v38, v8
	v_lshl_add_u64 v[36:37], v[36:37], 4, v[4:5]
	global_load_dwordx4 v[36:39], v[36:37], off
	s_waitcnt vmcnt(0)
	ds_write2_b64 v28, v[36:37], v[38:39] offset1:1
.LBB271_12:                             ;   in Loop: Header=BB271_8 Depth=1
	s_or_b64 exec, exec, s[24:25]
	v_add_u32_e32 v8, s14, v0
	v_cmp_le_u64_e32 vcc, s[8:9], v[8:9]
	s_or_b64 s[20:21], vcc, s[18:19]
	s_and_saveexec_b64 s[24:25], s[20:21]
	s_xor_b64 s[20:21], exec, s[24:25]
; %bb.13:                               ;   in Loop: Header=BB271_8 Depth=1
	ds_write_b128 v29, v[32:35]
; %bb.14:                               ;   in Loop: Header=BB271_8 Depth=1
	s_andn2_saveexec_b64 s[20:21], s[20:21]
	s_cbranch_execz .LBB271_7
; %bb.15:                               ;   in Loop: Header=BB271_8 Depth=1
	v_mad_u64_u32 v[36:37], s[24:25], s22, v8, 0
	v_mov_b32_e32 v38, v37
	v_mad_u64_u32 v[38:39], s[24:25], s23, v8, v[38:39]
	v_mov_b32_e32 v37, v38
	v_lshl_add_u64 v[36:37], v[36:37], 4, v[6:7]
	global_load_dwordx4 v[36:39], v[36:37], off
	s_waitcnt vmcnt(0)
	ds_write2_b64 v29, v[36:37], v[38:39] offset1:1
	s_branch .LBB271_7
.LBB271_16:                             ;   in Loop: Header=BB271_8 Depth=1
	v_add_u32_e32 v8, s14, v2
	v_cmp_le_u64_e32 vcc, s[8:9], v[8:9]
	s_andn2_b64 s[34:35], s[2:3], exec
	s_and_b64 s[42:43], vcc, exec
	s_mov_b64 s[20:21], exec
	s_or_b64 s[34:35], s[34:35], s[42:43]
	v_mov_b64_e32 v[10:11], v[8:9]
	s_or_b64 exec, exec, s[24:25]
	s_and_saveexec_b64 s[24:25], s[34:35]
	s_xor_b64 s[24:25], exec, s[24:25]
	s_cbranch_execz .LBB271_10
.LBB271_17:                             ;   in Loop: Header=BB271_8 Depth=1
	ds_write_b128 v28, v[32:35]
	s_andn2_b64 s[20:21], s[20:21], exec
	s_or_b64 exec, exec, s[24:25]
	s_and_saveexec_b64 s[24:25], s[20:21]
	s_cbranch_execnz .LBB271_11
	s_branch .LBB271_12
.LBB271_18:
	s_waitcnt lgkmcnt(0)
	s_mul_i32 s0, s39, s4
	s_mul_hi_u32 s1, s38, s4
	s_add_i32 s1, s1, s0
	s_mul_i32 s0, s38, s4
	s_lshl_b64 s[0:1], s[0:1], 4
	v_add_u32_e32 v10, s41, v3
	s_add_u32 s4, s30, s0
	v_ashrrev_i32_e32 v0, 31, v10
	s_addc_u32 s5, s31, s1
	v_add_u32_e32 v4, s40, v1
	v_cmp_neq_f64_e64 s[0:1], s[26:27], 0
	s_xor_b64 s[6:7], s[6:7], -1
	v_mul_lo_u32 v2, s36, v0
	v_mul_lo_u32 v3, s37, v10
	v_mad_u64_u32 v[0:1], s[8:9], s36, v10, 0
	v_add3_u32 v1, v1, v2, v3
	s_or_b64 s[0:1], s[0:1], s[6:7]
	v_cmp_gt_i32_e64 s[2:3], s33, v10
	v_lshl_add_u64 v[8:9], v[0:1], 4, s[4:5]
	v_cmp_le_i32_e32 vcc, v4, v10
	v_cndmask_b32_e64 v0, 0, 1, s[0:1]
	s_and_b64 s[8:9], s[2:3], vcc
	v_ashrrev_i32_e32 v5, 31, v4
	v_cmp_ne_u32_e64 s[0:1], 1, v0
	s_and_saveexec_b64 s[6:7], s[8:9]
	s_cbranch_execz .LBB271_22
; %bb.19:
	v_mul_f64 v[0:1], s[12:13], v[26:27]
	v_mul_f64 v[2:3], s[10:11], v[26:27]
	v_fma_f64 v[0:1], s[10:11], v[24:25], -v[0:1]
	v_fmac_f64_e32 v[2:3], s[12:13], v[24:25]
	s_and_b64 vcc, exec, s[0:1]
	v_lshl_add_u64 v[6:7], v[4:5], 4, v[8:9]
	s_cbranch_vccnz .LBB271_21
; %bb.20:
	global_load_dwordx4 v[24:27], v[6:7], off
	s_waitcnt vmcnt(0)
	v_mul_f64 v[28:29], s[28:29], v[26:27]
	v_mul_f64 v[26:27], s[26:27], v[26:27]
	v_fma_f64 v[28:29], s[26:27], v[24:25], -v[28:29]
	v_fmac_f64_e32 v[26:27], s[28:29], v[24:25]
	v_add_f64 v[0:1], v[0:1], v[28:29]
	v_add_f64 v[2:3], v[2:3], v[26:27]
.LBB271_21:
	global_store_dwordx4 v[6:7], v[0:3], off
.LBB271_22:
	s_or_b64 exec, exec, s[6:7]
	v_add_u32_e32 v6, 16, v4
	v_cmp_le_i32_e32 vcc, v6, v10
	s_and_b64 s[6:7], s[2:3], vcc
	v_ashrrev_i32_e32 v7, 31, v6
	s_and_saveexec_b64 s[2:3], s[6:7]
	s_cbranch_execz .LBB271_26
; %bb.23:
	v_mul_f64 v[0:1], s[12:13], v[18:19]
	v_mul_f64 v[2:3], s[10:11], v[18:19]
	v_fma_f64 v[0:1], s[10:11], v[16:17], -v[0:1]
	v_fmac_f64_e32 v[2:3], s[12:13], v[16:17]
	s_and_b64 vcc, exec, s[0:1]
	v_lshl_add_u64 v[8:9], v[6:7], 4, v[8:9]
	s_cbranch_vccnz .LBB271_25
; %bb.24:
	global_load_dwordx4 v[16:19], v[8:9], off
	s_waitcnt vmcnt(0)
	v_mul_f64 v[24:25], s[28:29], v[18:19]
	v_mul_f64 v[18:19], s[26:27], v[18:19]
	v_fma_f64 v[24:25], s[26:27], v[16:17], -v[24:25]
	v_fmac_f64_e32 v[18:19], s[28:29], v[16:17]
	v_add_f64 v[0:1], v[0:1], v[24:25]
	v_add_f64 v[2:3], v[2:3], v[18:19]
.LBB271_25:
	global_store_dwordx4 v[8:9], v[0:3], off
.LBB271_26:
	s_or_b64 exec, exec, s[2:3]
	v_add_u32_e32 v10, 16, v10
	v_ashrrev_i32_e32 v0, 31, v10
	v_mul_lo_u32 v2, s36, v0
	v_mul_lo_u32 v3, s37, v10
	v_mad_u64_u32 v[0:1], s[6:7], s36, v10, 0
	v_cmp_gt_i32_e64 s[2:3], s33, v10
	v_add3_u32 v1, v1, v2, v3
	v_cmp_le_i32_e32 vcc, v4, v10
	v_lshl_add_u64 v[8:9], v[0:1], 4, s[4:5]
	s_and_b64 s[6:7], s[2:3], vcc
	s_and_saveexec_b64 s[4:5], s[6:7]
	s_cbranch_execz .LBB271_30
; %bb.27:
	v_mul_f64 v[0:1], s[12:13], v[22:23]
	v_mul_f64 v[2:3], s[10:11], v[22:23]
	v_fma_f64 v[0:1], s[10:11], v[20:21], -v[0:1]
	v_fmac_f64_e32 v[2:3], s[12:13], v[20:21]
	s_and_b64 vcc, exec, s[0:1]
	v_lshl_add_u64 v[4:5], v[4:5], 4, v[8:9]
	s_cbranch_vccnz .LBB271_29
; %bb.28:
	global_load_dwordx4 v[16:19], v[4:5], off
	s_waitcnt vmcnt(0)
	v_mul_f64 v[20:21], s[28:29], v[18:19]
	v_mul_f64 v[18:19], s[26:27], v[18:19]
	v_fma_f64 v[20:21], s[26:27], v[16:17], -v[20:21]
	v_fmac_f64_e32 v[18:19], s[28:29], v[16:17]
	v_add_f64 v[0:1], v[0:1], v[20:21]
	v_add_f64 v[2:3], v[2:3], v[18:19]
.LBB271_29:
	global_store_dwordx4 v[4:5], v[0:3], off
.LBB271_30:
	s_or_b64 exec, exec, s[4:5]
	v_cmp_le_i32_e32 vcc, v6, v10
	s_and_b64 s[2:3], s[2:3], vcc
	s_and_saveexec_b64 s[4:5], s[2:3]
	s_cbranch_execz .LBB271_34
; %bb.31:
	v_mul_f64 v[0:1], s[12:13], v[12:13]
	v_mul_f64 v[2:3], s[10:11], v[12:13]
	v_fma_f64 v[0:1], s[10:11], v[14:15], -v[0:1]
	v_fmac_f64_e32 v[2:3], s[12:13], v[14:15]
	s_and_b64 vcc, exec, s[0:1]
	v_lshl_add_u64 v[4:5], v[6:7], 4, v[8:9]
	s_cbranch_vccnz .LBB271_33
; %bb.32:
	global_load_dwordx4 v[6:9], v[4:5], off
	s_waitcnt vmcnt(0)
	v_mul_f64 v[10:11], s[28:29], v[8:9]
	v_mul_f64 v[8:9], s[26:27], v[8:9]
	v_fma_f64 v[10:11], s[26:27], v[6:7], -v[10:11]
	v_fmac_f64_e32 v[8:9], s[28:29], v[6:7]
	v_add_f64 v[0:1], v[0:1], v[10:11]
	v_add_f64 v[2:3], v[2:3], v[8:9]
.LBB271_33:
	global_store_dwordx4 v[4:5], v[0:3], off
.LBB271_34:
	s_endpgm
	.section	.rodata,"a",@progbits
	.p2align	6, 0x0
	.amdhsa_kernel _ZL29rocblas_internal_gemmt_kernelIlLi16ELi32ELi8ELc78ELc84ELc85ELb0ELb0E19rocblas_complex_numIdES1_PKS1_PS1_EviT_T9_T10_S5_lS7_S5_lS6_T11_S5_li
		.amdhsa_group_segment_fixed_size 8192
		.amdhsa_private_segment_fixed_size 0
		.amdhsa_kernarg_size 124
		.amdhsa_user_sgpr_count 2
		.amdhsa_user_sgpr_dispatch_ptr 0
		.amdhsa_user_sgpr_queue_ptr 0
		.amdhsa_user_sgpr_kernarg_segment_ptr 1
		.amdhsa_user_sgpr_dispatch_id 0
		.amdhsa_user_sgpr_kernarg_preload_length 0
		.amdhsa_user_sgpr_kernarg_preload_offset 0
		.amdhsa_user_sgpr_private_segment_size 0
		.amdhsa_uses_dynamic_stack 0
		.amdhsa_enable_private_segment 0
		.amdhsa_system_sgpr_workgroup_id_x 1
		.amdhsa_system_sgpr_workgroup_id_y 1
		.amdhsa_system_sgpr_workgroup_id_z 1
		.amdhsa_system_sgpr_workgroup_info 0
		.amdhsa_system_vgpr_workitem_id 1
		.amdhsa_next_free_vgpr 62
		.amdhsa_next_free_sgpr 44
		.amdhsa_accum_offset 64
		.amdhsa_reserve_vcc 1
		.amdhsa_float_round_mode_32 0
		.amdhsa_float_round_mode_16_64 0
		.amdhsa_float_denorm_mode_32 3
		.amdhsa_float_denorm_mode_16_64 3
		.amdhsa_dx10_clamp 1
		.amdhsa_ieee_mode 1
		.amdhsa_fp16_overflow 0
		.amdhsa_tg_split 0
		.amdhsa_exception_fp_ieee_invalid_op 0
		.amdhsa_exception_fp_denorm_src 0
		.amdhsa_exception_fp_ieee_div_zero 0
		.amdhsa_exception_fp_ieee_overflow 0
		.amdhsa_exception_fp_ieee_underflow 0
		.amdhsa_exception_fp_ieee_inexact 0
		.amdhsa_exception_int_div_zero 0
	.end_amdhsa_kernel
	.section	.text._ZL29rocblas_internal_gemmt_kernelIlLi16ELi32ELi8ELc78ELc84ELc85ELb0ELb0E19rocblas_complex_numIdES1_PKS1_PS1_EviT_T9_T10_S5_lS7_S5_lS6_T11_S5_li,"axG",@progbits,_ZL29rocblas_internal_gemmt_kernelIlLi16ELi32ELi8ELc78ELc84ELc85ELb0ELb0E19rocblas_complex_numIdES1_PKS1_PS1_EviT_T9_T10_S5_lS7_S5_lS6_T11_S5_li,comdat
.Lfunc_end271:
	.size	_ZL29rocblas_internal_gemmt_kernelIlLi16ELi32ELi8ELc78ELc84ELc85ELb0ELb0E19rocblas_complex_numIdES1_PKS1_PS1_EviT_T9_T10_S5_lS7_S5_lS6_T11_S5_li, .Lfunc_end271-_ZL29rocblas_internal_gemmt_kernelIlLi16ELi32ELi8ELc78ELc84ELc85ELb0ELb0E19rocblas_complex_numIdES1_PKS1_PS1_EviT_T9_T10_S5_lS7_S5_lS6_T11_S5_li
                                        ; -- End function
	.set _ZL29rocblas_internal_gemmt_kernelIlLi16ELi32ELi8ELc78ELc84ELc85ELb0ELb0E19rocblas_complex_numIdES1_PKS1_PS1_EviT_T9_T10_S5_lS7_S5_lS6_T11_S5_li.num_vgpr, 62
	.set _ZL29rocblas_internal_gemmt_kernelIlLi16ELi32ELi8ELc78ELc84ELc85ELb0ELb0E19rocblas_complex_numIdES1_PKS1_PS1_EviT_T9_T10_S5_lS7_S5_lS6_T11_S5_li.num_agpr, 0
	.set _ZL29rocblas_internal_gemmt_kernelIlLi16ELi32ELi8ELc78ELc84ELc85ELb0ELb0E19rocblas_complex_numIdES1_PKS1_PS1_EviT_T9_T10_S5_lS7_S5_lS6_T11_S5_li.numbered_sgpr, 44
	.set _ZL29rocblas_internal_gemmt_kernelIlLi16ELi32ELi8ELc78ELc84ELc85ELb0ELb0E19rocblas_complex_numIdES1_PKS1_PS1_EviT_T9_T10_S5_lS7_S5_lS6_T11_S5_li.num_named_barrier, 0
	.set _ZL29rocblas_internal_gemmt_kernelIlLi16ELi32ELi8ELc78ELc84ELc85ELb0ELb0E19rocblas_complex_numIdES1_PKS1_PS1_EviT_T9_T10_S5_lS7_S5_lS6_T11_S5_li.private_seg_size, 0
	.set _ZL29rocblas_internal_gemmt_kernelIlLi16ELi32ELi8ELc78ELc84ELc85ELb0ELb0E19rocblas_complex_numIdES1_PKS1_PS1_EviT_T9_T10_S5_lS7_S5_lS6_T11_S5_li.uses_vcc, 1
	.set _ZL29rocblas_internal_gemmt_kernelIlLi16ELi32ELi8ELc78ELc84ELc85ELb0ELb0E19rocblas_complex_numIdES1_PKS1_PS1_EviT_T9_T10_S5_lS7_S5_lS6_T11_S5_li.uses_flat_scratch, 0
	.set _ZL29rocblas_internal_gemmt_kernelIlLi16ELi32ELi8ELc78ELc84ELc85ELb0ELb0E19rocblas_complex_numIdES1_PKS1_PS1_EviT_T9_T10_S5_lS7_S5_lS6_T11_S5_li.has_dyn_sized_stack, 0
	.set _ZL29rocblas_internal_gemmt_kernelIlLi16ELi32ELi8ELc78ELc84ELc85ELb0ELb0E19rocblas_complex_numIdES1_PKS1_PS1_EviT_T9_T10_S5_lS7_S5_lS6_T11_S5_li.has_recursion, 0
	.set _ZL29rocblas_internal_gemmt_kernelIlLi16ELi32ELi8ELc78ELc84ELc85ELb0ELb0E19rocblas_complex_numIdES1_PKS1_PS1_EviT_T9_T10_S5_lS7_S5_lS6_T11_S5_li.has_indirect_call, 0
	.section	.AMDGPU.csdata,"",@progbits
; Kernel info:
; codeLenInByte = 3232
; TotalNumSgprs: 50
; NumVgprs: 62
; NumAgprs: 0
; TotalNumVgprs: 62
; ScratchSize: 0
; MemoryBound: 0
; FloatMode: 240
; IeeeMode: 1
; LDSByteSize: 8192 bytes/workgroup (compile time only)
; SGPRBlocks: 6
; VGPRBlocks: 7
; NumSGPRsForWavesPerEU: 50
; NumVGPRsForWavesPerEU: 62
; AccumOffset: 64
; Occupancy: 8
; WaveLimiterHint : 0
; COMPUTE_PGM_RSRC2:SCRATCH_EN: 0
; COMPUTE_PGM_RSRC2:USER_SGPR: 2
; COMPUTE_PGM_RSRC2:TRAP_HANDLER: 0
; COMPUTE_PGM_RSRC2:TGID_X_EN: 1
; COMPUTE_PGM_RSRC2:TGID_Y_EN: 1
; COMPUTE_PGM_RSRC2:TGID_Z_EN: 1
; COMPUTE_PGM_RSRC2:TIDIG_COMP_CNT: 1
; COMPUTE_PGM_RSRC3_GFX90A:ACCUM_OFFSET: 15
; COMPUTE_PGM_RSRC3_GFX90A:TG_SPLIT: 0
	.section	.text._ZL29rocblas_internal_gemmt_kernelIlLi16ELi32ELi8ELc78ELc67ELc85ELb0ELb1E19rocblas_complex_numIdES1_PKS1_PS1_EviT_T9_T10_S5_lS7_S5_lS6_T11_S5_li,"axG",@progbits,_ZL29rocblas_internal_gemmt_kernelIlLi16ELi32ELi8ELc78ELc67ELc85ELb0ELb1E19rocblas_complex_numIdES1_PKS1_PS1_EviT_T9_T10_S5_lS7_S5_lS6_T11_S5_li,comdat
	.globl	_ZL29rocblas_internal_gemmt_kernelIlLi16ELi32ELi8ELc78ELc67ELc85ELb0ELb1E19rocblas_complex_numIdES1_PKS1_PS1_EviT_T9_T10_S5_lS7_S5_lS6_T11_S5_li ; -- Begin function _ZL29rocblas_internal_gemmt_kernelIlLi16ELi32ELi8ELc78ELc67ELc85ELb0ELb1E19rocblas_complex_numIdES1_PKS1_PS1_EviT_T9_T10_S5_lS7_S5_lS6_T11_S5_li
	.p2align	8
	.type	_ZL29rocblas_internal_gemmt_kernelIlLi16ELi32ELi8ELc78ELc67ELc85ELb0ELb1E19rocblas_complex_numIdES1_PKS1_PS1_EviT_T9_T10_S5_lS7_S5_lS6_T11_S5_li,@function
_ZL29rocblas_internal_gemmt_kernelIlLi16ELi32ELi8ELc78ELc67ELc85ELb0ELb1E19rocblas_complex_numIdES1_PKS1_PS1_EviT_T9_T10_S5_lS7_S5_lS6_T11_S5_li: ; @_ZL29rocblas_internal_gemmt_kernelIlLi16ELi32ELi8ELc78ELc67ELc85ELb0ELb1E19rocblas_complex_numIdES1_PKS1_PS1_EviT_T9_T10_S5_lS7_S5_lS6_T11_S5_li
; %bb.0:
	s_load_dwordx8 s[24:31], s[0:1], 0x48
	s_load_dwordx16 s[8:23], s[0:1], 0x8
	s_mov_b64 s[34:35], 0
	s_waitcnt lgkmcnt(0)
	v_cmp_eq_f64_e64 s[36:37], s[26:27], 1.0
	v_cmp_eq_f64_e64 s[6:7], s[28:29], 0
	s_and_b64 s[36:37], s[36:37], s[6:7]
	s_andn2_b64 vcc, exec, s[36:37]
	s_mov_b64 s[36:37], -1
	s_cbranch_vccnz .LBB272_4
; %bb.1:
	s_cmp_lg_u64 s[8:9], 0
	s_cbranch_scc0 .LBB272_3
; %bb.2:
	v_cmp_neq_f64_e64 s[34:35], s[10:11], 0
	v_cmp_neq_f64_e64 s[36:37], s[12:13], 0
	s_or_b64 s[34:35], s[34:35], s[36:37]
.LBB272_3:
	s_mov_b64 s[36:37], s[34:35]
.LBB272_4:
	s_and_b64 vcc, exec, s[36:37]
	s_cbranch_vccz .LBB272_32
; %bb.5:
	s_load_dwordx4 s[36:39], s[0:1], 0x68
	s_load_dword s33, s[0:1], 0x0
	s_lshl_b32 s40, s2, 5
	s_lshl_b32 s41, s3, 5
	v_cmp_eq_f64_e64 s[0:1], s[10:11], 0
	v_cmp_eq_f64_e64 s[2:3], s[12:13], 0
	s_and_b64 s[0:1], s[0:1], s[2:3]
	v_cmp_lt_i64_e64 s[2:3], s[8:9], 1
	s_or_b64 s[0:1], s[0:1], s[2:3]
	v_and_b32_e32 v5, 0x3ff, v0
	v_bfe_u32 v7, v0, 10, 10
	v_mov_b64_e32 v[28:29], 0
	s_and_b64 vcc, exec, s[0:1]
	v_mov_b64_e32 v[30:31], 0
	v_mov_b64_e32 v[24:25], 0
	;; [unrolled: 1-line block ×7, first 2 shown]
	s_cbranch_vccnz .LBB272_16
; %bb.6:
	s_mul_i32 s0, s25, s4
	s_mul_hi_u32 s1, s24, s4
	s_add_i32 s1, s1, s0
	s_mul_i32 s0, s24, s4
	s_lshl_b64 s[0:1], s[0:1], 4
	v_lshl_add_u32 v1, v7, 4, v5
	s_add_u32 s20, s20, s0
	v_lshrrev_b32_e32 v6, 5, v1
	v_lshrrev_b32_e32 v10, 3, v1
	v_and_b32_e32 v1, 31, v1
	s_addc_u32 s21, s21, s1
	s_mul_i32 s0, s19, s4
	s_mul_hi_u32 s1, s18, s4
	v_and_b32_e32 v4, 7, v5
	v_or_b32_e32 v2, s40, v1
	s_add_i32 s1, s1, s0
	s_mul_i32 s0, s18, s4
	v_lshlrev_b32_e32 v1, 4, v1
	s_lshl_b64 s[0:1], s[0:1], 4
	v_lshl_or_b32 v32, v6, 9, v1
	v_lshlrev_b32_e32 v1, 4, v4
	v_add_u32_e32 v0, s41, v10
	s_add_u32 s2, s14, s0
	v_lshl_or_b32 v1, v10, 7, v1
	s_addc_u32 s3, s15, s1
	v_ashrrev_i32_e32 v3, 31, v2
	v_add_u32_e32 v33, 0x1000, v1
	v_ashrrev_i32_e32 v1, 31, v0
	v_lshl_add_u64 v[8:9], v[2:3], 4, s[2:3]
	s_waitcnt lgkmcnt(0)
	v_cmp_gt_i32_e64 s[2:3], s33, v0
	v_lshl_add_u64 v[10:11], v[0:1], 4, s[20:21]
	v_mov_b32_e32 v0, 0x1000
	v_mov_b32_e32 v13, 0
	v_cmp_gt_i32_e64 s[0:1], s33, v2
	v_cmp_le_i32_e64 s[14:15], s33, v2
	v_lshlrev_b32_e32 v34, 4, v5
	v_lshl_add_u32 v35, v7, 7, v0
	v_mov_b64_e32 v[16:17], 0
	s_mov_b64 s[18:19], 0
	v_mov_b32_e32 v36, v13
	v_mov_b32_e32 v37, v13
	;; [unrolled: 1-line block ×4, first 2 shown]
	v_mov_b64_e32 v[18:19], 0
	v_mov_b64_e32 v[22:23], 0
	;; [unrolled: 1-line block ×7, first 2 shown]
                                        ; implicit-def: $vgpr14_vgpr15
	s_branch .LBB272_8
.LBB272_7:                              ;   in Loop: Header=BB272_8 Depth=1
	s_or_b64 exec, exec, s[20:21]
	ds_write_b128 v33, v[0:3]
	s_waitcnt lgkmcnt(0)
	s_barrier
	ds_read_b128 v[0:3], v34
	ds_read_b128 v[40:43], v35
	ds_read_b128 v[44:47], v35 offset:16
	ds_read_b128 v[48:51], v35 offset:32
	;; [unrolled: 1-line block ×4, first 2 shown]
	s_waitcnt lgkmcnt(4)
	v_mul_f64 v[60:61], v[42:43], v[2:3]
	v_fma_f64 v[60:61], v[40:41], v[0:1], -v[60:61]
	v_mul_f64 v[62:63], v[40:41], v[2:3]
	v_fmac_f64_e32 v[62:63], v[42:43], v[0:1]
	v_add_f64 v[60:61], v[28:29], v[60:61]
	s_waitcnt lgkmcnt(0)
	v_mul_f64 v[28:29], v[42:43], v[58:59]
	v_add_f64 v[62:63], v[62:63], v[30:31]
	v_fma_f64 v[64:65], v[40:41], v[56:57], -v[28:29]
	ds_read_b128 v[28:31], v35 offset:2048
	v_mul_f64 v[40:41], v[40:41], v[58:59]
	v_fmac_f64_e32 v[40:41], v[42:43], v[56:57]
	v_add_f64 v[42:43], v[24:25], v[64:65]
	v_add_f64 v[40:41], v[40:41], v[26:27]
	ds_read_b128 v[24:27], v35 offset:2064
	s_waitcnt lgkmcnt(1)
	v_mul_f64 v[64:65], v[30:31], v[2:3]
	v_mul_f64 v[2:3], v[28:29], v[2:3]
	v_fma_f64 v[64:65], v[28:29], v[0:1], -v[64:65]
	v_fmac_f64_e32 v[2:3], v[30:31], v[0:1]
	v_mul_f64 v[0:1], v[30:31], v[58:59]
	v_add_f64 v[20:21], v[20:21], v[64:65]
	v_add_f64 v[22:23], v[2:3], v[22:23]
	v_fma_f64 v[64:65], v[28:29], v[56:57], -v[0:1]
	v_mul_f64 v[28:29], v[28:29], v[58:59]
	ds_read_b128 v[0:3], v34 offset:512
	v_fmac_f64_e32 v[28:29], v[30:31], v[56:57]
	v_add_f64 v[30:31], v[18:19], v[64:65]
	v_add_f64 v[28:29], v[28:29], v[16:17]
	ds_read_b128 v[16:19], v34 offset:768
	s_waitcnt lgkmcnt(1)
	v_mul_f64 v[56:57], v[46:47], v[2:3]
	v_fma_f64 v[56:57], v[44:45], v[0:1], -v[56:57]
	v_add_f64 v[56:57], v[60:61], v[56:57]
	v_mul_f64 v[58:59], v[44:45], v[2:3]
	s_waitcnt lgkmcnt(0)
	v_mul_f64 v[60:61], v[46:47], v[18:19]
	v_fma_f64 v[60:61], v[44:45], v[16:17], -v[60:61]
	v_mul_f64 v[44:45], v[44:45], v[18:19]
	v_fmac_f64_e32 v[44:45], v[46:47], v[16:17]
	v_add_f64 v[40:41], v[44:45], v[40:41]
	v_mul_f64 v[44:45], v[26:27], v[2:3]
	v_mul_f64 v[2:3], v[24:25], v[2:3]
	v_fmac_f64_e32 v[58:59], v[46:47], v[0:1]
	v_fma_f64 v[44:45], v[24:25], v[0:1], -v[44:45]
	v_fmac_f64_e32 v[2:3], v[26:27], v[0:1]
	v_mul_f64 v[0:1], v[26:27], v[18:19]
	v_add_f64 v[44:45], v[20:21], v[44:45]
	v_add_f64 v[46:47], v[2:3], v[22:23]
	v_fma_f64 v[20:21], v[24:25], v[16:17], -v[0:1]
	v_mul_f64 v[18:19], v[24:25], v[18:19]
	ds_read_b128 v[0:3], v34 offset:1024
	v_fmac_f64_e32 v[18:19], v[26:27], v[16:17]
	v_add_f64 v[28:29], v[18:19], v[28:29]
	ds_read_b128 v[16:19], v34 offset:1280
	v_add_f64 v[30:31], v[30:31], v[20:21]
	s_waitcnt lgkmcnt(1)
	v_mul_f64 v[20:21], v[50:51], v[2:3]
	v_fma_f64 v[20:21], v[48:49], v[0:1], -v[20:21]
	v_mul_f64 v[22:23], v[48:49], v[2:3]
	v_add_f64 v[58:59], v[58:59], v[62:63]
	v_fmac_f64_e32 v[22:23], v[50:51], v[0:1]
	v_add_f64 v[56:57], v[56:57], v[20:21]
	s_waitcnt lgkmcnt(0)
	v_mul_f64 v[20:21], v[50:51], v[18:19]
	v_add_f64 v[58:59], v[22:23], v[58:59]
	v_fma_f64 v[24:25], v[48:49], v[16:17], -v[20:21]
	ds_read_b128 v[20:23], v35 offset:2080
	v_mul_f64 v[26:27], v[48:49], v[18:19]
	v_add_f64 v[42:43], v[42:43], v[60:61]
	v_fmac_f64_e32 v[26:27], v[50:51], v[16:17]
	v_add_f64 v[42:43], v[42:43], v[24:25]
	v_add_f64 v[40:41], v[26:27], v[40:41]
	ds_read_b128 v[24:27], v35 offset:2096
	s_waitcnt lgkmcnt(1)
	v_mul_f64 v[48:49], v[22:23], v[2:3]
	v_mul_f64 v[2:3], v[20:21], v[2:3]
	v_fma_f64 v[48:49], v[20:21], v[0:1], -v[48:49]
	v_fmac_f64_e32 v[2:3], v[22:23], v[0:1]
	v_mul_f64 v[0:1], v[22:23], v[18:19]
	v_mul_f64 v[18:19], v[20:21], v[18:19]
	v_fmac_f64_e32 v[18:19], v[22:23], v[16:17]
	v_add_f64 v[44:45], v[44:45], v[48:49]
	v_add_f64 v[46:47], v[2:3], v[46:47]
	v_fma_f64 v[48:49], v[20:21], v[16:17], -v[0:1]
	ds_read_b128 v[0:3], v34 offset:1536
	v_add_f64 v[22:23], v[18:19], v[28:29]
	ds_read_b128 v[16:19], v34 offset:1792
	v_add_f64 v[20:21], v[30:31], v[48:49]
	s_add_u32 s18, s18, 8
	s_waitcnt lgkmcnt(1)
	v_mul_f64 v[28:29], v[54:55], v[2:3]
	v_mul_f64 v[30:31], v[52:53], v[2:3]
	s_waitcnt lgkmcnt(0)
	v_mul_f64 v[48:49], v[54:55], v[18:19]
	v_fma_f64 v[48:49], v[52:53], v[16:17], -v[48:49]
	v_add_f64 v[42:43], v[42:43], v[48:49]
	v_mul_f64 v[48:49], v[26:27], v[2:3]
	v_mul_f64 v[2:3], v[24:25], v[2:3]
	v_fma_f64 v[28:29], v[52:53], v[0:1], -v[28:29]
	v_fmac_f64_e32 v[30:31], v[54:55], v[0:1]
	v_fma_f64 v[48:49], v[24:25], v[0:1], -v[48:49]
	v_fmac_f64_e32 v[2:3], v[26:27], v[0:1]
	v_mul_f64 v[0:1], v[26:27], v[18:19]
	v_mul_f64 v[50:51], v[52:53], v[18:19]
	v_add_f64 v[44:45], v[44:45], v[48:49]
	v_fma_f64 v[48:49], v[24:25], v[16:17], -v[0:1]
	v_mul_f64 v[24:25], v[24:25], v[18:19]
	v_fmac_f64_e32 v[50:51], v[54:55], v[16:17]
	v_add_f64 v[46:47], v[2:3], v[46:47]
	v_fmac_f64_e32 v[24:25], v[26:27], v[16:17]
	ds_read_b128 v[0:3], v35 offset:64
	ds_read_b128 v[16:19], v34 offset:2048
	v_add_f64 v[40:41], v[50:51], v[40:41]
	v_add_f64 v[48:49], v[20:21], v[48:49]
	v_add_f64 v[50:51], v[24:25], v[22:23]
	ds_read_b128 v[20:23], v34 offset:2304
	ds_read_b128 v[24:27], v35 offset:80
	s_waitcnt lgkmcnt(2)
	v_mul_f64 v[52:53], v[2:3], v[18:19]
	v_add_f64 v[28:29], v[56:57], v[28:29]
	v_fma_f64 v[52:53], v[0:1], v[16:17], -v[52:53]
	v_mul_f64 v[54:55], v[0:1], v[18:19]
	v_add_f64 v[30:31], v[30:31], v[58:59]
	v_fmac_f64_e32 v[54:55], v[2:3], v[16:17]
	v_add_f64 v[52:53], v[28:29], v[52:53]
	s_waitcnt lgkmcnt(1)
	v_mul_f64 v[28:29], v[2:3], v[22:23]
	v_add_f64 v[54:55], v[54:55], v[30:31]
	v_fma_f64 v[56:57], v[0:1], v[20:21], -v[28:29]
	ds_read_b128 v[28:31], v35 offset:2112
	v_mul_f64 v[0:1], v[0:1], v[22:23]
	v_fmac_f64_e32 v[0:1], v[2:3], v[20:21]
	v_add_f64 v[42:43], v[42:43], v[56:57]
	v_add_f64 v[40:41], v[0:1], v[40:41]
	ds_read_b128 v[0:3], v35 offset:2128
	s_waitcnt lgkmcnt(1)
	v_mul_f64 v[56:57], v[30:31], v[18:19]
	v_mul_f64 v[18:19], v[28:29], v[18:19]
	v_fma_f64 v[56:57], v[28:29], v[16:17], -v[56:57]
	v_fmac_f64_e32 v[18:19], v[30:31], v[16:17]
	v_mul_f64 v[16:17], v[30:31], v[22:23]
	v_add_f64 v[44:45], v[44:45], v[56:57]
	v_add_f64 v[46:47], v[18:19], v[46:47]
	v_fma_f64 v[56:57], v[28:29], v[20:21], -v[16:17]
	v_mul_f64 v[22:23], v[28:29], v[22:23]
	ds_read_b128 v[16:19], v34 offset:2560
	v_fmac_f64_e32 v[22:23], v[30:31], v[20:21]
	v_add_f64 v[30:31], v[22:23], v[50:51]
	ds_read_b128 v[20:23], v34 offset:2816
	v_add_f64 v[28:29], v[48:49], v[56:57]
	s_waitcnt lgkmcnt(1)
	v_mul_f64 v[48:49], v[26:27], v[18:19]
	v_fma_f64 v[48:49], v[24:25], v[16:17], -v[48:49]
	v_add_f64 v[48:49], v[52:53], v[48:49]
	s_waitcnt lgkmcnt(0)
	v_mul_f64 v[52:53], v[26:27], v[22:23]
	v_mul_f64 v[50:51], v[24:25], v[18:19]
	v_fma_f64 v[52:53], v[24:25], v[20:21], -v[52:53]
	v_mul_f64 v[24:25], v[24:25], v[22:23]
	v_fmac_f64_e32 v[24:25], v[26:27], v[20:21]
	v_add_f64 v[40:41], v[24:25], v[40:41]
	v_mul_f64 v[24:25], v[2:3], v[18:19]
	v_mul_f64 v[18:19], v[0:1], v[18:19]
	v_fmac_f64_e32 v[50:51], v[26:27], v[16:17]
	v_fma_f64 v[24:25], v[0:1], v[16:17], -v[24:25]
	v_fmac_f64_e32 v[18:19], v[2:3], v[16:17]
	v_mul_f64 v[16:17], v[2:3], v[22:23]
	v_mul_f64 v[22:23], v[0:1], v[22:23]
	v_add_f64 v[44:45], v[44:45], v[24:25]
	v_add_f64 v[46:47], v[18:19], v[46:47]
	v_fma_f64 v[24:25], v[0:1], v[20:21], -v[16:17]
	v_fmac_f64_e32 v[22:23], v[2:3], v[20:21]
	ds_read_b128 v[0:3], v35 offset:96
	ds_read_b128 v[16:19], v34 offset:3072
	v_add_f64 v[50:51], v[50:51], v[54:55]
	v_add_f64 v[42:43], v[42:43], v[52:53]
	;; [unrolled: 1-line block ×4, first 2 shown]
	ds_read_b128 v[20:23], v34 offset:3328
	ds_read_b128 v[24:27], v35 offset:112
	s_waitcnt lgkmcnt(2)
	v_mul_f64 v[28:29], v[2:3], v[18:19]
	v_fma_f64 v[28:29], v[0:1], v[16:17], -v[28:29]
	v_mul_f64 v[30:31], v[0:1], v[18:19]
	v_fmac_f64_e32 v[30:31], v[2:3], v[16:17]
	v_add_f64 v[48:49], v[48:49], v[28:29]
	s_waitcnt lgkmcnt(1)
	v_mul_f64 v[28:29], v[2:3], v[22:23]
	v_add_f64 v[50:51], v[30:31], v[50:51]
	v_fma_f64 v[56:57], v[0:1], v[20:21], -v[28:29]
	ds_read_b128 v[28:31], v35 offset:2144
	v_mul_f64 v[0:1], v[0:1], v[22:23]
	v_fmac_f64_e32 v[0:1], v[2:3], v[20:21]
	v_add_f64 v[58:59], v[0:1], v[40:41]
	ds_read_b128 v[0:3], v35 offset:2160
	s_waitcnt lgkmcnt(1)
	v_mul_f64 v[40:41], v[30:31], v[18:19]
	v_mul_f64 v[18:19], v[28:29], v[18:19]
	v_fma_f64 v[40:41], v[28:29], v[16:17], -v[40:41]
	v_fmac_f64_e32 v[18:19], v[30:31], v[16:17]
	v_mul_f64 v[16:17], v[30:31], v[22:23]
	v_add_f64 v[44:45], v[44:45], v[40:41]
	v_add_f64 v[46:47], v[18:19], v[46:47]
	v_fma_f64 v[40:41], v[28:29], v[20:21], -v[16:17]
	ds_read_b128 v[16:19], v34 offset:3584
	v_add_f64 v[56:57], v[42:43], v[56:57]
	v_add_f64 v[52:53], v[52:53], v[40:41]
	ds_read_b128 v[40:43], v34 offset:3840
	v_mul_f64 v[22:23], v[28:29], v[22:23]
	v_fmac_f64_e32 v[22:23], v[30:31], v[20:21]
	s_waitcnt lgkmcnt(1)
	v_mul_f64 v[20:21], v[26:27], v[18:19]
	v_fma_f64 v[20:21], v[24:25], v[16:17], -v[20:21]
	v_add_f64 v[54:55], v[22:23], v[54:55]
	v_mul_f64 v[22:23], v[24:25], v[18:19]
	v_add_f64 v[28:29], v[48:49], v[20:21]
	s_waitcnt lgkmcnt(0)
	v_mul_f64 v[20:21], v[26:27], v[42:43]
	v_fmac_f64_e32 v[22:23], v[26:27], v[16:17]
	v_fma_f64 v[20:21], v[24:25], v[40:41], -v[20:21]
	v_add_f64 v[30:31], v[22:23], v[50:51]
	v_mul_f64 v[22:23], v[24:25], v[42:43]
	v_add_f64 v[24:25], v[56:57], v[20:21]
	v_mul_f64 v[20:21], v[2:3], v[18:19]
	v_mul_f64 v[18:19], v[0:1], v[18:19]
	v_fma_f64 v[20:21], v[0:1], v[16:17], -v[20:21]
	v_fmac_f64_e32 v[18:19], v[2:3], v[16:17]
	v_mul_f64 v[16:17], v[2:3], v[42:43]
	v_fma_f64 v[16:17], v[0:1], v[40:41], -v[16:17]
	v_mul_f64 v[0:1], v[0:1], v[42:43]
	v_fmac_f64_e32 v[22:23], v[26:27], v[40:41]
	v_fmac_f64_e32 v[0:1], v[2:3], v[40:41]
	s_addc_u32 s19, s19, 0
	v_add_f64 v[26:27], v[22:23], v[58:59]
	v_add_f64 v[22:23], v[18:19], v[46:47]
	;; [unrolled: 1-line block ×4, first 2 shown]
	v_mov_b64_e32 v[0:1], s[18:19]
	v_cmp_gt_i64_e32 vcc, s[8:9], v[0:1]
	v_add_f64 v[20:21], v[44:45], v[20:21]
	s_barrier
	s_cbranch_vccz .LBB272_16
.LBB272_8:                              ; =>This Inner Loop Header: Depth=1
	s_mov_b64 s[34:35], s[14:15]
	s_mov_b64 s[20:21], 0
	s_and_saveexec_b64 s[24:25], s[0:1]
	s_cbranch_execnz .LBB272_14
; %bb.9:                                ;   in Loop: Header=BB272_8 Depth=1
	s_or_b64 exec, exec, s[24:25]
	s_and_saveexec_b64 s[24:25], s[34:35]
	s_xor_b64 s[24:25], exec, s[24:25]
	s_cbranch_execnz .LBB272_15
.LBB272_10:                             ;   in Loop: Header=BB272_8 Depth=1
	s_or_b64 exec, exec, s[24:25]
	s_and_saveexec_b64 s[24:25], s[20:21]
	s_cbranch_execz .LBB272_12
.LBB272_11:                             ;   in Loop: Header=BB272_8 Depth=1
	v_mul_lo_u32 v2, s17, v14
	v_mul_lo_u32 v3, s16, v15
	v_mad_u64_u32 v[0:1], s[20:21], s16, v14, 0
	v_add3_u32 v1, v1, v3, v2
	v_lshl_add_u64 v[0:1], v[0:1], 4, v[8:9]
	global_load_dwordx4 v[0:3], v[0:1], off
	s_waitcnt vmcnt(0)
	ds_write2_b64 v32, v[0:1], v[2:3] offset1:1
.LBB272_12:                             ;   in Loop: Header=BB272_8 Depth=1
	s_or_b64 exec, exec, s[24:25]
	v_add_u32_e32 v12, s18, v4
	v_cmp_gt_u64_e32 vcc, s[8:9], v[12:13]
	s_and_b64 s[24:25], vcc, s[2:3]
	v_mov_b64_e32 v[0:1], 0
	v_mov_b64_e32 v[2:3], 0
	s_and_saveexec_b64 s[20:21], s[24:25]
	s_cbranch_execz .LBB272_7
; %bb.13:                               ;   in Loop: Header=BB272_8 Depth=1
	v_mad_u64_u32 v[0:1], s[24:25], s22, v12, 0
	v_mov_b32_e32 v2, v1
	v_mad_u64_u32 v[2:3], s[24:25], s23, v12, v[2:3]
	v_mov_b32_e32 v1, v2
	v_lshl_add_u64 v[0:1], v[0:1], 4, v[10:11]
	global_load_dwordx4 v[0:3], v[0:1], off
	s_waitcnt vmcnt(0)
	v_xor_b32_e32 v3, 0x80000000, v3
	s_branch .LBB272_7
.LBB272_14:                             ;   in Loop: Header=BB272_8 Depth=1
	v_add_u32_e32 v12, s18, v6
	v_cmp_le_u64_e32 vcc, s[8:9], v[12:13]
	s_andn2_b64 s[34:35], s[14:15], exec
	s_and_b64 s[42:43], vcc, exec
	s_mov_b64 s[20:21], exec
	s_or_b64 s[34:35], s[34:35], s[42:43]
	v_mov_b64_e32 v[14:15], v[12:13]
	s_or_b64 exec, exec, s[24:25]
	s_and_saveexec_b64 s[24:25], s[34:35]
	s_xor_b64 s[24:25], exec, s[24:25]
	s_cbranch_execz .LBB272_10
.LBB272_15:                             ;   in Loop: Header=BB272_8 Depth=1
	ds_write_b128 v32, v[36:39]
	s_andn2_b64 s[20:21], s[20:21], exec
	s_or_b64 exec, exec, s[24:25]
	s_and_saveexec_b64 s[24:25], s[20:21]
	s_cbranch_execnz .LBB272_11
	s_branch .LBB272_12
.LBB272_16:
	s_waitcnt lgkmcnt(0)
	s_mul_i32 s0, s39, s4
	s_mul_hi_u32 s1, s38, s4
	s_add_i32 s1, s1, s0
	s_mul_i32 s0, s38, s4
	s_lshl_b64 s[0:1], s[0:1], 4
	v_add_u32_e32 v10, s41, v7
	s_add_u32 s4, s30, s0
	v_ashrrev_i32_e32 v0, 31, v10
	s_addc_u32 s5, s31, s1
	v_cmp_neq_f64_e64 s[0:1], s[26:27], 0
	s_xor_b64 s[6:7], s[6:7], -1
	v_mul_lo_u32 v2, s36, v0
	v_mul_lo_u32 v3, s37, v10
	v_mad_u64_u32 v[0:1], s[8:9], s36, v10, 0
	v_add_u32_e32 v4, s40, v5
	v_add3_u32 v1, v1, v2, v3
	s_or_b64 s[0:1], s[0:1], s[6:7]
	v_cmp_gt_i32_e64 s[2:3], s33, v10
	v_lshl_add_u64 v[8:9], v[0:1], 4, s[4:5]
	v_cmp_le_i32_e32 vcc, v4, v10
	v_cndmask_b32_e64 v0, 0, 1, s[0:1]
	s_and_b64 s[8:9], s[2:3], vcc
	v_ashrrev_i32_e32 v5, 31, v4
	v_cmp_ne_u32_e64 s[0:1], 1, v0
	s_and_saveexec_b64 s[6:7], s[8:9]
	s_cbranch_execz .LBB272_20
; %bb.17:
	v_mul_f64 v[0:1], s[12:13], v[30:31]
	v_mul_f64 v[2:3], s[10:11], v[30:31]
	v_fma_f64 v[0:1], s[10:11], v[28:29], -v[0:1]
	v_fmac_f64_e32 v[2:3], s[12:13], v[28:29]
	s_and_b64 vcc, exec, s[0:1]
	v_lshl_add_u64 v[6:7], v[4:5], 4, v[8:9]
	s_cbranch_vccnz .LBB272_19
; %bb.18:
	global_load_dwordx4 v[12:15], v[6:7], off
	s_waitcnt vmcnt(0)
	v_mul_f64 v[28:29], s[28:29], v[14:15]
	v_mul_f64 v[14:15], s[26:27], v[14:15]
	v_fma_f64 v[28:29], s[26:27], v[12:13], -v[28:29]
	v_fmac_f64_e32 v[14:15], s[28:29], v[12:13]
	v_add_f64 v[0:1], v[0:1], v[28:29]
	v_add_f64 v[2:3], v[2:3], v[14:15]
.LBB272_19:
	global_store_dwordx4 v[6:7], v[0:3], off
.LBB272_20:
	s_or_b64 exec, exec, s[6:7]
	v_add_u32_e32 v6, 16, v4
	v_cmp_le_i32_e32 vcc, v6, v10
	s_and_b64 s[6:7], s[2:3], vcc
	v_ashrrev_i32_e32 v7, 31, v6
	s_and_saveexec_b64 s[2:3], s[6:7]
	s_cbranch_execz .LBB272_24
; %bb.21:
	v_mul_f64 v[0:1], s[12:13], v[26:27]
	v_mul_f64 v[2:3], s[10:11], v[26:27]
	v_fma_f64 v[0:1], s[10:11], v[24:25], -v[0:1]
	v_fmac_f64_e32 v[2:3], s[12:13], v[24:25]
	s_and_b64 vcc, exec, s[0:1]
	v_lshl_add_u64 v[8:9], v[6:7], 4, v[8:9]
	s_cbranch_vccnz .LBB272_23
; %bb.22:
	global_load_dwordx4 v[12:15], v[8:9], off
	s_waitcnt vmcnt(0)
	v_mul_f64 v[24:25], s[28:29], v[14:15]
	v_mul_f64 v[14:15], s[26:27], v[14:15]
	v_fma_f64 v[24:25], s[26:27], v[12:13], -v[24:25]
	v_fmac_f64_e32 v[14:15], s[28:29], v[12:13]
	v_add_f64 v[0:1], v[0:1], v[24:25]
	v_add_f64 v[2:3], v[2:3], v[14:15]
.LBB272_23:
	global_store_dwordx4 v[8:9], v[0:3], off
.LBB272_24:
	s_or_b64 exec, exec, s[2:3]
	v_add_u32_e32 v10, 16, v10
	v_ashrrev_i32_e32 v0, 31, v10
	v_mul_lo_u32 v2, s36, v0
	v_mul_lo_u32 v3, s37, v10
	v_mad_u64_u32 v[0:1], s[6:7], s36, v10, 0
	v_cmp_gt_i32_e64 s[2:3], s33, v10
	v_add3_u32 v1, v1, v2, v3
	v_cmp_le_i32_e32 vcc, v4, v10
	v_lshl_add_u64 v[8:9], v[0:1], 4, s[4:5]
	s_and_b64 s[6:7], s[2:3], vcc
	s_and_saveexec_b64 s[4:5], s[6:7]
	s_cbranch_execz .LBB272_28
; %bb.25:
	v_mul_f64 v[0:1], s[12:13], v[22:23]
	v_mul_f64 v[2:3], s[10:11], v[22:23]
	v_fma_f64 v[0:1], s[10:11], v[20:21], -v[0:1]
	v_fmac_f64_e32 v[2:3], s[12:13], v[20:21]
	s_and_b64 vcc, exec, s[0:1]
	v_lshl_add_u64 v[4:5], v[4:5], 4, v[8:9]
	s_cbranch_vccnz .LBB272_27
; %bb.26:
	global_load_dwordx4 v[12:15], v[4:5], off
	s_waitcnt vmcnt(0)
	v_mul_f64 v[20:21], s[28:29], v[14:15]
	v_mul_f64 v[14:15], s[26:27], v[14:15]
	v_fma_f64 v[20:21], s[26:27], v[12:13], -v[20:21]
	v_fmac_f64_e32 v[14:15], s[28:29], v[12:13]
	v_add_f64 v[0:1], v[0:1], v[20:21]
	v_add_f64 v[2:3], v[2:3], v[14:15]
.LBB272_27:
	global_store_dwordx4 v[4:5], v[0:3], off
.LBB272_28:
	s_or_b64 exec, exec, s[4:5]
	v_cmp_le_i32_e32 vcc, v6, v10
	s_and_b64 s[2:3], s[2:3], vcc
	s_and_saveexec_b64 s[4:5], s[2:3]
	s_cbranch_execz .LBB272_32
; %bb.29:
	v_mul_f64 v[0:1], s[12:13], v[16:17]
	v_mul_f64 v[2:3], s[10:11], v[16:17]
	v_fma_f64 v[0:1], s[10:11], v[18:19], -v[0:1]
	v_fmac_f64_e32 v[2:3], s[12:13], v[18:19]
	s_and_b64 vcc, exec, s[0:1]
	v_lshl_add_u64 v[4:5], v[6:7], 4, v[8:9]
	s_cbranch_vccnz .LBB272_31
; %bb.30:
	global_load_dwordx4 v[6:9], v[4:5], off
	s_waitcnt vmcnt(0)
	v_mul_f64 v[10:11], s[28:29], v[8:9]
	v_mul_f64 v[8:9], s[26:27], v[8:9]
	v_fma_f64 v[10:11], s[26:27], v[6:7], -v[10:11]
	v_fmac_f64_e32 v[8:9], s[28:29], v[6:7]
	v_add_f64 v[0:1], v[0:1], v[10:11]
	v_add_f64 v[2:3], v[2:3], v[8:9]
.LBB272_31:
	global_store_dwordx4 v[4:5], v[0:3], off
.LBB272_32:
	s_endpgm
	.section	.rodata,"a",@progbits
	.p2align	6, 0x0
	.amdhsa_kernel _ZL29rocblas_internal_gemmt_kernelIlLi16ELi32ELi8ELc78ELc67ELc85ELb0ELb1E19rocblas_complex_numIdES1_PKS1_PS1_EviT_T9_T10_S5_lS7_S5_lS6_T11_S5_li
		.amdhsa_group_segment_fixed_size 8192
		.amdhsa_private_segment_fixed_size 0
		.amdhsa_kernarg_size 124
		.amdhsa_user_sgpr_count 2
		.amdhsa_user_sgpr_dispatch_ptr 0
		.amdhsa_user_sgpr_queue_ptr 0
		.amdhsa_user_sgpr_kernarg_segment_ptr 1
		.amdhsa_user_sgpr_dispatch_id 0
		.amdhsa_user_sgpr_kernarg_preload_length 0
		.amdhsa_user_sgpr_kernarg_preload_offset 0
		.amdhsa_user_sgpr_private_segment_size 0
		.amdhsa_uses_dynamic_stack 0
		.amdhsa_enable_private_segment 0
		.amdhsa_system_sgpr_workgroup_id_x 1
		.amdhsa_system_sgpr_workgroup_id_y 1
		.amdhsa_system_sgpr_workgroup_id_z 1
		.amdhsa_system_sgpr_workgroup_info 0
		.amdhsa_system_vgpr_workitem_id 1
		.amdhsa_next_free_vgpr 66
		.amdhsa_next_free_sgpr 44
		.amdhsa_accum_offset 68
		.amdhsa_reserve_vcc 1
		.amdhsa_float_round_mode_32 0
		.amdhsa_float_round_mode_16_64 0
		.amdhsa_float_denorm_mode_32 3
		.amdhsa_float_denorm_mode_16_64 3
		.amdhsa_dx10_clamp 1
		.amdhsa_ieee_mode 1
		.amdhsa_fp16_overflow 0
		.amdhsa_tg_split 0
		.amdhsa_exception_fp_ieee_invalid_op 0
		.amdhsa_exception_fp_denorm_src 0
		.amdhsa_exception_fp_ieee_div_zero 0
		.amdhsa_exception_fp_ieee_overflow 0
		.amdhsa_exception_fp_ieee_underflow 0
		.amdhsa_exception_fp_ieee_inexact 0
		.amdhsa_exception_int_div_zero 0
	.end_amdhsa_kernel
	.section	.text._ZL29rocblas_internal_gemmt_kernelIlLi16ELi32ELi8ELc78ELc67ELc85ELb0ELb1E19rocblas_complex_numIdES1_PKS1_PS1_EviT_T9_T10_S5_lS7_S5_lS6_T11_S5_li,"axG",@progbits,_ZL29rocblas_internal_gemmt_kernelIlLi16ELi32ELi8ELc78ELc67ELc85ELb0ELb1E19rocblas_complex_numIdES1_PKS1_PS1_EviT_T9_T10_S5_lS7_S5_lS6_T11_S5_li,comdat
.Lfunc_end272:
	.size	_ZL29rocblas_internal_gemmt_kernelIlLi16ELi32ELi8ELc78ELc67ELc85ELb0ELb1E19rocblas_complex_numIdES1_PKS1_PS1_EviT_T9_T10_S5_lS7_S5_lS6_T11_S5_li, .Lfunc_end272-_ZL29rocblas_internal_gemmt_kernelIlLi16ELi32ELi8ELc78ELc67ELc85ELb0ELb1E19rocblas_complex_numIdES1_PKS1_PS1_EviT_T9_T10_S5_lS7_S5_lS6_T11_S5_li
                                        ; -- End function
	.set _ZL29rocblas_internal_gemmt_kernelIlLi16ELi32ELi8ELc78ELc67ELc85ELb0ELb1E19rocblas_complex_numIdES1_PKS1_PS1_EviT_T9_T10_S5_lS7_S5_lS6_T11_S5_li.num_vgpr, 66
	.set _ZL29rocblas_internal_gemmt_kernelIlLi16ELi32ELi8ELc78ELc67ELc85ELb0ELb1E19rocblas_complex_numIdES1_PKS1_PS1_EviT_T9_T10_S5_lS7_S5_lS6_T11_S5_li.num_agpr, 0
	.set _ZL29rocblas_internal_gemmt_kernelIlLi16ELi32ELi8ELc78ELc67ELc85ELb0ELb1E19rocblas_complex_numIdES1_PKS1_PS1_EviT_T9_T10_S5_lS7_S5_lS6_T11_S5_li.numbered_sgpr, 44
	.set _ZL29rocblas_internal_gemmt_kernelIlLi16ELi32ELi8ELc78ELc67ELc85ELb0ELb1E19rocblas_complex_numIdES1_PKS1_PS1_EviT_T9_T10_S5_lS7_S5_lS6_T11_S5_li.num_named_barrier, 0
	.set _ZL29rocblas_internal_gemmt_kernelIlLi16ELi32ELi8ELc78ELc67ELc85ELb0ELb1E19rocblas_complex_numIdES1_PKS1_PS1_EviT_T9_T10_S5_lS7_S5_lS6_T11_S5_li.private_seg_size, 0
	.set _ZL29rocblas_internal_gemmt_kernelIlLi16ELi32ELi8ELc78ELc67ELc85ELb0ELb1E19rocblas_complex_numIdES1_PKS1_PS1_EviT_T9_T10_S5_lS7_S5_lS6_T11_S5_li.uses_vcc, 1
	.set _ZL29rocblas_internal_gemmt_kernelIlLi16ELi32ELi8ELc78ELc67ELc85ELb0ELb1E19rocblas_complex_numIdES1_PKS1_PS1_EviT_T9_T10_S5_lS7_S5_lS6_T11_S5_li.uses_flat_scratch, 0
	.set _ZL29rocblas_internal_gemmt_kernelIlLi16ELi32ELi8ELc78ELc67ELc85ELb0ELb1E19rocblas_complex_numIdES1_PKS1_PS1_EviT_T9_T10_S5_lS7_S5_lS6_T11_S5_li.has_dyn_sized_stack, 0
	.set _ZL29rocblas_internal_gemmt_kernelIlLi16ELi32ELi8ELc78ELc67ELc85ELb0ELb1E19rocblas_complex_numIdES1_PKS1_PS1_EviT_T9_T10_S5_lS7_S5_lS6_T11_S5_li.has_recursion, 0
	.set _ZL29rocblas_internal_gemmt_kernelIlLi16ELi32ELi8ELc78ELc67ELc85ELb0ELb1E19rocblas_complex_numIdES1_PKS1_PS1_EviT_T9_T10_S5_lS7_S5_lS6_T11_S5_li.has_indirect_call, 0
	.section	.AMDGPU.csdata,"",@progbits
; Kernel info:
; codeLenInByte = 3216
; TotalNumSgprs: 50
; NumVgprs: 66
; NumAgprs: 0
; TotalNumVgprs: 66
; ScratchSize: 0
; MemoryBound: 1
; FloatMode: 240
; IeeeMode: 1
; LDSByteSize: 8192 bytes/workgroup (compile time only)
; SGPRBlocks: 6
; VGPRBlocks: 8
; NumSGPRsForWavesPerEU: 50
; NumVGPRsForWavesPerEU: 66
; AccumOffset: 68
; Occupancy: 7
; WaveLimiterHint : 0
; COMPUTE_PGM_RSRC2:SCRATCH_EN: 0
; COMPUTE_PGM_RSRC2:USER_SGPR: 2
; COMPUTE_PGM_RSRC2:TRAP_HANDLER: 0
; COMPUTE_PGM_RSRC2:TGID_X_EN: 1
; COMPUTE_PGM_RSRC2:TGID_Y_EN: 1
; COMPUTE_PGM_RSRC2:TGID_Z_EN: 1
; COMPUTE_PGM_RSRC2:TIDIG_COMP_CNT: 1
; COMPUTE_PGM_RSRC3_GFX90A:ACCUM_OFFSET: 16
; COMPUTE_PGM_RSRC3_GFX90A:TG_SPLIT: 0
	.section	.text._ZL29rocblas_internal_gemmt_kernelIlLi16ELi32ELi8ELc84ELc78ELc85ELb0ELb0E19rocblas_complex_numIdES1_PKS1_PS1_EviT_T9_T10_S5_lS7_S5_lS6_T11_S5_li,"axG",@progbits,_ZL29rocblas_internal_gemmt_kernelIlLi16ELi32ELi8ELc84ELc78ELc85ELb0ELb0E19rocblas_complex_numIdES1_PKS1_PS1_EviT_T9_T10_S5_lS7_S5_lS6_T11_S5_li,comdat
	.globl	_ZL29rocblas_internal_gemmt_kernelIlLi16ELi32ELi8ELc84ELc78ELc85ELb0ELb0E19rocblas_complex_numIdES1_PKS1_PS1_EviT_T9_T10_S5_lS7_S5_lS6_T11_S5_li ; -- Begin function _ZL29rocblas_internal_gemmt_kernelIlLi16ELi32ELi8ELc84ELc78ELc85ELb0ELb0E19rocblas_complex_numIdES1_PKS1_PS1_EviT_T9_T10_S5_lS7_S5_lS6_T11_S5_li
	.p2align	8
	.type	_ZL29rocblas_internal_gemmt_kernelIlLi16ELi32ELi8ELc84ELc78ELc85ELb0ELb0E19rocblas_complex_numIdES1_PKS1_PS1_EviT_T9_T10_S5_lS7_S5_lS6_T11_S5_li,@function
_ZL29rocblas_internal_gemmt_kernelIlLi16ELi32ELi8ELc84ELc78ELc85ELb0ELb0E19rocblas_complex_numIdES1_PKS1_PS1_EviT_T9_T10_S5_lS7_S5_lS6_T11_S5_li: ; @_ZL29rocblas_internal_gemmt_kernelIlLi16ELi32ELi8ELc84ELc78ELc85ELb0ELb0E19rocblas_complex_numIdES1_PKS1_PS1_EviT_T9_T10_S5_lS7_S5_lS6_T11_S5_li
; %bb.0:
	s_load_dwordx8 s[24:31], s[0:1], 0x48
	s_load_dwordx16 s[8:23], s[0:1], 0x8
	s_mov_b64 s[34:35], 0
	s_waitcnt lgkmcnt(0)
	v_cmp_eq_f64_e64 s[36:37], s[26:27], 1.0
	v_cmp_eq_f64_e64 s[6:7], s[28:29], 0
	s_and_b64 s[36:37], s[36:37], s[6:7]
	s_andn2_b64 vcc, exec, s[36:37]
	s_mov_b64 s[36:37], -1
	s_cbranch_vccnz .LBB273_4
; %bb.1:
	s_cmp_lg_u64 s[8:9], 0
	s_cbranch_scc0 .LBB273_3
; %bb.2:
	v_cmp_neq_f64_e64 s[34:35], s[10:11], 0
	v_cmp_neq_f64_e64 s[36:37], s[12:13], 0
	s_or_b64 s[34:35], s[34:35], s[36:37]
.LBB273_3:
	s_mov_b64 s[36:37], s[34:35]
.LBB273_4:
	s_and_b64 vcc, exec, s[36:37]
	s_cbranch_vccz .LBB273_34
; %bb.5:
	s_load_dwordx4 s[36:39], s[0:1], 0x68
	s_load_dword s33, s[0:1], 0x0
	s_lshl_b32 s34, s2, 5
	s_lshl_b32 s35, s3, 5
	v_cmp_eq_f64_e64 s[0:1], s[10:11], 0
	v_cmp_eq_f64_e64 s[2:3], s[12:13], 0
	s_and_b64 s[0:1], s[0:1], s[2:3]
	v_cmp_lt_i64_e64 s[2:3], s[8:9], 1
	s_or_b64 s[0:1], s[0:1], s[2:3]
	v_and_b32_e32 v1, 0x3ff, v0
	v_bfe_u32 v3, v0, 10, 10
	v_mov_b64_e32 v[24:25], 0
	s_and_b64 vcc, exec, s[0:1]
	v_mov_b64_e32 v[26:27], 0
	v_mov_b64_e32 v[16:17], 0
	;; [unrolled: 1-line block ×7, first 2 shown]
	s_cbranch_vccnz .LBB273_18
; %bb.6:
	s_mul_i32 s0, s25, s4
	s_mul_hi_u32 s1, s24, s4
	s_add_i32 s1, s1, s0
	s_mul_i32 s0, s24, s4
	s_lshl_b64 s[0:1], s[0:1], 4
	s_add_u32 s20, s20, s0
	s_addc_u32 s21, s21, s1
	s_mul_i32 s0, s19, s4
	s_mul_hi_u32 s1, s18, s4
	s_add_i32 s1, s1, s0
	s_mul_i32 s0, s18, s4
	v_lshl_add_u32 v4, v3, 4, v1
	s_lshl_b64 s[0:1], s[0:1], 4
	v_lshrrev_b32_e32 v2, 5, v4
	v_lshrrev_b32_e32 v6, 3, v4
	v_and_b32_e32 v4, 31, v4
	s_add_u32 s14, s14, s0
	v_or_b32_e32 v5, s34, v4
	s_addc_u32 s15, s15, s1
	v_lshlrev_b32_e32 v4, 4, v4
	s_ashr_i32 s5, s34, 31
	v_and_b32_e32 v0, 7, v1
	s_waitcnt lgkmcnt(0)
	v_cmp_gt_i32_e64 s[0:1], s33, v5
	v_cmp_le_i32_e64 s[2:3], s33, v5
	v_lshl_or_b32 v28, v2, 9, v4
	v_mul_lo_u32 v8, s17, v5
	v_mad_u64_u32 v[4:5], s[18:19], s16, v5, 0
	s_mul_i32 s5, s16, s5
	v_add3_u32 v5, v5, s5, v8
	v_lshlrev_b32_e32 v8, 4, v0
	v_add_u32_e32 v7, s35, v6
	v_lshl_or_b32 v6, v6, 7, v8
	v_add_u32_e32 v29, 0x1000, v6
	v_ashrrev_i32_e32 v6, 31, v7
	v_lshl_add_u64 v[4:5], v[4:5], 4, s[14:15]
	v_cmp_gt_i32_e32 vcc, s33, v7
	v_mul_lo_u32 v8, s22, v6
	v_mul_lo_u32 v9, s23, v7
	v_mad_u64_u32 v[6:7], s[14:15], s22, v7, 0
	v_add3_u32 v7, v7, v8, v9
	v_mov_b32_e32 v8, 0x1000
	v_mov_b32_e32 v9, 0
	v_lshl_add_u64 v[6:7], v[6:7], 4, s[20:21]
	v_lshlrev_b32_e32 v30, 4, v1
	v_lshl_add_u32 v31, v3, 7, v8
	v_mov_b64_e32 v[12:13], 0
	s_mov_b64 s[14:15], 0
	s_xor_b64 s[16:17], vcc, -1
	v_mov_b32_e32 v32, v9
	v_mov_b32_e32 v33, v9
	;; [unrolled: 1-line block ×4, first 2 shown]
	v_mov_b64_e32 v[14:15], 0
	v_mov_b64_e32 v[22:23], 0
	;; [unrolled: 1-line block ×7, first 2 shown]
                                        ; implicit-def: $vgpr10_vgpr11
	s_branch .LBB273_8
.LBB273_7:                              ;   in Loop: Header=BB273_8 Depth=1
	s_or_b64 exec, exec, s[18:19]
	s_waitcnt lgkmcnt(0)
	s_barrier
	ds_read_b128 v[36:39], v31
	ds_read_b128 v[40:43], v31 offset:16
	ds_read_b128 v[44:47], v31 offset:32
	;; [unrolled: 1-line block ×3, first 2 shown]
	ds_read_b128 v[52:55], v30
	s_add_u32 s14, s14, 8
	s_addc_u32 s15, s15, 0
	s_waitcnt lgkmcnt(0)
	v_mul_f64 v[56:57], v[38:39], v[54:55]
	v_mul_f64 v[58:59], v[36:37], v[54:55]
	v_fma_f64 v[56:57], v[36:37], v[52:53], -v[56:57]
	v_fmac_f64_e32 v[58:59], v[38:39], v[52:53]
	v_add_f64 v[56:57], v[24:25], v[56:57]
	v_add_f64 v[58:59], v[58:59], v[26:27]
	ds_read_b128 v[24:27], v30 offset:256
	s_waitcnt lgkmcnt(0)
	v_mul_f64 v[60:61], v[38:39], v[26:27]
	v_fma_f64 v[60:61], v[36:37], v[24:25], -v[60:61]
	v_mul_f64 v[36:37], v[36:37], v[26:27]
	v_fmac_f64_e32 v[36:37], v[38:39], v[24:25]
	v_add_f64 v[38:39], v[16:17], v[60:61]
	v_add_f64 v[36:37], v[36:37], v[18:19]
	ds_read_b128 v[16:19], v31 offset:2048
	s_waitcnt lgkmcnt(0)
	v_mul_f64 v[60:61], v[18:19], v[54:55]
	v_fma_f64 v[60:61], v[16:17], v[52:53], -v[60:61]
	v_mul_f64 v[54:55], v[16:17], v[54:55]
	v_fmac_f64_e32 v[54:55], v[18:19], v[52:53]
	v_add_f64 v[52:53], v[20:21], v[60:61]
	v_mul_f64 v[20:21], v[18:19], v[26:27]
	v_fma_f64 v[20:21], v[16:17], v[24:25], -v[20:21]
	v_mul_f64 v[16:17], v[16:17], v[26:27]
	v_fmac_f64_e32 v[16:17], v[18:19], v[24:25]
	v_add_f64 v[24:25], v[14:15], v[20:21]
	v_add_f64 v[26:27], v[16:17], v[12:13]
	ds_read_b128 v[12:15], v30 offset:512
	v_add_f64 v[54:55], v[54:55], v[22:23]
	s_waitcnt lgkmcnt(0)
	v_mul_f64 v[16:17], v[42:43], v[14:15]
	v_mul_f64 v[18:19], v[40:41], v[14:15]
	v_fma_f64 v[16:17], v[40:41], v[12:13], -v[16:17]
	v_fmac_f64_e32 v[18:19], v[42:43], v[12:13]
	v_add_f64 v[56:57], v[56:57], v[16:17]
	v_add_f64 v[58:59], v[18:19], v[58:59]
	ds_read_b128 v[16:19], v30 offset:768
	s_waitcnt lgkmcnt(0)
	v_mul_f64 v[20:21], v[42:43], v[18:19]
	v_mul_f64 v[22:23], v[40:41], v[18:19]
	v_fma_f64 v[20:21], v[40:41], v[16:17], -v[20:21]
	v_fmac_f64_e32 v[22:23], v[42:43], v[16:17]
	v_add_f64 v[38:39], v[38:39], v[20:21]
	v_add_f64 v[36:37], v[22:23], v[36:37]
	ds_read_b128 v[20:23], v31 offset:2064
	s_waitcnt lgkmcnt(0)
	v_mul_f64 v[40:41], v[22:23], v[14:15]
	v_mul_f64 v[14:15], v[20:21], v[14:15]
	v_fmac_f64_e32 v[14:15], v[22:23], v[12:13]
	v_fma_f64 v[40:41], v[20:21], v[12:13], -v[40:41]
	v_add_f64 v[42:43], v[14:15], v[54:55]
	v_mul_f64 v[12:13], v[22:23], v[18:19]
	v_mul_f64 v[14:15], v[20:21], v[18:19]
	v_fma_f64 v[12:13], v[20:21], v[16:17], -v[12:13]
	v_fmac_f64_e32 v[14:15], v[22:23], v[16:17]
	v_add_f64 v[24:25], v[24:25], v[12:13]
	v_add_f64 v[26:27], v[14:15], v[26:27]
	ds_read_b128 v[12:15], v30 offset:1024
	v_add_f64 v[40:41], v[52:53], v[40:41]
	s_waitcnt lgkmcnt(0)
	v_mul_f64 v[16:17], v[46:47], v[14:15]
	v_mul_f64 v[18:19], v[44:45], v[14:15]
	v_fma_f64 v[16:17], v[44:45], v[12:13], -v[16:17]
	v_fmac_f64_e32 v[18:19], v[46:47], v[12:13]
	v_add_f64 v[52:53], v[56:57], v[16:17]
	v_add_f64 v[54:55], v[18:19], v[58:59]
	ds_read_b128 v[16:19], v30 offset:1280
	s_waitcnt lgkmcnt(0)
	v_mul_f64 v[20:21], v[46:47], v[18:19]
	v_mul_f64 v[22:23], v[44:45], v[18:19]
	v_fma_f64 v[20:21], v[44:45], v[16:17], -v[20:21]
	v_fmac_f64_e32 v[22:23], v[46:47], v[16:17]
	v_add_f64 v[38:39], v[38:39], v[20:21]
	v_add_f64 v[36:37], v[22:23], v[36:37]
	ds_read_b128 v[20:23], v31 offset:2080
	s_waitcnt lgkmcnt(0)
	v_mul_f64 v[44:45], v[22:23], v[14:15]
	v_mul_f64 v[14:15], v[20:21], v[14:15]
	v_fmac_f64_e32 v[14:15], v[22:23], v[12:13]
	v_fma_f64 v[44:45], v[20:21], v[12:13], -v[44:45]
	v_add_f64 v[42:43], v[14:15], v[42:43]
	v_mul_f64 v[12:13], v[22:23], v[18:19]
	v_mul_f64 v[14:15], v[20:21], v[18:19]
	v_fma_f64 v[12:13], v[20:21], v[16:17], -v[12:13]
	;; [unrolled: 30-line block ×3, first 2 shown]
	v_fmac_f64_e32 v[14:15], v[22:23], v[16:17]
	v_add_f64 v[24:25], v[24:25], v[12:13]
	v_add_f64 v[26:27], v[14:15], v[26:27]
	ds_read_b128 v[12:15], v31 offset:64
	ds_read_b128 v[16:19], v30 offset:2048
	v_add_f64 v[40:41], v[40:41], v[48:49]
	s_waitcnt lgkmcnt(0)
	v_mul_f64 v[20:21], v[14:15], v[18:19]
	v_mul_f64 v[22:23], v[12:13], v[18:19]
	v_fma_f64 v[20:21], v[12:13], v[16:17], -v[20:21]
	v_fmac_f64_e32 v[22:23], v[14:15], v[16:17]
	v_add_f64 v[44:45], v[44:45], v[20:21]
	v_add_f64 v[46:47], v[22:23], v[46:47]
	ds_read_b128 v[20:23], v30 offset:2304
	s_waitcnt lgkmcnt(0)
	v_mul_f64 v[48:49], v[14:15], v[22:23]
	v_fma_f64 v[48:49], v[12:13], v[20:21], -v[48:49]
	v_mul_f64 v[12:13], v[12:13], v[22:23]
	v_fmac_f64_e32 v[12:13], v[14:15], v[20:21]
	v_add_f64 v[36:37], v[12:13], v[36:37]
	ds_read_b128 v[12:15], v31 offset:2112
	v_add_f64 v[38:39], v[38:39], v[48:49]
	s_waitcnt lgkmcnt(0)
	v_mul_f64 v[48:49], v[14:15], v[18:19]
	v_mul_f64 v[18:19], v[12:13], v[18:19]
	v_fma_f64 v[48:49], v[12:13], v[16:17], -v[48:49]
	v_fmac_f64_e32 v[18:19], v[14:15], v[16:17]
	v_mul_f64 v[16:17], v[14:15], v[22:23]
	v_fma_f64 v[16:17], v[12:13], v[20:21], -v[16:17]
	v_mul_f64 v[12:13], v[12:13], v[22:23]
	v_fmac_f64_e32 v[12:13], v[14:15], v[20:21]
	v_add_f64 v[42:43], v[18:19], v[42:43]
	v_add_f64 v[24:25], v[24:25], v[16:17]
	v_add_f64 v[26:27], v[12:13], v[26:27]
	ds_read_b128 v[12:15], v31 offset:80
	ds_read_b128 v[16:19], v30 offset:2560
	v_add_f64 v[40:41], v[40:41], v[48:49]
	s_waitcnt lgkmcnt(0)
	v_mul_f64 v[20:21], v[14:15], v[18:19]
	v_mul_f64 v[22:23], v[12:13], v[18:19]
	v_fma_f64 v[20:21], v[12:13], v[16:17], -v[20:21]
	v_fmac_f64_e32 v[22:23], v[14:15], v[16:17]
	v_add_f64 v[44:45], v[44:45], v[20:21]
	v_add_f64 v[46:47], v[22:23], v[46:47]
	ds_read_b128 v[20:23], v30 offset:2816
	s_waitcnt lgkmcnt(0)
	v_mul_f64 v[48:49], v[14:15], v[22:23]
	v_fma_f64 v[48:49], v[12:13], v[20:21], -v[48:49]
	v_mul_f64 v[12:13], v[12:13], v[22:23]
	v_fmac_f64_e32 v[12:13], v[14:15], v[20:21]
	v_add_f64 v[36:37], v[12:13], v[36:37]
	ds_read_b128 v[12:15], v31 offset:2128
	v_add_f64 v[38:39], v[38:39], v[48:49]
	s_waitcnt lgkmcnt(0)
	v_mul_f64 v[48:49], v[14:15], v[18:19]
	v_mul_f64 v[18:19], v[12:13], v[18:19]
	v_fma_f64 v[48:49], v[12:13], v[16:17], -v[48:49]
	v_fmac_f64_e32 v[18:19], v[14:15], v[16:17]
	v_mul_f64 v[16:17], v[14:15], v[22:23]
	v_fma_f64 v[16:17], v[12:13], v[20:21], -v[16:17]
	v_mul_f64 v[12:13], v[12:13], v[22:23]
	v_fmac_f64_e32 v[12:13], v[14:15], v[20:21]
	v_add_f64 v[42:43], v[18:19], v[42:43]
	;; [unrolled: 31-line block ×3, first 2 shown]
	ds_read_b128 v[12:15], v31 offset:112
	ds_read_b128 v[20:23], v30 offset:3584
	v_add_f64 v[40:41], v[40:41], v[36:37]
	ds_read_b128 v[36:39], v30 offset:3840
	v_add_f64 v[52:53], v[24:25], v[16:17]
	v_add_f64 v[42:43], v[18:19], v[42:43]
	s_waitcnt lgkmcnt(1)
	v_mul_f64 v[16:17], v[14:15], v[22:23]
	v_fma_f64 v[16:17], v[12:13], v[20:21], -v[16:17]
	v_add_f64 v[24:25], v[44:45], v[16:17]
	s_waitcnt lgkmcnt(0)
	v_mul_f64 v[16:17], v[14:15], v[38:39]
	v_mul_f64 v[18:19], v[12:13], v[22:23]
	v_fma_f64 v[16:17], v[12:13], v[36:37], -v[16:17]
	v_mul_f64 v[12:13], v[12:13], v[38:39]
	v_fmac_f64_e32 v[18:19], v[14:15], v[20:21]
	v_fmac_f64_e32 v[12:13], v[14:15], v[36:37]
	v_add_f64 v[26:27], v[18:19], v[46:47]
	v_add_f64 v[18:19], v[12:13], v[50:51]
	ds_read_b128 v[12:15], v31 offset:2160
	v_add_f64 v[16:17], v[48:49], v[16:17]
	s_waitcnt lgkmcnt(0)
	s_barrier
	v_mul_f64 v[44:45], v[14:15], v[22:23]
	v_fma_f64 v[44:45], v[12:13], v[20:21], -v[44:45]
	v_mul_f64 v[22:23], v[12:13], v[22:23]
	v_fmac_f64_e32 v[22:23], v[14:15], v[20:21]
	v_add_f64 v[20:21], v[40:41], v[44:45]
	v_mul_f64 v[40:41], v[14:15], v[38:39]
	v_fma_f64 v[40:41], v[12:13], v[36:37], -v[40:41]
	v_mul_f64 v[12:13], v[12:13], v[38:39]
	v_fmac_f64_e32 v[12:13], v[14:15], v[36:37]
	v_mov_b64_e32 v[36:37], s[14:15]
	v_cmp_gt_i64_e32 vcc, s[8:9], v[36:37]
	v_add_f64 v[22:23], v[22:23], v[42:43]
	v_add_f64 v[14:15], v[52:53], v[40:41]
	;; [unrolled: 1-line block ×3, first 2 shown]
	s_cbranch_vccz .LBB273_18
.LBB273_8:                              ; =>This Inner Loop Header: Depth=1
	s_mov_b64 s[22:23], s[2:3]
	s_mov_b64 s[18:19], 0
	s_and_saveexec_b64 s[20:21], s[0:1]
	s_cbranch_execnz .LBB273_16
; %bb.9:                                ;   in Loop: Header=BB273_8 Depth=1
	s_or_b64 exec, exec, s[20:21]
	s_and_saveexec_b64 s[20:21], s[22:23]
	s_xor_b64 s[20:21], exec, s[20:21]
	s_cbranch_execnz .LBB273_17
.LBB273_10:                             ;   in Loop: Header=BB273_8 Depth=1
	s_or_b64 exec, exec, s[20:21]
	s_and_saveexec_b64 s[20:21], s[18:19]
	s_cbranch_execz .LBB273_12
.LBB273_11:                             ;   in Loop: Header=BB273_8 Depth=1
	v_lshl_add_u64 v[36:37], v[10:11], 4, v[4:5]
	global_load_dwordx4 v[36:39], v[36:37], off
	s_waitcnt vmcnt(0)
	ds_write2_b64 v28, v[36:37], v[38:39] offset1:1
.LBB273_12:                             ;   in Loop: Header=BB273_8 Depth=1
	s_or_b64 exec, exec, s[20:21]
	v_add_u32_e32 v8, s14, v0
	v_cmp_le_u64_e32 vcc, s[8:9], v[8:9]
	s_or_b64 s[18:19], vcc, s[16:17]
	s_and_saveexec_b64 s[20:21], s[18:19]
	s_xor_b64 s[18:19], exec, s[20:21]
; %bb.13:                               ;   in Loop: Header=BB273_8 Depth=1
	ds_write_b128 v29, v[32:35]
; %bb.14:                               ;   in Loop: Header=BB273_8 Depth=1
	s_andn2_saveexec_b64 s[18:19], s[18:19]
	s_cbranch_execz .LBB273_7
; %bb.15:                               ;   in Loop: Header=BB273_8 Depth=1
	v_lshl_add_u64 v[36:37], v[8:9], 4, v[6:7]
	global_load_dwordx4 v[36:39], v[36:37], off
	s_waitcnt vmcnt(0)
	ds_write2_b64 v29, v[36:37], v[38:39] offset1:1
	s_branch .LBB273_7
.LBB273_16:                             ;   in Loop: Header=BB273_8 Depth=1
	v_add_u32_e32 v8, s14, v2
	v_cmp_le_u64_e32 vcc, s[8:9], v[8:9]
	s_andn2_b64 s[22:23], s[2:3], exec
	s_and_b64 s[24:25], vcc, exec
	s_mov_b64 s[18:19], exec
	s_or_b64 s[22:23], s[22:23], s[24:25]
	v_mov_b64_e32 v[10:11], v[8:9]
	s_or_b64 exec, exec, s[20:21]
	s_and_saveexec_b64 s[20:21], s[22:23]
	s_xor_b64 s[20:21], exec, s[20:21]
	s_cbranch_execz .LBB273_10
.LBB273_17:                             ;   in Loop: Header=BB273_8 Depth=1
	ds_write_b128 v28, v[32:35]
	s_andn2_b64 s[18:19], s[18:19], exec
	s_or_b64 exec, exec, s[20:21]
	s_and_saveexec_b64 s[20:21], s[18:19]
	s_cbranch_execnz .LBB273_11
	s_branch .LBB273_12
.LBB273_18:
	s_waitcnt lgkmcnt(0)
	s_mul_i32 s0, s39, s4
	s_mul_hi_u32 s1, s38, s4
	s_add_i32 s1, s1, s0
	s_mul_i32 s0, s38, s4
	s_lshl_b64 s[0:1], s[0:1], 4
	v_add_u32_e32 v10, s35, v3
	s_add_u32 s4, s30, s0
	v_ashrrev_i32_e32 v0, 31, v10
	s_addc_u32 s5, s31, s1
	v_add_u32_e32 v4, s34, v1
	v_cmp_neq_f64_e64 s[0:1], s[26:27], 0
	s_xor_b64 s[6:7], s[6:7], -1
	v_mul_lo_u32 v2, s36, v0
	v_mul_lo_u32 v3, s37, v10
	v_mad_u64_u32 v[0:1], s[8:9], s36, v10, 0
	v_add3_u32 v1, v1, v2, v3
	s_or_b64 s[0:1], s[0:1], s[6:7]
	v_cmp_gt_i32_e64 s[2:3], s33, v10
	v_lshl_add_u64 v[8:9], v[0:1], 4, s[4:5]
	v_cmp_le_i32_e32 vcc, v4, v10
	v_cndmask_b32_e64 v0, 0, 1, s[0:1]
	s_and_b64 s[8:9], s[2:3], vcc
	v_ashrrev_i32_e32 v5, 31, v4
	v_cmp_ne_u32_e64 s[0:1], 1, v0
	s_and_saveexec_b64 s[6:7], s[8:9]
	s_cbranch_execz .LBB273_22
; %bb.19:
	v_mul_f64 v[0:1], s[12:13], v[26:27]
	v_mul_f64 v[2:3], s[10:11], v[26:27]
	v_fma_f64 v[0:1], s[10:11], v[24:25], -v[0:1]
	v_fmac_f64_e32 v[2:3], s[12:13], v[24:25]
	s_and_b64 vcc, exec, s[0:1]
	v_lshl_add_u64 v[6:7], v[4:5], 4, v[8:9]
	s_cbranch_vccnz .LBB273_21
; %bb.20:
	global_load_dwordx4 v[24:27], v[6:7], off
	s_waitcnt vmcnt(0)
	v_mul_f64 v[28:29], s[28:29], v[26:27]
	v_mul_f64 v[26:27], s[26:27], v[26:27]
	v_fma_f64 v[28:29], s[26:27], v[24:25], -v[28:29]
	v_fmac_f64_e32 v[26:27], s[28:29], v[24:25]
	v_add_f64 v[0:1], v[0:1], v[28:29]
	v_add_f64 v[2:3], v[2:3], v[26:27]
.LBB273_21:
	global_store_dwordx4 v[6:7], v[0:3], off
.LBB273_22:
	s_or_b64 exec, exec, s[6:7]
	v_add_u32_e32 v6, 16, v4
	v_cmp_le_i32_e32 vcc, v6, v10
	s_and_b64 s[6:7], s[2:3], vcc
	v_ashrrev_i32_e32 v7, 31, v6
	s_and_saveexec_b64 s[2:3], s[6:7]
	s_cbranch_execz .LBB273_26
; %bb.23:
	v_mul_f64 v[0:1], s[12:13], v[18:19]
	v_mul_f64 v[2:3], s[10:11], v[18:19]
	v_fma_f64 v[0:1], s[10:11], v[16:17], -v[0:1]
	v_fmac_f64_e32 v[2:3], s[12:13], v[16:17]
	s_and_b64 vcc, exec, s[0:1]
	v_lshl_add_u64 v[8:9], v[6:7], 4, v[8:9]
	s_cbranch_vccnz .LBB273_25
; %bb.24:
	global_load_dwordx4 v[16:19], v[8:9], off
	s_waitcnt vmcnt(0)
	v_mul_f64 v[24:25], s[28:29], v[18:19]
	v_mul_f64 v[18:19], s[26:27], v[18:19]
	v_fma_f64 v[24:25], s[26:27], v[16:17], -v[24:25]
	v_fmac_f64_e32 v[18:19], s[28:29], v[16:17]
	v_add_f64 v[0:1], v[0:1], v[24:25]
	v_add_f64 v[2:3], v[2:3], v[18:19]
.LBB273_25:
	global_store_dwordx4 v[8:9], v[0:3], off
.LBB273_26:
	s_or_b64 exec, exec, s[2:3]
	v_add_u32_e32 v10, 16, v10
	v_ashrrev_i32_e32 v0, 31, v10
	v_mul_lo_u32 v2, s36, v0
	v_mul_lo_u32 v3, s37, v10
	v_mad_u64_u32 v[0:1], s[6:7], s36, v10, 0
	v_cmp_gt_i32_e64 s[2:3], s33, v10
	v_add3_u32 v1, v1, v2, v3
	v_cmp_le_i32_e32 vcc, v4, v10
	v_lshl_add_u64 v[8:9], v[0:1], 4, s[4:5]
	s_and_b64 s[6:7], s[2:3], vcc
	s_and_saveexec_b64 s[4:5], s[6:7]
	s_cbranch_execz .LBB273_30
; %bb.27:
	v_mul_f64 v[0:1], s[12:13], v[22:23]
	v_mul_f64 v[2:3], s[10:11], v[22:23]
	v_fma_f64 v[0:1], s[10:11], v[20:21], -v[0:1]
	v_fmac_f64_e32 v[2:3], s[12:13], v[20:21]
	s_and_b64 vcc, exec, s[0:1]
	v_lshl_add_u64 v[4:5], v[4:5], 4, v[8:9]
	s_cbranch_vccnz .LBB273_29
; %bb.28:
	global_load_dwordx4 v[16:19], v[4:5], off
	s_waitcnt vmcnt(0)
	v_mul_f64 v[20:21], s[28:29], v[18:19]
	v_mul_f64 v[18:19], s[26:27], v[18:19]
	v_fma_f64 v[20:21], s[26:27], v[16:17], -v[20:21]
	v_fmac_f64_e32 v[18:19], s[28:29], v[16:17]
	v_add_f64 v[0:1], v[0:1], v[20:21]
	v_add_f64 v[2:3], v[2:3], v[18:19]
.LBB273_29:
	global_store_dwordx4 v[4:5], v[0:3], off
.LBB273_30:
	s_or_b64 exec, exec, s[4:5]
	v_cmp_le_i32_e32 vcc, v6, v10
	s_and_b64 s[2:3], s[2:3], vcc
	s_and_saveexec_b64 s[4:5], s[2:3]
	s_cbranch_execz .LBB273_34
; %bb.31:
	v_mul_f64 v[0:1], s[12:13], v[12:13]
	v_mul_f64 v[2:3], s[10:11], v[12:13]
	v_fma_f64 v[0:1], s[10:11], v[14:15], -v[0:1]
	v_fmac_f64_e32 v[2:3], s[12:13], v[14:15]
	s_and_b64 vcc, exec, s[0:1]
	v_lshl_add_u64 v[4:5], v[6:7], 4, v[8:9]
	s_cbranch_vccnz .LBB273_33
; %bb.32:
	global_load_dwordx4 v[6:9], v[4:5], off
	s_waitcnt vmcnt(0)
	v_mul_f64 v[10:11], s[28:29], v[8:9]
	v_mul_f64 v[8:9], s[26:27], v[8:9]
	v_fma_f64 v[10:11], s[26:27], v[6:7], -v[10:11]
	v_fmac_f64_e32 v[8:9], s[28:29], v[6:7]
	v_add_f64 v[0:1], v[0:1], v[10:11]
	v_add_f64 v[2:3], v[2:3], v[8:9]
.LBB273_33:
	global_store_dwordx4 v[4:5], v[0:3], off
.LBB273_34:
	s_endpgm
	.section	.rodata,"a",@progbits
	.p2align	6, 0x0
	.amdhsa_kernel _ZL29rocblas_internal_gemmt_kernelIlLi16ELi32ELi8ELc84ELc78ELc85ELb0ELb0E19rocblas_complex_numIdES1_PKS1_PS1_EviT_T9_T10_S5_lS7_S5_lS6_T11_S5_li
		.amdhsa_group_segment_fixed_size 8192
		.amdhsa_private_segment_fixed_size 0
		.amdhsa_kernarg_size 124
		.amdhsa_user_sgpr_count 2
		.amdhsa_user_sgpr_dispatch_ptr 0
		.amdhsa_user_sgpr_queue_ptr 0
		.amdhsa_user_sgpr_kernarg_segment_ptr 1
		.amdhsa_user_sgpr_dispatch_id 0
		.amdhsa_user_sgpr_kernarg_preload_length 0
		.amdhsa_user_sgpr_kernarg_preload_offset 0
		.amdhsa_user_sgpr_private_segment_size 0
		.amdhsa_uses_dynamic_stack 0
		.amdhsa_enable_private_segment 0
		.amdhsa_system_sgpr_workgroup_id_x 1
		.amdhsa_system_sgpr_workgroup_id_y 1
		.amdhsa_system_sgpr_workgroup_id_z 1
		.amdhsa_system_sgpr_workgroup_info 0
		.amdhsa_system_vgpr_workitem_id 1
		.amdhsa_next_free_vgpr 62
		.amdhsa_next_free_sgpr 40
		.amdhsa_accum_offset 64
		.amdhsa_reserve_vcc 1
		.amdhsa_float_round_mode_32 0
		.amdhsa_float_round_mode_16_64 0
		.amdhsa_float_denorm_mode_32 3
		.amdhsa_float_denorm_mode_16_64 3
		.amdhsa_dx10_clamp 1
		.amdhsa_ieee_mode 1
		.amdhsa_fp16_overflow 0
		.amdhsa_tg_split 0
		.amdhsa_exception_fp_ieee_invalid_op 0
		.amdhsa_exception_fp_denorm_src 0
		.amdhsa_exception_fp_ieee_div_zero 0
		.amdhsa_exception_fp_ieee_overflow 0
		.amdhsa_exception_fp_ieee_underflow 0
		.amdhsa_exception_fp_ieee_inexact 0
		.amdhsa_exception_int_div_zero 0
	.end_amdhsa_kernel
	.section	.text._ZL29rocblas_internal_gemmt_kernelIlLi16ELi32ELi8ELc84ELc78ELc85ELb0ELb0E19rocblas_complex_numIdES1_PKS1_PS1_EviT_T9_T10_S5_lS7_S5_lS6_T11_S5_li,"axG",@progbits,_ZL29rocblas_internal_gemmt_kernelIlLi16ELi32ELi8ELc84ELc78ELc85ELb0ELb0E19rocblas_complex_numIdES1_PKS1_PS1_EviT_T9_T10_S5_lS7_S5_lS6_T11_S5_li,comdat
.Lfunc_end273:
	.size	_ZL29rocblas_internal_gemmt_kernelIlLi16ELi32ELi8ELc84ELc78ELc85ELb0ELb0E19rocblas_complex_numIdES1_PKS1_PS1_EviT_T9_T10_S5_lS7_S5_lS6_T11_S5_li, .Lfunc_end273-_ZL29rocblas_internal_gemmt_kernelIlLi16ELi32ELi8ELc84ELc78ELc85ELb0ELb0E19rocblas_complex_numIdES1_PKS1_PS1_EviT_T9_T10_S5_lS7_S5_lS6_T11_S5_li
                                        ; -- End function
	.set _ZL29rocblas_internal_gemmt_kernelIlLi16ELi32ELi8ELc84ELc78ELc85ELb0ELb0E19rocblas_complex_numIdES1_PKS1_PS1_EviT_T9_T10_S5_lS7_S5_lS6_T11_S5_li.num_vgpr, 62
	.set _ZL29rocblas_internal_gemmt_kernelIlLi16ELi32ELi8ELc84ELc78ELc85ELb0ELb0E19rocblas_complex_numIdES1_PKS1_PS1_EviT_T9_T10_S5_lS7_S5_lS6_T11_S5_li.num_agpr, 0
	.set _ZL29rocblas_internal_gemmt_kernelIlLi16ELi32ELi8ELc84ELc78ELc85ELb0ELb0E19rocblas_complex_numIdES1_PKS1_PS1_EviT_T9_T10_S5_lS7_S5_lS6_T11_S5_li.numbered_sgpr, 40
	.set _ZL29rocblas_internal_gemmt_kernelIlLi16ELi32ELi8ELc84ELc78ELc85ELb0ELb0E19rocblas_complex_numIdES1_PKS1_PS1_EviT_T9_T10_S5_lS7_S5_lS6_T11_S5_li.num_named_barrier, 0
	.set _ZL29rocblas_internal_gemmt_kernelIlLi16ELi32ELi8ELc84ELc78ELc85ELb0ELb0E19rocblas_complex_numIdES1_PKS1_PS1_EviT_T9_T10_S5_lS7_S5_lS6_T11_S5_li.private_seg_size, 0
	.set _ZL29rocblas_internal_gemmt_kernelIlLi16ELi32ELi8ELc84ELc78ELc85ELb0ELb0E19rocblas_complex_numIdES1_PKS1_PS1_EviT_T9_T10_S5_lS7_S5_lS6_T11_S5_li.uses_vcc, 1
	.set _ZL29rocblas_internal_gemmt_kernelIlLi16ELi32ELi8ELc84ELc78ELc85ELb0ELb0E19rocblas_complex_numIdES1_PKS1_PS1_EviT_T9_T10_S5_lS7_S5_lS6_T11_S5_li.uses_flat_scratch, 0
	.set _ZL29rocblas_internal_gemmt_kernelIlLi16ELi32ELi8ELc84ELc78ELc85ELb0ELb0E19rocblas_complex_numIdES1_PKS1_PS1_EviT_T9_T10_S5_lS7_S5_lS6_T11_S5_li.has_dyn_sized_stack, 0
	.set _ZL29rocblas_internal_gemmt_kernelIlLi16ELi32ELi8ELc84ELc78ELc85ELb0ELb0E19rocblas_complex_numIdES1_PKS1_PS1_EviT_T9_T10_S5_lS7_S5_lS6_T11_S5_li.has_recursion, 0
	.set _ZL29rocblas_internal_gemmt_kernelIlLi16ELi32ELi8ELc84ELc78ELc85ELb0ELb0E19rocblas_complex_numIdES1_PKS1_PS1_EviT_T9_T10_S5_lS7_S5_lS6_T11_S5_li.has_indirect_call, 0
	.section	.AMDGPU.csdata,"",@progbits
; Kernel info:
; codeLenInByte = 3236
; TotalNumSgprs: 46
; NumVgprs: 62
; NumAgprs: 0
; TotalNumVgprs: 62
; ScratchSize: 0
; MemoryBound: 0
; FloatMode: 240
; IeeeMode: 1
; LDSByteSize: 8192 bytes/workgroup (compile time only)
; SGPRBlocks: 5
; VGPRBlocks: 7
; NumSGPRsForWavesPerEU: 46
; NumVGPRsForWavesPerEU: 62
; AccumOffset: 64
; Occupancy: 8
; WaveLimiterHint : 0
; COMPUTE_PGM_RSRC2:SCRATCH_EN: 0
; COMPUTE_PGM_RSRC2:USER_SGPR: 2
; COMPUTE_PGM_RSRC2:TRAP_HANDLER: 0
; COMPUTE_PGM_RSRC2:TGID_X_EN: 1
; COMPUTE_PGM_RSRC2:TGID_Y_EN: 1
; COMPUTE_PGM_RSRC2:TGID_Z_EN: 1
; COMPUTE_PGM_RSRC2:TIDIG_COMP_CNT: 1
; COMPUTE_PGM_RSRC3_GFX90A:ACCUM_OFFSET: 15
; COMPUTE_PGM_RSRC3_GFX90A:TG_SPLIT: 0
	.section	.text._ZL29rocblas_internal_gemmt_kernelIlLi16ELi32ELi8ELc84ELc84ELc85ELb0ELb0E19rocblas_complex_numIdES1_PKS1_PS1_EviT_T9_T10_S5_lS7_S5_lS6_T11_S5_li,"axG",@progbits,_ZL29rocblas_internal_gemmt_kernelIlLi16ELi32ELi8ELc84ELc84ELc85ELb0ELb0E19rocblas_complex_numIdES1_PKS1_PS1_EviT_T9_T10_S5_lS7_S5_lS6_T11_S5_li,comdat
	.globl	_ZL29rocblas_internal_gemmt_kernelIlLi16ELi32ELi8ELc84ELc84ELc85ELb0ELb0E19rocblas_complex_numIdES1_PKS1_PS1_EviT_T9_T10_S5_lS7_S5_lS6_T11_S5_li ; -- Begin function _ZL29rocblas_internal_gemmt_kernelIlLi16ELi32ELi8ELc84ELc84ELc85ELb0ELb0E19rocblas_complex_numIdES1_PKS1_PS1_EviT_T9_T10_S5_lS7_S5_lS6_T11_S5_li
	.p2align	8
	.type	_ZL29rocblas_internal_gemmt_kernelIlLi16ELi32ELi8ELc84ELc84ELc85ELb0ELb0E19rocblas_complex_numIdES1_PKS1_PS1_EviT_T9_T10_S5_lS7_S5_lS6_T11_S5_li,@function
_ZL29rocblas_internal_gemmt_kernelIlLi16ELi32ELi8ELc84ELc84ELc85ELb0ELb0E19rocblas_complex_numIdES1_PKS1_PS1_EviT_T9_T10_S5_lS7_S5_lS6_T11_S5_li: ; @_ZL29rocblas_internal_gemmt_kernelIlLi16ELi32ELi8ELc84ELc84ELc85ELb0ELb0E19rocblas_complex_numIdES1_PKS1_PS1_EviT_T9_T10_S5_lS7_S5_lS6_T11_S5_li
; %bb.0:
	s_load_dwordx8 s[24:31], s[0:1], 0x48
	s_load_dwordx16 s[8:23], s[0:1], 0x8
	s_mov_b64 s[34:35], 0
	s_waitcnt lgkmcnt(0)
	v_cmp_eq_f64_e64 s[36:37], s[26:27], 1.0
	v_cmp_eq_f64_e64 s[6:7], s[28:29], 0
	s_and_b64 s[36:37], s[36:37], s[6:7]
	s_andn2_b64 vcc, exec, s[36:37]
	s_mov_b64 s[36:37], -1
	s_cbranch_vccnz .LBB274_4
; %bb.1:
	s_cmp_lg_u64 s[8:9], 0
	s_cbranch_scc0 .LBB274_3
; %bb.2:
	v_cmp_neq_f64_e64 s[34:35], s[10:11], 0
	v_cmp_neq_f64_e64 s[36:37], s[12:13], 0
	s_or_b64 s[34:35], s[34:35], s[36:37]
.LBB274_3:
	s_mov_b64 s[36:37], s[34:35]
.LBB274_4:
	s_and_b64 vcc, exec, s[36:37]
	s_cbranch_vccz .LBB274_34
; %bb.5:
	s_load_dwordx4 s[36:39], s[0:1], 0x68
	s_load_dword s33, s[0:1], 0x0
	s_lshl_b32 s34, s2, 5
	s_lshl_b32 s35, s3, 5
	v_cmp_eq_f64_e64 s[0:1], s[10:11], 0
	v_cmp_eq_f64_e64 s[2:3], s[12:13], 0
	s_and_b64 s[0:1], s[0:1], s[2:3]
	v_cmp_lt_i64_e64 s[2:3], s[8:9], 1
	s_or_b64 s[0:1], s[0:1], s[2:3]
	v_and_b32_e32 v1, 0x3ff, v0
	v_bfe_u32 v3, v0, 10, 10
	v_mov_b64_e32 v[24:25], 0
	s_and_b64 vcc, exec, s[0:1]
	v_mov_b64_e32 v[26:27], 0
	v_mov_b64_e32 v[16:17], 0
	;; [unrolled: 1-line block ×7, first 2 shown]
	s_cbranch_vccnz .LBB274_18
; %bb.6:
	s_mul_i32 s0, s25, s4
	s_mul_hi_u32 s1, s24, s4
	s_add_i32 s1, s1, s0
	s_mul_i32 s0, s24, s4
	s_lshl_b64 s[0:1], s[0:1], 4
	s_add_u32 s20, s20, s0
	s_addc_u32 s21, s21, s1
	s_mul_i32 s0, s19, s4
	s_mul_hi_u32 s1, s18, s4
	s_add_i32 s1, s1, s0
	s_mul_i32 s0, s18, s4
	v_lshl_add_u32 v4, v3, 4, v1
	s_lshl_b64 s[0:1], s[0:1], 4
	v_lshrrev_b32_e32 v2, 5, v4
	v_lshrrev_b32_e32 v7, 3, v4
	v_and_b32_e32 v4, 31, v4
	s_add_u32 s14, s14, s0
	v_or_b32_e32 v5, s34, v4
	s_addc_u32 s15, s15, s1
	v_lshlrev_b32_e32 v4, 4, v4
	s_ashr_i32 s5, s34, 31
	v_and_b32_e32 v0, 7, v1
	s_waitcnt lgkmcnt(0)
	v_cmp_gt_i32_e64 s[0:1], s33, v5
	v_cmp_le_i32_e64 s[2:3], s33, v5
	v_lshl_or_b32 v28, v2, 9, v4
	v_mul_lo_u32 v8, s17, v5
	v_mad_u64_u32 v[4:5], s[18:19], s16, v5, 0
	s_mul_i32 s5, s16, s5
	v_add3_u32 v5, v5, s5, v8
	v_lshlrev_b32_e32 v8, 4, v0
	v_add_u32_e32 v6, s35, v7
	v_lshl_or_b32 v7, v7, 7, v8
	v_cmp_gt_i32_e32 vcc, s33, v6
	v_add_u32_e32 v29, 0x1000, v7
	v_ashrrev_i32_e32 v7, 31, v6
	v_mov_b32_e32 v8, 0x1000
	v_mov_b32_e32 v9, 0
	v_lshl_add_u64 v[4:5], v[4:5], 4, s[14:15]
	v_lshl_add_u64 v[6:7], v[6:7], 4, s[20:21]
	v_lshlrev_b32_e32 v30, 4, v1
	v_lshl_add_u32 v31, v3, 7, v8
	v_mov_b64_e32 v[12:13], 0
	s_mov_b64 s[14:15], 0
	s_xor_b64 s[16:17], vcc, -1
	v_mov_b32_e32 v32, v9
	v_mov_b32_e32 v33, v9
	;; [unrolled: 1-line block ×4, first 2 shown]
	v_mov_b64_e32 v[14:15], 0
	v_mov_b64_e32 v[22:23], 0
	;; [unrolled: 1-line block ×7, first 2 shown]
                                        ; implicit-def: $vgpr10_vgpr11
	s_branch .LBB274_8
.LBB274_7:                              ;   in Loop: Header=BB274_8 Depth=1
	s_or_b64 exec, exec, s[18:19]
	s_waitcnt lgkmcnt(0)
	s_barrier
	ds_read_b128 v[36:39], v31
	ds_read_b128 v[40:43], v31 offset:16
	ds_read_b128 v[44:47], v31 offset:32
	;; [unrolled: 1-line block ×3, first 2 shown]
	ds_read_b128 v[52:55], v30
	s_add_u32 s14, s14, 8
	s_addc_u32 s15, s15, 0
	s_waitcnt lgkmcnt(0)
	v_mul_f64 v[56:57], v[38:39], v[54:55]
	v_mul_f64 v[58:59], v[36:37], v[54:55]
	v_fma_f64 v[56:57], v[36:37], v[52:53], -v[56:57]
	v_fmac_f64_e32 v[58:59], v[38:39], v[52:53]
	v_add_f64 v[56:57], v[24:25], v[56:57]
	v_add_f64 v[58:59], v[58:59], v[26:27]
	ds_read_b128 v[24:27], v30 offset:256
	s_waitcnt lgkmcnt(0)
	v_mul_f64 v[60:61], v[38:39], v[26:27]
	v_fma_f64 v[60:61], v[36:37], v[24:25], -v[60:61]
	v_mul_f64 v[36:37], v[36:37], v[26:27]
	v_fmac_f64_e32 v[36:37], v[38:39], v[24:25]
	v_add_f64 v[38:39], v[16:17], v[60:61]
	v_add_f64 v[36:37], v[36:37], v[18:19]
	ds_read_b128 v[16:19], v31 offset:2048
	s_waitcnt lgkmcnt(0)
	v_mul_f64 v[60:61], v[18:19], v[54:55]
	v_fma_f64 v[60:61], v[16:17], v[52:53], -v[60:61]
	v_mul_f64 v[54:55], v[16:17], v[54:55]
	v_fmac_f64_e32 v[54:55], v[18:19], v[52:53]
	v_add_f64 v[52:53], v[20:21], v[60:61]
	v_mul_f64 v[20:21], v[18:19], v[26:27]
	v_fma_f64 v[20:21], v[16:17], v[24:25], -v[20:21]
	v_mul_f64 v[16:17], v[16:17], v[26:27]
	v_fmac_f64_e32 v[16:17], v[18:19], v[24:25]
	v_add_f64 v[24:25], v[14:15], v[20:21]
	v_add_f64 v[26:27], v[16:17], v[12:13]
	ds_read_b128 v[12:15], v30 offset:512
	v_add_f64 v[54:55], v[54:55], v[22:23]
	s_waitcnt lgkmcnt(0)
	v_mul_f64 v[16:17], v[42:43], v[14:15]
	v_mul_f64 v[18:19], v[40:41], v[14:15]
	v_fma_f64 v[16:17], v[40:41], v[12:13], -v[16:17]
	v_fmac_f64_e32 v[18:19], v[42:43], v[12:13]
	v_add_f64 v[56:57], v[56:57], v[16:17]
	v_add_f64 v[58:59], v[18:19], v[58:59]
	ds_read_b128 v[16:19], v30 offset:768
	s_waitcnt lgkmcnt(0)
	v_mul_f64 v[20:21], v[42:43], v[18:19]
	v_mul_f64 v[22:23], v[40:41], v[18:19]
	v_fma_f64 v[20:21], v[40:41], v[16:17], -v[20:21]
	v_fmac_f64_e32 v[22:23], v[42:43], v[16:17]
	v_add_f64 v[38:39], v[38:39], v[20:21]
	v_add_f64 v[36:37], v[22:23], v[36:37]
	ds_read_b128 v[20:23], v31 offset:2064
	s_waitcnt lgkmcnt(0)
	v_mul_f64 v[40:41], v[22:23], v[14:15]
	v_mul_f64 v[14:15], v[20:21], v[14:15]
	v_fmac_f64_e32 v[14:15], v[22:23], v[12:13]
	v_fma_f64 v[40:41], v[20:21], v[12:13], -v[40:41]
	v_add_f64 v[42:43], v[14:15], v[54:55]
	v_mul_f64 v[12:13], v[22:23], v[18:19]
	v_mul_f64 v[14:15], v[20:21], v[18:19]
	v_fma_f64 v[12:13], v[20:21], v[16:17], -v[12:13]
	v_fmac_f64_e32 v[14:15], v[22:23], v[16:17]
	v_add_f64 v[24:25], v[24:25], v[12:13]
	v_add_f64 v[26:27], v[14:15], v[26:27]
	ds_read_b128 v[12:15], v30 offset:1024
	v_add_f64 v[40:41], v[52:53], v[40:41]
	s_waitcnt lgkmcnt(0)
	v_mul_f64 v[16:17], v[46:47], v[14:15]
	v_mul_f64 v[18:19], v[44:45], v[14:15]
	v_fma_f64 v[16:17], v[44:45], v[12:13], -v[16:17]
	v_fmac_f64_e32 v[18:19], v[46:47], v[12:13]
	v_add_f64 v[52:53], v[56:57], v[16:17]
	v_add_f64 v[54:55], v[18:19], v[58:59]
	ds_read_b128 v[16:19], v30 offset:1280
	s_waitcnt lgkmcnt(0)
	v_mul_f64 v[20:21], v[46:47], v[18:19]
	v_mul_f64 v[22:23], v[44:45], v[18:19]
	v_fma_f64 v[20:21], v[44:45], v[16:17], -v[20:21]
	v_fmac_f64_e32 v[22:23], v[46:47], v[16:17]
	v_add_f64 v[38:39], v[38:39], v[20:21]
	v_add_f64 v[36:37], v[22:23], v[36:37]
	ds_read_b128 v[20:23], v31 offset:2080
	s_waitcnt lgkmcnt(0)
	v_mul_f64 v[44:45], v[22:23], v[14:15]
	v_mul_f64 v[14:15], v[20:21], v[14:15]
	v_fmac_f64_e32 v[14:15], v[22:23], v[12:13]
	v_fma_f64 v[44:45], v[20:21], v[12:13], -v[44:45]
	v_add_f64 v[42:43], v[14:15], v[42:43]
	v_mul_f64 v[12:13], v[22:23], v[18:19]
	v_mul_f64 v[14:15], v[20:21], v[18:19]
	v_fma_f64 v[12:13], v[20:21], v[16:17], -v[12:13]
	;; [unrolled: 30-line block ×3, first 2 shown]
	v_fmac_f64_e32 v[14:15], v[22:23], v[16:17]
	v_add_f64 v[24:25], v[24:25], v[12:13]
	v_add_f64 v[26:27], v[14:15], v[26:27]
	ds_read_b128 v[12:15], v31 offset:64
	ds_read_b128 v[16:19], v30 offset:2048
	v_add_f64 v[40:41], v[40:41], v[48:49]
	s_waitcnt lgkmcnt(0)
	v_mul_f64 v[20:21], v[14:15], v[18:19]
	v_mul_f64 v[22:23], v[12:13], v[18:19]
	v_fma_f64 v[20:21], v[12:13], v[16:17], -v[20:21]
	v_fmac_f64_e32 v[22:23], v[14:15], v[16:17]
	v_add_f64 v[44:45], v[44:45], v[20:21]
	v_add_f64 v[46:47], v[22:23], v[46:47]
	ds_read_b128 v[20:23], v30 offset:2304
	s_waitcnt lgkmcnt(0)
	v_mul_f64 v[48:49], v[14:15], v[22:23]
	v_fma_f64 v[48:49], v[12:13], v[20:21], -v[48:49]
	v_mul_f64 v[12:13], v[12:13], v[22:23]
	v_fmac_f64_e32 v[12:13], v[14:15], v[20:21]
	v_add_f64 v[36:37], v[12:13], v[36:37]
	ds_read_b128 v[12:15], v31 offset:2112
	v_add_f64 v[38:39], v[38:39], v[48:49]
	s_waitcnt lgkmcnt(0)
	v_mul_f64 v[48:49], v[14:15], v[18:19]
	v_mul_f64 v[18:19], v[12:13], v[18:19]
	v_fma_f64 v[48:49], v[12:13], v[16:17], -v[48:49]
	v_fmac_f64_e32 v[18:19], v[14:15], v[16:17]
	v_mul_f64 v[16:17], v[14:15], v[22:23]
	v_fma_f64 v[16:17], v[12:13], v[20:21], -v[16:17]
	v_mul_f64 v[12:13], v[12:13], v[22:23]
	v_fmac_f64_e32 v[12:13], v[14:15], v[20:21]
	v_add_f64 v[42:43], v[18:19], v[42:43]
	v_add_f64 v[24:25], v[24:25], v[16:17]
	v_add_f64 v[26:27], v[12:13], v[26:27]
	ds_read_b128 v[12:15], v31 offset:80
	ds_read_b128 v[16:19], v30 offset:2560
	v_add_f64 v[40:41], v[40:41], v[48:49]
	s_waitcnt lgkmcnt(0)
	v_mul_f64 v[20:21], v[14:15], v[18:19]
	v_mul_f64 v[22:23], v[12:13], v[18:19]
	v_fma_f64 v[20:21], v[12:13], v[16:17], -v[20:21]
	v_fmac_f64_e32 v[22:23], v[14:15], v[16:17]
	v_add_f64 v[44:45], v[44:45], v[20:21]
	v_add_f64 v[46:47], v[22:23], v[46:47]
	ds_read_b128 v[20:23], v30 offset:2816
	s_waitcnt lgkmcnt(0)
	v_mul_f64 v[48:49], v[14:15], v[22:23]
	v_fma_f64 v[48:49], v[12:13], v[20:21], -v[48:49]
	v_mul_f64 v[12:13], v[12:13], v[22:23]
	v_fmac_f64_e32 v[12:13], v[14:15], v[20:21]
	v_add_f64 v[36:37], v[12:13], v[36:37]
	ds_read_b128 v[12:15], v31 offset:2128
	v_add_f64 v[38:39], v[38:39], v[48:49]
	s_waitcnt lgkmcnt(0)
	v_mul_f64 v[48:49], v[14:15], v[18:19]
	v_mul_f64 v[18:19], v[12:13], v[18:19]
	v_fma_f64 v[48:49], v[12:13], v[16:17], -v[48:49]
	v_fmac_f64_e32 v[18:19], v[14:15], v[16:17]
	v_mul_f64 v[16:17], v[14:15], v[22:23]
	v_fma_f64 v[16:17], v[12:13], v[20:21], -v[16:17]
	v_mul_f64 v[12:13], v[12:13], v[22:23]
	v_fmac_f64_e32 v[12:13], v[14:15], v[20:21]
	v_add_f64 v[42:43], v[18:19], v[42:43]
	;; [unrolled: 31-line block ×3, first 2 shown]
	ds_read_b128 v[12:15], v31 offset:112
	ds_read_b128 v[20:23], v30 offset:3584
	v_add_f64 v[40:41], v[40:41], v[36:37]
	ds_read_b128 v[36:39], v30 offset:3840
	v_add_f64 v[52:53], v[24:25], v[16:17]
	v_add_f64 v[42:43], v[18:19], v[42:43]
	s_waitcnt lgkmcnt(1)
	v_mul_f64 v[16:17], v[14:15], v[22:23]
	v_fma_f64 v[16:17], v[12:13], v[20:21], -v[16:17]
	v_add_f64 v[24:25], v[44:45], v[16:17]
	s_waitcnt lgkmcnt(0)
	v_mul_f64 v[16:17], v[14:15], v[38:39]
	v_mul_f64 v[18:19], v[12:13], v[22:23]
	v_fma_f64 v[16:17], v[12:13], v[36:37], -v[16:17]
	v_mul_f64 v[12:13], v[12:13], v[38:39]
	v_fmac_f64_e32 v[18:19], v[14:15], v[20:21]
	v_fmac_f64_e32 v[12:13], v[14:15], v[36:37]
	v_add_f64 v[26:27], v[18:19], v[46:47]
	v_add_f64 v[18:19], v[12:13], v[50:51]
	ds_read_b128 v[12:15], v31 offset:2160
	v_add_f64 v[16:17], v[48:49], v[16:17]
	s_waitcnt lgkmcnt(0)
	s_barrier
	v_mul_f64 v[44:45], v[14:15], v[22:23]
	v_fma_f64 v[44:45], v[12:13], v[20:21], -v[44:45]
	v_mul_f64 v[22:23], v[12:13], v[22:23]
	v_fmac_f64_e32 v[22:23], v[14:15], v[20:21]
	v_add_f64 v[20:21], v[40:41], v[44:45]
	v_mul_f64 v[40:41], v[14:15], v[38:39]
	v_fma_f64 v[40:41], v[12:13], v[36:37], -v[40:41]
	v_mul_f64 v[12:13], v[12:13], v[38:39]
	v_fmac_f64_e32 v[12:13], v[14:15], v[36:37]
	v_mov_b64_e32 v[36:37], s[14:15]
	v_cmp_gt_i64_e32 vcc, s[8:9], v[36:37]
	v_add_f64 v[22:23], v[22:23], v[42:43]
	v_add_f64 v[14:15], v[52:53], v[40:41]
	v_add_f64 v[12:13], v[12:13], v[54:55]
	s_cbranch_vccz .LBB274_18
.LBB274_8:                              ; =>This Inner Loop Header: Depth=1
	s_mov_b64 s[24:25], s[2:3]
	s_mov_b64 s[18:19], 0
	s_and_saveexec_b64 s[20:21], s[0:1]
	s_cbranch_execnz .LBB274_16
; %bb.9:                                ;   in Loop: Header=BB274_8 Depth=1
	s_or_b64 exec, exec, s[20:21]
	s_and_saveexec_b64 s[20:21], s[24:25]
	s_xor_b64 s[20:21], exec, s[20:21]
	s_cbranch_execnz .LBB274_17
.LBB274_10:                             ;   in Loop: Header=BB274_8 Depth=1
	s_or_b64 exec, exec, s[20:21]
	s_and_saveexec_b64 s[20:21], s[18:19]
	s_cbranch_execz .LBB274_12
.LBB274_11:                             ;   in Loop: Header=BB274_8 Depth=1
	v_lshl_add_u64 v[36:37], v[10:11], 4, v[4:5]
	global_load_dwordx4 v[36:39], v[36:37], off
	s_waitcnt vmcnt(0)
	ds_write2_b64 v28, v[36:37], v[38:39] offset1:1
.LBB274_12:                             ;   in Loop: Header=BB274_8 Depth=1
	s_or_b64 exec, exec, s[20:21]
	v_add_u32_e32 v8, s14, v0
	v_cmp_le_u64_e32 vcc, s[8:9], v[8:9]
	s_or_b64 s[18:19], vcc, s[16:17]
	s_and_saveexec_b64 s[20:21], s[18:19]
	s_xor_b64 s[18:19], exec, s[20:21]
; %bb.13:                               ;   in Loop: Header=BB274_8 Depth=1
	ds_write_b128 v29, v[32:35]
; %bb.14:                               ;   in Loop: Header=BB274_8 Depth=1
	s_andn2_saveexec_b64 s[18:19], s[18:19]
	s_cbranch_execz .LBB274_7
; %bb.15:                               ;   in Loop: Header=BB274_8 Depth=1
	v_mad_u64_u32 v[36:37], s[20:21], s22, v8, 0
	v_mov_b32_e32 v38, v37
	v_mad_u64_u32 v[38:39], s[20:21], s23, v8, v[38:39]
	v_mov_b32_e32 v37, v38
	v_lshl_add_u64 v[36:37], v[36:37], 4, v[6:7]
	global_load_dwordx4 v[36:39], v[36:37], off
	s_waitcnt vmcnt(0)
	ds_write2_b64 v29, v[36:37], v[38:39] offset1:1
	s_branch .LBB274_7
.LBB274_16:                             ;   in Loop: Header=BB274_8 Depth=1
	v_add_u32_e32 v8, s14, v2
	v_cmp_le_u64_e32 vcc, s[8:9], v[8:9]
	s_andn2_b64 s[24:25], s[2:3], exec
	s_and_b64 s[40:41], vcc, exec
	s_mov_b64 s[18:19], exec
	s_or_b64 s[24:25], s[24:25], s[40:41]
	v_mov_b64_e32 v[10:11], v[8:9]
	s_or_b64 exec, exec, s[20:21]
	s_and_saveexec_b64 s[20:21], s[24:25]
	s_xor_b64 s[20:21], exec, s[20:21]
	s_cbranch_execz .LBB274_10
.LBB274_17:                             ;   in Loop: Header=BB274_8 Depth=1
	ds_write_b128 v28, v[32:35]
	s_andn2_b64 s[18:19], s[18:19], exec
	s_or_b64 exec, exec, s[20:21]
	s_and_saveexec_b64 s[20:21], s[18:19]
	s_cbranch_execnz .LBB274_11
	s_branch .LBB274_12
.LBB274_18:
	s_waitcnt lgkmcnt(0)
	s_mul_i32 s0, s39, s4
	s_mul_hi_u32 s1, s38, s4
	s_add_i32 s1, s1, s0
	s_mul_i32 s0, s38, s4
	s_lshl_b64 s[0:1], s[0:1], 4
	v_add_u32_e32 v10, s35, v3
	s_add_u32 s4, s30, s0
	v_ashrrev_i32_e32 v0, 31, v10
	s_addc_u32 s5, s31, s1
	v_add_u32_e32 v4, s34, v1
	v_cmp_neq_f64_e64 s[0:1], s[26:27], 0
	s_xor_b64 s[6:7], s[6:7], -1
	v_mul_lo_u32 v2, s36, v0
	v_mul_lo_u32 v3, s37, v10
	v_mad_u64_u32 v[0:1], s[8:9], s36, v10, 0
	v_add3_u32 v1, v1, v2, v3
	s_or_b64 s[0:1], s[0:1], s[6:7]
	v_cmp_gt_i32_e64 s[2:3], s33, v10
	v_lshl_add_u64 v[8:9], v[0:1], 4, s[4:5]
	v_cmp_le_i32_e32 vcc, v4, v10
	v_cndmask_b32_e64 v0, 0, 1, s[0:1]
	s_and_b64 s[8:9], s[2:3], vcc
	v_ashrrev_i32_e32 v5, 31, v4
	v_cmp_ne_u32_e64 s[0:1], 1, v0
	s_and_saveexec_b64 s[6:7], s[8:9]
	s_cbranch_execz .LBB274_22
; %bb.19:
	v_mul_f64 v[0:1], s[12:13], v[26:27]
	v_mul_f64 v[2:3], s[10:11], v[26:27]
	v_fma_f64 v[0:1], s[10:11], v[24:25], -v[0:1]
	v_fmac_f64_e32 v[2:3], s[12:13], v[24:25]
	s_and_b64 vcc, exec, s[0:1]
	v_lshl_add_u64 v[6:7], v[4:5], 4, v[8:9]
	s_cbranch_vccnz .LBB274_21
; %bb.20:
	global_load_dwordx4 v[24:27], v[6:7], off
	s_waitcnt vmcnt(0)
	v_mul_f64 v[28:29], s[28:29], v[26:27]
	v_mul_f64 v[26:27], s[26:27], v[26:27]
	v_fma_f64 v[28:29], s[26:27], v[24:25], -v[28:29]
	v_fmac_f64_e32 v[26:27], s[28:29], v[24:25]
	v_add_f64 v[0:1], v[0:1], v[28:29]
	v_add_f64 v[2:3], v[2:3], v[26:27]
.LBB274_21:
	global_store_dwordx4 v[6:7], v[0:3], off
.LBB274_22:
	s_or_b64 exec, exec, s[6:7]
	v_add_u32_e32 v6, 16, v4
	v_cmp_le_i32_e32 vcc, v6, v10
	s_and_b64 s[6:7], s[2:3], vcc
	v_ashrrev_i32_e32 v7, 31, v6
	s_and_saveexec_b64 s[2:3], s[6:7]
	s_cbranch_execz .LBB274_26
; %bb.23:
	v_mul_f64 v[0:1], s[12:13], v[18:19]
	v_mul_f64 v[2:3], s[10:11], v[18:19]
	v_fma_f64 v[0:1], s[10:11], v[16:17], -v[0:1]
	v_fmac_f64_e32 v[2:3], s[12:13], v[16:17]
	s_and_b64 vcc, exec, s[0:1]
	v_lshl_add_u64 v[8:9], v[6:7], 4, v[8:9]
	s_cbranch_vccnz .LBB274_25
; %bb.24:
	global_load_dwordx4 v[16:19], v[8:9], off
	s_waitcnt vmcnt(0)
	v_mul_f64 v[24:25], s[28:29], v[18:19]
	v_mul_f64 v[18:19], s[26:27], v[18:19]
	v_fma_f64 v[24:25], s[26:27], v[16:17], -v[24:25]
	v_fmac_f64_e32 v[18:19], s[28:29], v[16:17]
	v_add_f64 v[0:1], v[0:1], v[24:25]
	v_add_f64 v[2:3], v[2:3], v[18:19]
.LBB274_25:
	global_store_dwordx4 v[8:9], v[0:3], off
.LBB274_26:
	s_or_b64 exec, exec, s[2:3]
	v_add_u32_e32 v10, 16, v10
	v_ashrrev_i32_e32 v0, 31, v10
	v_mul_lo_u32 v2, s36, v0
	v_mul_lo_u32 v3, s37, v10
	v_mad_u64_u32 v[0:1], s[6:7], s36, v10, 0
	v_cmp_gt_i32_e64 s[2:3], s33, v10
	v_add3_u32 v1, v1, v2, v3
	v_cmp_le_i32_e32 vcc, v4, v10
	v_lshl_add_u64 v[8:9], v[0:1], 4, s[4:5]
	s_and_b64 s[6:7], s[2:3], vcc
	s_and_saveexec_b64 s[4:5], s[6:7]
	s_cbranch_execz .LBB274_30
; %bb.27:
	v_mul_f64 v[0:1], s[12:13], v[22:23]
	v_mul_f64 v[2:3], s[10:11], v[22:23]
	v_fma_f64 v[0:1], s[10:11], v[20:21], -v[0:1]
	v_fmac_f64_e32 v[2:3], s[12:13], v[20:21]
	s_and_b64 vcc, exec, s[0:1]
	v_lshl_add_u64 v[4:5], v[4:5], 4, v[8:9]
	s_cbranch_vccnz .LBB274_29
; %bb.28:
	global_load_dwordx4 v[16:19], v[4:5], off
	s_waitcnt vmcnt(0)
	v_mul_f64 v[20:21], s[28:29], v[18:19]
	v_mul_f64 v[18:19], s[26:27], v[18:19]
	v_fma_f64 v[20:21], s[26:27], v[16:17], -v[20:21]
	v_fmac_f64_e32 v[18:19], s[28:29], v[16:17]
	v_add_f64 v[0:1], v[0:1], v[20:21]
	v_add_f64 v[2:3], v[2:3], v[18:19]
.LBB274_29:
	global_store_dwordx4 v[4:5], v[0:3], off
.LBB274_30:
	s_or_b64 exec, exec, s[4:5]
	v_cmp_le_i32_e32 vcc, v6, v10
	s_and_b64 s[2:3], s[2:3], vcc
	s_and_saveexec_b64 s[4:5], s[2:3]
	s_cbranch_execz .LBB274_34
; %bb.31:
	v_mul_f64 v[0:1], s[12:13], v[12:13]
	v_mul_f64 v[2:3], s[10:11], v[12:13]
	v_fma_f64 v[0:1], s[10:11], v[14:15], -v[0:1]
	v_fmac_f64_e32 v[2:3], s[12:13], v[14:15]
	s_and_b64 vcc, exec, s[0:1]
	v_lshl_add_u64 v[4:5], v[6:7], 4, v[8:9]
	s_cbranch_vccnz .LBB274_33
; %bb.32:
	global_load_dwordx4 v[6:9], v[4:5], off
	s_waitcnt vmcnt(0)
	v_mul_f64 v[10:11], s[28:29], v[8:9]
	v_mul_f64 v[8:9], s[26:27], v[8:9]
	v_fma_f64 v[10:11], s[26:27], v[6:7], -v[10:11]
	v_fmac_f64_e32 v[8:9], s[28:29], v[6:7]
	v_add_f64 v[0:1], v[0:1], v[10:11]
	v_add_f64 v[2:3], v[2:3], v[8:9]
.LBB274_33:
	global_store_dwordx4 v[4:5], v[0:3], off
.LBB274_34:
	s_endpgm
	.section	.rodata,"a",@progbits
	.p2align	6, 0x0
	.amdhsa_kernel _ZL29rocblas_internal_gemmt_kernelIlLi16ELi32ELi8ELc84ELc84ELc85ELb0ELb0E19rocblas_complex_numIdES1_PKS1_PS1_EviT_T9_T10_S5_lS7_S5_lS6_T11_S5_li
		.amdhsa_group_segment_fixed_size 8192
		.amdhsa_private_segment_fixed_size 0
		.amdhsa_kernarg_size 124
		.amdhsa_user_sgpr_count 2
		.amdhsa_user_sgpr_dispatch_ptr 0
		.amdhsa_user_sgpr_queue_ptr 0
		.amdhsa_user_sgpr_kernarg_segment_ptr 1
		.amdhsa_user_sgpr_dispatch_id 0
		.amdhsa_user_sgpr_kernarg_preload_length 0
		.amdhsa_user_sgpr_kernarg_preload_offset 0
		.amdhsa_user_sgpr_private_segment_size 0
		.amdhsa_uses_dynamic_stack 0
		.amdhsa_enable_private_segment 0
		.amdhsa_system_sgpr_workgroup_id_x 1
		.amdhsa_system_sgpr_workgroup_id_y 1
		.amdhsa_system_sgpr_workgroup_id_z 1
		.amdhsa_system_sgpr_workgroup_info 0
		.amdhsa_system_vgpr_workitem_id 1
		.amdhsa_next_free_vgpr 62
		.amdhsa_next_free_sgpr 42
		.amdhsa_accum_offset 64
		.amdhsa_reserve_vcc 1
		.amdhsa_float_round_mode_32 0
		.amdhsa_float_round_mode_16_64 0
		.amdhsa_float_denorm_mode_32 3
		.amdhsa_float_denorm_mode_16_64 3
		.amdhsa_dx10_clamp 1
		.amdhsa_ieee_mode 1
		.amdhsa_fp16_overflow 0
		.amdhsa_tg_split 0
		.amdhsa_exception_fp_ieee_invalid_op 0
		.amdhsa_exception_fp_denorm_src 0
		.amdhsa_exception_fp_ieee_div_zero 0
		.amdhsa_exception_fp_ieee_overflow 0
		.amdhsa_exception_fp_ieee_underflow 0
		.amdhsa_exception_fp_ieee_inexact 0
		.amdhsa_exception_int_div_zero 0
	.end_amdhsa_kernel
	.section	.text._ZL29rocblas_internal_gemmt_kernelIlLi16ELi32ELi8ELc84ELc84ELc85ELb0ELb0E19rocblas_complex_numIdES1_PKS1_PS1_EviT_T9_T10_S5_lS7_S5_lS6_T11_S5_li,"axG",@progbits,_ZL29rocblas_internal_gemmt_kernelIlLi16ELi32ELi8ELc84ELc84ELc85ELb0ELb0E19rocblas_complex_numIdES1_PKS1_PS1_EviT_T9_T10_S5_lS7_S5_lS6_T11_S5_li,comdat
.Lfunc_end274:
	.size	_ZL29rocblas_internal_gemmt_kernelIlLi16ELi32ELi8ELc84ELc84ELc85ELb0ELb0E19rocblas_complex_numIdES1_PKS1_PS1_EviT_T9_T10_S5_lS7_S5_lS6_T11_S5_li, .Lfunc_end274-_ZL29rocblas_internal_gemmt_kernelIlLi16ELi32ELi8ELc84ELc84ELc85ELb0ELb0E19rocblas_complex_numIdES1_PKS1_PS1_EviT_T9_T10_S5_lS7_S5_lS6_T11_S5_li
                                        ; -- End function
	.set _ZL29rocblas_internal_gemmt_kernelIlLi16ELi32ELi8ELc84ELc84ELc85ELb0ELb0E19rocblas_complex_numIdES1_PKS1_PS1_EviT_T9_T10_S5_lS7_S5_lS6_T11_S5_li.num_vgpr, 62
	.set _ZL29rocblas_internal_gemmt_kernelIlLi16ELi32ELi8ELc84ELc84ELc85ELb0ELb0E19rocblas_complex_numIdES1_PKS1_PS1_EviT_T9_T10_S5_lS7_S5_lS6_T11_S5_li.num_agpr, 0
	.set _ZL29rocblas_internal_gemmt_kernelIlLi16ELi32ELi8ELc84ELc84ELc85ELb0ELb0E19rocblas_complex_numIdES1_PKS1_PS1_EviT_T9_T10_S5_lS7_S5_lS6_T11_S5_li.numbered_sgpr, 42
	.set _ZL29rocblas_internal_gemmt_kernelIlLi16ELi32ELi8ELc84ELc84ELc85ELb0ELb0E19rocblas_complex_numIdES1_PKS1_PS1_EviT_T9_T10_S5_lS7_S5_lS6_T11_S5_li.num_named_barrier, 0
	.set _ZL29rocblas_internal_gemmt_kernelIlLi16ELi32ELi8ELc84ELc84ELc85ELb0ELb0E19rocblas_complex_numIdES1_PKS1_PS1_EviT_T9_T10_S5_lS7_S5_lS6_T11_S5_li.private_seg_size, 0
	.set _ZL29rocblas_internal_gemmt_kernelIlLi16ELi32ELi8ELc84ELc84ELc85ELb0ELb0E19rocblas_complex_numIdES1_PKS1_PS1_EviT_T9_T10_S5_lS7_S5_lS6_T11_S5_li.uses_vcc, 1
	.set _ZL29rocblas_internal_gemmt_kernelIlLi16ELi32ELi8ELc84ELc84ELc85ELb0ELb0E19rocblas_complex_numIdES1_PKS1_PS1_EviT_T9_T10_S5_lS7_S5_lS6_T11_S5_li.uses_flat_scratch, 0
	.set _ZL29rocblas_internal_gemmt_kernelIlLi16ELi32ELi8ELc84ELc84ELc85ELb0ELb0E19rocblas_complex_numIdES1_PKS1_PS1_EviT_T9_T10_S5_lS7_S5_lS6_T11_S5_li.has_dyn_sized_stack, 0
	.set _ZL29rocblas_internal_gemmt_kernelIlLi16ELi32ELi8ELc84ELc84ELc85ELb0ELb0E19rocblas_complex_numIdES1_PKS1_PS1_EviT_T9_T10_S5_lS7_S5_lS6_T11_S5_li.has_recursion, 0
	.set _ZL29rocblas_internal_gemmt_kernelIlLi16ELi32ELi8ELc84ELc84ELc85ELb0ELb0E19rocblas_complex_numIdES1_PKS1_PS1_EviT_T9_T10_S5_lS7_S5_lS6_T11_S5_li.has_indirect_call, 0
	.section	.AMDGPU.csdata,"",@progbits
; Kernel info:
; codeLenInByte = 3228
; TotalNumSgprs: 48
; NumVgprs: 62
; NumAgprs: 0
; TotalNumVgprs: 62
; ScratchSize: 0
; MemoryBound: 0
; FloatMode: 240
; IeeeMode: 1
; LDSByteSize: 8192 bytes/workgroup (compile time only)
; SGPRBlocks: 5
; VGPRBlocks: 7
; NumSGPRsForWavesPerEU: 48
; NumVGPRsForWavesPerEU: 62
; AccumOffset: 64
; Occupancy: 8
; WaveLimiterHint : 0
; COMPUTE_PGM_RSRC2:SCRATCH_EN: 0
; COMPUTE_PGM_RSRC2:USER_SGPR: 2
; COMPUTE_PGM_RSRC2:TRAP_HANDLER: 0
; COMPUTE_PGM_RSRC2:TGID_X_EN: 1
; COMPUTE_PGM_RSRC2:TGID_Y_EN: 1
; COMPUTE_PGM_RSRC2:TGID_Z_EN: 1
; COMPUTE_PGM_RSRC2:TIDIG_COMP_CNT: 1
; COMPUTE_PGM_RSRC3_GFX90A:ACCUM_OFFSET: 15
; COMPUTE_PGM_RSRC3_GFX90A:TG_SPLIT: 0
	.section	.text._ZL29rocblas_internal_gemmt_kernelIlLi16ELi32ELi8ELc84ELc67ELc85ELb0ELb1E19rocblas_complex_numIdES1_PKS1_PS1_EviT_T9_T10_S5_lS7_S5_lS6_T11_S5_li,"axG",@progbits,_ZL29rocblas_internal_gemmt_kernelIlLi16ELi32ELi8ELc84ELc67ELc85ELb0ELb1E19rocblas_complex_numIdES1_PKS1_PS1_EviT_T9_T10_S5_lS7_S5_lS6_T11_S5_li,comdat
	.globl	_ZL29rocblas_internal_gemmt_kernelIlLi16ELi32ELi8ELc84ELc67ELc85ELb0ELb1E19rocblas_complex_numIdES1_PKS1_PS1_EviT_T9_T10_S5_lS7_S5_lS6_T11_S5_li ; -- Begin function _ZL29rocblas_internal_gemmt_kernelIlLi16ELi32ELi8ELc84ELc67ELc85ELb0ELb1E19rocblas_complex_numIdES1_PKS1_PS1_EviT_T9_T10_S5_lS7_S5_lS6_T11_S5_li
	.p2align	8
	.type	_ZL29rocblas_internal_gemmt_kernelIlLi16ELi32ELi8ELc84ELc67ELc85ELb0ELb1E19rocblas_complex_numIdES1_PKS1_PS1_EviT_T9_T10_S5_lS7_S5_lS6_T11_S5_li,@function
_ZL29rocblas_internal_gemmt_kernelIlLi16ELi32ELi8ELc84ELc67ELc85ELb0ELb1E19rocblas_complex_numIdES1_PKS1_PS1_EviT_T9_T10_S5_lS7_S5_lS6_T11_S5_li: ; @_ZL29rocblas_internal_gemmt_kernelIlLi16ELi32ELi8ELc84ELc67ELc85ELb0ELb1E19rocblas_complex_numIdES1_PKS1_PS1_EviT_T9_T10_S5_lS7_S5_lS6_T11_S5_li
; %bb.0:
	s_load_dwordx8 s[24:31], s[0:1], 0x48
	s_load_dwordx16 s[8:23], s[0:1], 0x8
	s_mov_b64 s[34:35], 0
	s_waitcnt lgkmcnt(0)
	v_cmp_eq_f64_e64 s[36:37], s[26:27], 1.0
	v_cmp_eq_f64_e64 s[6:7], s[28:29], 0
	s_and_b64 s[36:37], s[36:37], s[6:7]
	s_andn2_b64 vcc, exec, s[36:37]
	s_mov_b64 s[36:37], -1
	s_cbranch_vccnz .LBB275_4
; %bb.1:
	s_cmp_lg_u64 s[8:9], 0
	s_cbranch_scc0 .LBB275_3
; %bb.2:
	v_cmp_neq_f64_e64 s[34:35], s[10:11], 0
	v_cmp_neq_f64_e64 s[36:37], s[12:13], 0
	s_or_b64 s[34:35], s[34:35], s[36:37]
.LBB275_3:
	s_mov_b64 s[36:37], s[34:35]
.LBB275_4:
	s_and_b64 vcc, exec, s[36:37]
	s_cbranch_vccz .LBB275_32
; %bb.5:
	s_load_dwordx4 s[36:39], s[0:1], 0x68
	s_load_dword s33, s[0:1], 0x0
	s_lshl_b32 s34, s2, 5
	s_lshl_b32 s35, s3, 5
	v_cmp_eq_f64_e64 s[0:1], s[10:11], 0
	v_cmp_eq_f64_e64 s[2:3], s[12:13], 0
	s_and_b64 s[0:1], s[0:1], s[2:3]
	v_cmp_lt_i64_e64 s[2:3], s[8:9], 1
	s_or_b64 s[0:1], s[0:1], s[2:3]
	v_and_b32_e32 v5, 0x3ff, v0
	v_bfe_u32 v7, v0, 10, 10
	v_mov_b64_e32 v[28:29], 0
	s_and_b64 vcc, exec, s[0:1]
	v_mov_b64_e32 v[30:31], 0
	v_mov_b64_e32 v[24:25], 0
	;; [unrolled: 1-line block ×7, first 2 shown]
	s_cbranch_vccnz .LBB275_16
; %bb.6:
	s_mul_i32 s0, s25, s4
	s_mul_hi_u32 s1, s24, s4
	s_add_i32 s1, s1, s0
	s_mul_i32 s0, s24, s4
	s_lshl_b64 s[0:1], s[0:1], 4
	s_add_u32 s20, s20, s0
	s_addc_u32 s21, s21, s1
	s_mul_i32 s0, s19, s4
	s_mul_hi_u32 s1, s18, s4
	s_add_i32 s1, s1, s0
	s_mul_i32 s0, s18, s4
	v_lshl_add_u32 v1, v7, 4, v5
	s_lshl_b64 s[0:1], s[0:1], 4
	v_lshrrev_b32_e32 v6, 5, v1
	v_lshrrev_b32_e32 v10, 3, v1
	v_and_b32_e32 v1, 31, v1
	s_add_u32 s2, s14, s0
	v_or_b32_e32 v2, s34, v1
	s_addc_u32 s3, s15, s1
	v_lshlrev_b32_e32 v1, 4, v1
	s_ashr_i32 s5, s34, 31
	v_and_b32_e32 v4, 7, v5
	s_waitcnt lgkmcnt(0)
	v_cmp_gt_i32_e64 s[0:1], s33, v2
	v_cmp_le_i32_e64 s[14:15], s33, v2
	v_lshl_or_b32 v32, v6, 9, v1
	v_mul_lo_u32 v1, s17, v2
	v_mad_u64_u32 v[2:3], s[18:19], s16, v2, 0
	s_mul_i32 s5, s16, s5
	v_add3_u32 v3, v3, s5, v1
	v_lshlrev_b32_e32 v1, 4, v4
	v_add_u32_e32 v0, s35, v10
	v_lshl_or_b32 v1, v10, 7, v1
	v_add_u32_e32 v33, 0x1000, v1
	v_ashrrev_i32_e32 v1, 31, v0
	v_lshl_add_u64 v[8:9], v[2:3], 4, s[2:3]
	v_cmp_gt_i32_e64 s[2:3], s33, v0
	v_lshl_add_u64 v[10:11], v[0:1], 4, s[20:21]
	v_mov_b32_e32 v0, 0x1000
	v_mov_b32_e32 v13, 0
	v_lshlrev_b32_e32 v34, 4, v5
	v_lshl_add_u32 v35, v7, 7, v0
	v_mov_b64_e32 v[16:17], 0
	s_mov_b64 s[16:17], 0
	v_mov_b32_e32 v36, v13
	v_mov_b32_e32 v37, v13
	;; [unrolled: 1-line block ×4, first 2 shown]
	v_mov_b64_e32 v[18:19], 0
	v_mov_b64_e32 v[22:23], 0
	;; [unrolled: 1-line block ×7, first 2 shown]
                                        ; implicit-def: $vgpr14_vgpr15
	s_branch .LBB275_8
.LBB275_7:                              ;   in Loop: Header=BB275_8 Depth=1
	s_or_b64 exec, exec, s[18:19]
	ds_write_b128 v33, v[0:3]
	s_waitcnt lgkmcnt(0)
	s_barrier
	ds_read_b128 v[0:3], v34
	ds_read_b128 v[40:43], v35
	ds_read_b128 v[44:47], v35 offset:16
	ds_read_b128 v[48:51], v35 offset:32
	;; [unrolled: 1-line block ×4, first 2 shown]
	s_waitcnt lgkmcnt(4)
	v_mul_f64 v[60:61], v[42:43], v[2:3]
	v_fma_f64 v[60:61], v[40:41], v[0:1], -v[60:61]
	v_mul_f64 v[62:63], v[40:41], v[2:3]
	v_fmac_f64_e32 v[62:63], v[42:43], v[0:1]
	v_add_f64 v[60:61], v[28:29], v[60:61]
	s_waitcnt lgkmcnt(0)
	v_mul_f64 v[28:29], v[42:43], v[58:59]
	v_add_f64 v[62:63], v[62:63], v[30:31]
	v_fma_f64 v[64:65], v[40:41], v[56:57], -v[28:29]
	ds_read_b128 v[28:31], v35 offset:2048
	v_mul_f64 v[40:41], v[40:41], v[58:59]
	v_fmac_f64_e32 v[40:41], v[42:43], v[56:57]
	v_add_f64 v[42:43], v[24:25], v[64:65]
	v_add_f64 v[40:41], v[40:41], v[26:27]
	ds_read_b128 v[24:27], v35 offset:2064
	s_waitcnt lgkmcnt(1)
	v_mul_f64 v[64:65], v[30:31], v[2:3]
	v_mul_f64 v[2:3], v[28:29], v[2:3]
	v_fma_f64 v[64:65], v[28:29], v[0:1], -v[64:65]
	v_fmac_f64_e32 v[2:3], v[30:31], v[0:1]
	v_mul_f64 v[0:1], v[30:31], v[58:59]
	v_add_f64 v[20:21], v[20:21], v[64:65]
	v_add_f64 v[22:23], v[2:3], v[22:23]
	v_fma_f64 v[64:65], v[28:29], v[56:57], -v[0:1]
	v_mul_f64 v[28:29], v[28:29], v[58:59]
	ds_read_b128 v[0:3], v34 offset:512
	v_fmac_f64_e32 v[28:29], v[30:31], v[56:57]
	v_add_f64 v[30:31], v[18:19], v[64:65]
	v_add_f64 v[28:29], v[28:29], v[16:17]
	ds_read_b128 v[16:19], v34 offset:768
	s_waitcnt lgkmcnt(1)
	v_mul_f64 v[56:57], v[46:47], v[2:3]
	v_fma_f64 v[56:57], v[44:45], v[0:1], -v[56:57]
	v_add_f64 v[56:57], v[60:61], v[56:57]
	v_mul_f64 v[58:59], v[44:45], v[2:3]
	s_waitcnt lgkmcnt(0)
	v_mul_f64 v[60:61], v[46:47], v[18:19]
	v_fma_f64 v[60:61], v[44:45], v[16:17], -v[60:61]
	v_mul_f64 v[44:45], v[44:45], v[18:19]
	v_fmac_f64_e32 v[44:45], v[46:47], v[16:17]
	v_add_f64 v[40:41], v[44:45], v[40:41]
	v_mul_f64 v[44:45], v[26:27], v[2:3]
	v_mul_f64 v[2:3], v[24:25], v[2:3]
	v_fmac_f64_e32 v[58:59], v[46:47], v[0:1]
	v_fma_f64 v[44:45], v[24:25], v[0:1], -v[44:45]
	v_fmac_f64_e32 v[2:3], v[26:27], v[0:1]
	v_mul_f64 v[0:1], v[26:27], v[18:19]
	v_add_f64 v[44:45], v[20:21], v[44:45]
	v_add_f64 v[46:47], v[2:3], v[22:23]
	v_fma_f64 v[20:21], v[24:25], v[16:17], -v[0:1]
	v_mul_f64 v[18:19], v[24:25], v[18:19]
	ds_read_b128 v[0:3], v34 offset:1024
	v_fmac_f64_e32 v[18:19], v[26:27], v[16:17]
	v_add_f64 v[28:29], v[18:19], v[28:29]
	ds_read_b128 v[16:19], v34 offset:1280
	v_add_f64 v[30:31], v[30:31], v[20:21]
	s_waitcnt lgkmcnt(1)
	v_mul_f64 v[20:21], v[50:51], v[2:3]
	v_fma_f64 v[20:21], v[48:49], v[0:1], -v[20:21]
	v_mul_f64 v[22:23], v[48:49], v[2:3]
	v_add_f64 v[58:59], v[58:59], v[62:63]
	v_fmac_f64_e32 v[22:23], v[50:51], v[0:1]
	v_add_f64 v[56:57], v[56:57], v[20:21]
	s_waitcnt lgkmcnt(0)
	v_mul_f64 v[20:21], v[50:51], v[18:19]
	v_add_f64 v[58:59], v[22:23], v[58:59]
	v_fma_f64 v[24:25], v[48:49], v[16:17], -v[20:21]
	ds_read_b128 v[20:23], v35 offset:2080
	v_mul_f64 v[26:27], v[48:49], v[18:19]
	v_add_f64 v[42:43], v[42:43], v[60:61]
	v_fmac_f64_e32 v[26:27], v[50:51], v[16:17]
	v_add_f64 v[42:43], v[42:43], v[24:25]
	v_add_f64 v[40:41], v[26:27], v[40:41]
	ds_read_b128 v[24:27], v35 offset:2096
	s_waitcnt lgkmcnt(1)
	v_mul_f64 v[48:49], v[22:23], v[2:3]
	v_mul_f64 v[2:3], v[20:21], v[2:3]
	v_fma_f64 v[48:49], v[20:21], v[0:1], -v[48:49]
	v_fmac_f64_e32 v[2:3], v[22:23], v[0:1]
	v_mul_f64 v[0:1], v[22:23], v[18:19]
	v_mul_f64 v[18:19], v[20:21], v[18:19]
	v_fmac_f64_e32 v[18:19], v[22:23], v[16:17]
	v_add_f64 v[44:45], v[44:45], v[48:49]
	v_add_f64 v[46:47], v[2:3], v[46:47]
	v_fma_f64 v[48:49], v[20:21], v[16:17], -v[0:1]
	ds_read_b128 v[0:3], v34 offset:1536
	v_add_f64 v[22:23], v[18:19], v[28:29]
	ds_read_b128 v[16:19], v34 offset:1792
	v_add_f64 v[20:21], v[30:31], v[48:49]
	s_add_u32 s16, s16, 8
	s_waitcnt lgkmcnt(1)
	v_mul_f64 v[28:29], v[54:55], v[2:3]
	v_mul_f64 v[30:31], v[52:53], v[2:3]
	s_waitcnt lgkmcnt(0)
	v_mul_f64 v[48:49], v[54:55], v[18:19]
	v_fma_f64 v[48:49], v[52:53], v[16:17], -v[48:49]
	v_add_f64 v[42:43], v[42:43], v[48:49]
	v_mul_f64 v[48:49], v[26:27], v[2:3]
	v_mul_f64 v[2:3], v[24:25], v[2:3]
	v_fma_f64 v[28:29], v[52:53], v[0:1], -v[28:29]
	v_fmac_f64_e32 v[30:31], v[54:55], v[0:1]
	v_fma_f64 v[48:49], v[24:25], v[0:1], -v[48:49]
	v_fmac_f64_e32 v[2:3], v[26:27], v[0:1]
	v_mul_f64 v[0:1], v[26:27], v[18:19]
	v_mul_f64 v[50:51], v[52:53], v[18:19]
	v_add_f64 v[44:45], v[44:45], v[48:49]
	v_fma_f64 v[48:49], v[24:25], v[16:17], -v[0:1]
	v_mul_f64 v[24:25], v[24:25], v[18:19]
	v_fmac_f64_e32 v[50:51], v[54:55], v[16:17]
	v_add_f64 v[46:47], v[2:3], v[46:47]
	v_fmac_f64_e32 v[24:25], v[26:27], v[16:17]
	ds_read_b128 v[0:3], v35 offset:64
	ds_read_b128 v[16:19], v34 offset:2048
	v_add_f64 v[40:41], v[50:51], v[40:41]
	v_add_f64 v[48:49], v[20:21], v[48:49]
	;; [unrolled: 1-line block ×3, first 2 shown]
	ds_read_b128 v[20:23], v34 offset:2304
	ds_read_b128 v[24:27], v35 offset:80
	s_waitcnt lgkmcnt(2)
	v_mul_f64 v[52:53], v[2:3], v[18:19]
	v_add_f64 v[28:29], v[56:57], v[28:29]
	v_fma_f64 v[52:53], v[0:1], v[16:17], -v[52:53]
	v_mul_f64 v[54:55], v[0:1], v[18:19]
	v_add_f64 v[30:31], v[30:31], v[58:59]
	v_fmac_f64_e32 v[54:55], v[2:3], v[16:17]
	v_add_f64 v[52:53], v[28:29], v[52:53]
	s_waitcnt lgkmcnt(1)
	v_mul_f64 v[28:29], v[2:3], v[22:23]
	v_add_f64 v[54:55], v[54:55], v[30:31]
	v_fma_f64 v[56:57], v[0:1], v[20:21], -v[28:29]
	ds_read_b128 v[28:31], v35 offset:2112
	v_mul_f64 v[0:1], v[0:1], v[22:23]
	v_fmac_f64_e32 v[0:1], v[2:3], v[20:21]
	v_add_f64 v[42:43], v[42:43], v[56:57]
	v_add_f64 v[40:41], v[0:1], v[40:41]
	ds_read_b128 v[0:3], v35 offset:2128
	s_waitcnt lgkmcnt(1)
	v_mul_f64 v[56:57], v[30:31], v[18:19]
	v_mul_f64 v[18:19], v[28:29], v[18:19]
	v_fma_f64 v[56:57], v[28:29], v[16:17], -v[56:57]
	v_fmac_f64_e32 v[18:19], v[30:31], v[16:17]
	v_mul_f64 v[16:17], v[30:31], v[22:23]
	v_add_f64 v[44:45], v[44:45], v[56:57]
	v_add_f64 v[46:47], v[18:19], v[46:47]
	v_fma_f64 v[56:57], v[28:29], v[20:21], -v[16:17]
	v_mul_f64 v[22:23], v[28:29], v[22:23]
	ds_read_b128 v[16:19], v34 offset:2560
	v_fmac_f64_e32 v[22:23], v[30:31], v[20:21]
	v_add_f64 v[30:31], v[22:23], v[50:51]
	ds_read_b128 v[20:23], v34 offset:2816
	v_add_f64 v[28:29], v[48:49], v[56:57]
	s_waitcnt lgkmcnt(1)
	v_mul_f64 v[48:49], v[26:27], v[18:19]
	v_fma_f64 v[48:49], v[24:25], v[16:17], -v[48:49]
	v_add_f64 v[48:49], v[52:53], v[48:49]
	s_waitcnt lgkmcnt(0)
	v_mul_f64 v[52:53], v[26:27], v[22:23]
	v_mul_f64 v[50:51], v[24:25], v[18:19]
	v_fma_f64 v[52:53], v[24:25], v[20:21], -v[52:53]
	v_mul_f64 v[24:25], v[24:25], v[22:23]
	v_fmac_f64_e32 v[24:25], v[26:27], v[20:21]
	v_add_f64 v[40:41], v[24:25], v[40:41]
	v_mul_f64 v[24:25], v[2:3], v[18:19]
	v_mul_f64 v[18:19], v[0:1], v[18:19]
	v_fmac_f64_e32 v[50:51], v[26:27], v[16:17]
	v_fma_f64 v[24:25], v[0:1], v[16:17], -v[24:25]
	v_fmac_f64_e32 v[18:19], v[2:3], v[16:17]
	v_mul_f64 v[16:17], v[2:3], v[22:23]
	v_mul_f64 v[22:23], v[0:1], v[22:23]
	v_add_f64 v[44:45], v[44:45], v[24:25]
	v_add_f64 v[46:47], v[18:19], v[46:47]
	v_fma_f64 v[24:25], v[0:1], v[20:21], -v[16:17]
	v_fmac_f64_e32 v[22:23], v[2:3], v[20:21]
	ds_read_b128 v[0:3], v35 offset:96
	ds_read_b128 v[16:19], v34 offset:3072
	v_add_f64 v[50:51], v[50:51], v[54:55]
	v_add_f64 v[42:43], v[42:43], v[52:53]
	;; [unrolled: 1-line block ×4, first 2 shown]
	ds_read_b128 v[20:23], v34 offset:3328
	ds_read_b128 v[24:27], v35 offset:112
	s_waitcnt lgkmcnt(2)
	v_mul_f64 v[28:29], v[2:3], v[18:19]
	v_fma_f64 v[28:29], v[0:1], v[16:17], -v[28:29]
	v_mul_f64 v[30:31], v[0:1], v[18:19]
	v_fmac_f64_e32 v[30:31], v[2:3], v[16:17]
	v_add_f64 v[48:49], v[48:49], v[28:29]
	s_waitcnt lgkmcnt(1)
	v_mul_f64 v[28:29], v[2:3], v[22:23]
	v_add_f64 v[50:51], v[30:31], v[50:51]
	v_fma_f64 v[56:57], v[0:1], v[20:21], -v[28:29]
	ds_read_b128 v[28:31], v35 offset:2144
	v_mul_f64 v[0:1], v[0:1], v[22:23]
	v_fmac_f64_e32 v[0:1], v[2:3], v[20:21]
	v_add_f64 v[58:59], v[0:1], v[40:41]
	ds_read_b128 v[0:3], v35 offset:2160
	s_waitcnt lgkmcnt(1)
	v_mul_f64 v[40:41], v[30:31], v[18:19]
	v_mul_f64 v[18:19], v[28:29], v[18:19]
	v_fma_f64 v[40:41], v[28:29], v[16:17], -v[40:41]
	v_fmac_f64_e32 v[18:19], v[30:31], v[16:17]
	v_mul_f64 v[16:17], v[30:31], v[22:23]
	v_add_f64 v[44:45], v[44:45], v[40:41]
	v_add_f64 v[46:47], v[18:19], v[46:47]
	v_fma_f64 v[40:41], v[28:29], v[20:21], -v[16:17]
	ds_read_b128 v[16:19], v34 offset:3584
	v_add_f64 v[56:57], v[42:43], v[56:57]
	v_add_f64 v[52:53], v[52:53], v[40:41]
	ds_read_b128 v[40:43], v34 offset:3840
	v_mul_f64 v[22:23], v[28:29], v[22:23]
	v_fmac_f64_e32 v[22:23], v[30:31], v[20:21]
	s_waitcnt lgkmcnt(1)
	v_mul_f64 v[20:21], v[26:27], v[18:19]
	v_fma_f64 v[20:21], v[24:25], v[16:17], -v[20:21]
	v_add_f64 v[54:55], v[22:23], v[54:55]
	v_mul_f64 v[22:23], v[24:25], v[18:19]
	v_add_f64 v[28:29], v[48:49], v[20:21]
	s_waitcnt lgkmcnt(0)
	v_mul_f64 v[20:21], v[26:27], v[42:43]
	v_fmac_f64_e32 v[22:23], v[26:27], v[16:17]
	v_fma_f64 v[20:21], v[24:25], v[40:41], -v[20:21]
	v_add_f64 v[30:31], v[22:23], v[50:51]
	v_mul_f64 v[22:23], v[24:25], v[42:43]
	v_add_f64 v[24:25], v[56:57], v[20:21]
	v_mul_f64 v[20:21], v[2:3], v[18:19]
	v_mul_f64 v[18:19], v[0:1], v[18:19]
	v_fma_f64 v[20:21], v[0:1], v[16:17], -v[20:21]
	v_fmac_f64_e32 v[18:19], v[2:3], v[16:17]
	v_mul_f64 v[16:17], v[2:3], v[42:43]
	v_fma_f64 v[16:17], v[0:1], v[40:41], -v[16:17]
	v_mul_f64 v[0:1], v[0:1], v[42:43]
	v_fmac_f64_e32 v[22:23], v[26:27], v[40:41]
	v_fmac_f64_e32 v[0:1], v[2:3], v[40:41]
	s_addc_u32 s17, s17, 0
	v_add_f64 v[26:27], v[22:23], v[58:59]
	v_add_f64 v[22:23], v[18:19], v[46:47]
	;; [unrolled: 1-line block ×4, first 2 shown]
	v_mov_b64_e32 v[0:1], s[16:17]
	v_cmp_gt_i64_e32 vcc, s[8:9], v[0:1]
	v_add_f64 v[20:21], v[44:45], v[20:21]
	s_barrier
	s_cbranch_vccz .LBB275_16
.LBB275_8:                              ; =>This Inner Loop Header: Depth=1
	s_mov_b64 s[24:25], s[14:15]
	s_mov_b64 s[18:19], 0
	s_and_saveexec_b64 s[20:21], s[0:1]
	s_cbranch_execnz .LBB275_14
; %bb.9:                                ;   in Loop: Header=BB275_8 Depth=1
	s_or_b64 exec, exec, s[20:21]
	s_and_saveexec_b64 s[20:21], s[24:25]
	s_xor_b64 s[20:21], exec, s[20:21]
	s_cbranch_execnz .LBB275_15
.LBB275_10:                             ;   in Loop: Header=BB275_8 Depth=1
	s_or_b64 exec, exec, s[20:21]
	s_and_saveexec_b64 s[20:21], s[18:19]
	s_cbranch_execz .LBB275_12
.LBB275_11:                             ;   in Loop: Header=BB275_8 Depth=1
	v_lshl_add_u64 v[0:1], v[14:15], 4, v[8:9]
	global_load_dwordx4 v[0:3], v[0:1], off
	s_waitcnt vmcnt(0)
	ds_write2_b64 v32, v[0:1], v[2:3] offset1:1
.LBB275_12:                             ;   in Loop: Header=BB275_8 Depth=1
	s_or_b64 exec, exec, s[20:21]
	v_add_u32_e32 v12, s16, v4
	v_cmp_gt_u64_e32 vcc, s[8:9], v[12:13]
	s_and_b64 s[20:21], vcc, s[2:3]
	v_mov_b64_e32 v[0:1], 0
	v_mov_b64_e32 v[2:3], 0
	s_and_saveexec_b64 s[18:19], s[20:21]
	s_cbranch_execz .LBB275_7
; %bb.13:                               ;   in Loop: Header=BB275_8 Depth=1
	v_mad_u64_u32 v[0:1], s[20:21], s22, v12, 0
	v_mov_b32_e32 v2, v1
	v_mad_u64_u32 v[2:3], s[20:21], s23, v12, v[2:3]
	v_mov_b32_e32 v1, v2
	v_lshl_add_u64 v[0:1], v[0:1], 4, v[10:11]
	global_load_dwordx4 v[0:3], v[0:1], off
	s_waitcnt vmcnt(0)
	v_xor_b32_e32 v3, 0x80000000, v3
	s_branch .LBB275_7
.LBB275_14:                             ;   in Loop: Header=BB275_8 Depth=1
	v_add_u32_e32 v12, s16, v6
	v_cmp_le_u64_e32 vcc, s[8:9], v[12:13]
	s_andn2_b64 s[24:25], s[14:15], exec
	s_and_b64 s[40:41], vcc, exec
	s_mov_b64 s[18:19], exec
	s_or_b64 s[24:25], s[24:25], s[40:41]
	v_mov_b64_e32 v[14:15], v[12:13]
	s_or_b64 exec, exec, s[20:21]
	s_and_saveexec_b64 s[20:21], s[24:25]
	s_xor_b64 s[20:21], exec, s[20:21]
	s_cbranch_execz .LBB275_10
.LBB275_15:                             ;   in Loop: Header=BB275_8 Depth=1
	ds_write_b128 v32, v[36:39]
	s_andn2_b64 s[18:19], s[18:19], exec
	s_or_b64 exec, exec, s[20:21]
	s_and_saveexec_b64 s[20:21], s[18:19]
	s_cbranch_execnz .LBB275_11
	s_branch .LBB275_12
.LBB275_16:
	s_waitcnt lgkmcnt(0)
	s_mul_i32 s0, s39, s4
	s_mul_hi_u32 s1, s38, s4
	s_add_i32 s1, s1, s0
	s_mul_i32 s0, s38, s4
	s_lshl_b64 s[0:1], s[0:1], 4
	v_add_u32_e32 v10, s35, v7
	s_add_u32 s4, s30, s0
	v_ashrrev_i32_e32 v0, 31, v10
	s_addc_u32 s5, s31, s1
	v_cmp_neq_f64_e64 s[0:1], s[26:27], 0
	s_xor_b64 s[6:7], s[6:7], -1
	v_mul_lo_u32 v2, s36, v0
	v_mul_lo_u32 v3, s37, v10
	v_mad_u64_u32 v[0:1], s[8:9], s36, v10, 0
	v_add_u32_e32 v4, s34, v5
	v_add3_u32 v1, v1, v2, v3
	s_or_b64 s[0:1], s[0:1], s[6:7]
	v_cmp_gt_i32_e64 s[2:3], s33, v10
	v_lshl_add_u64 v[8:9], v[0:1], 4, s[4:5]
	v_cmp_le_i32_e32 vcc, v4, v10
	v_cndmask_b32_e64 v0, 0, 1, s[0:1]
	s_and_b64 s[8:9], s[2:3], vcc
	v_ashrrev_i32_e32 v5, 31, v4
	v_cmp_ne_u32_e64 s[0:1], 1, v0
	s_and_saveexec_b64 s[6:7], s[8:9]
	s_cbranch_execz .LBB275_20
; %bb.17:
	v_mul_f64 v[0:1], s[12:13], v[30:31]
	v_mul_f64 v[2:3], s[10:11], v[30:31]
	v_fma_f64 v[0:1], s[10:11], v[28:29], -v[0:1]
	v_fmac_f64_e32 v[2:3], s[12:13], v[28:29]
	s_and_b64 vcc, exec, s[0:1]
	v_lshl_add_u64 v[6:7], v[4:5], 4, v[8:9]
	s_cbranch_vccnz .LBB275_19
; %bb.18:
	global_load_dwordx4 v[12:15], v[6:7], off
	s_waitcnt vmcnt(0)
	v_mul_f64 v[28:29], s[28:29], v[14:15]
	v_mul_f64 v[14:15], s[26:27], v[14:15]
	v_fma_f64 v[28:29], s[26:27], v[12:13], -v[28:29]
	v_fmac_f64_e32 v[14:15], s[28:29], v[12:13]
	v_add_f64 v[0:1], v[0:1], v[28:29]
	v_add_f64 v[2:3], v[2:3], v[14:15]
.LBB275_19:
	global_store_dwordx4 v[6:7], v[0:3], off
.LBB275_20:
	s_or_b64 exec, exec, s[6:7]
	v_add_u32_e32 v6, 16, v4
	v_cmp_le_i32_e32 vcc, v6, v10
	s_and_b64 s[6:7], s[2:3], vcc
	v_ashrrev_i32_e32 v7, 31, v6
	s_and_saveexec_b64 s[2:3], s[6:7]
	s_cbranch_execz .LBB275_24
; %bb.21:
	v_mul_f64 v[0:1], s[12:13], v[26:27]
	v_mul_f64 v[2:3], s[10:11], v[26:27]
	v_fma_f64 v[0:1], s[10:11], v[24:25], -v[0:1]
	v_fmac_f64_e32 v[2:3], s[12:13], v[24:25]
	s_and_b64 vcc, exec, s[0:1]
	v_lshl_add_u64 v[8:9], v[6:7], 4, v[8:9]
	s_cbranch_vccnz .LBB275_23
; %bb.22:
	global_load_dwordx4 v[12:15], v[8:9], off
	s_waitcnt vmcnt(0)
	v_mul_f64 v[24:25], s[28:29], v[14:15]
	v_mul_f64 v[14:15], s[26:27], v[14:15]
	v_fma_f64 v[24:25], s[26:27], v[12:13], -v[24:25]
	v_fmac_f64_e32 v[14:15], s[28:29], v[12:13]
	v_add_f64 v[0:1], v[0:1], v[24:25]
	v_add_f64 v[2:3], v[2:3], v[14:15]
.LBB275_23:
	global_store_dwordx4 v[8:9], v[0:3], off
.LBB275_24:
	s_or_b64 exec, exec, s[2:3]
	v_add_u32_e32 v10, 16, v10
	v_ashrrev_i32_e32 v0, 31, v10
	v_mul_lo_u32 v2, s36, v0
	v_mul_lo_u32 v3, s37, v10
	v_mad_u64_u32 v[0:1], s[6:7], s36, v10, 0
	v_cmp_gt_i32_e64 s[2:3], s33, v10
	v_add3_u32 v1, v1, v2, v3
	v_cmp_le_i32_e32 vcc, v4, v10
	v_lshl_add_u64 v[8:9], v[0:1], 4, s[4:5]
	s_and_b64 s[6:7], s[2:3], vcc
	s_and_saveexec_b64 s[4:5], s[6:7]
	s_cbranch_execz .LBB275_28
; %bb.25:
	v_mul_f64 v[0:1], s[12:13], v[22:23]
	v_mul_f64 v[2:3], s[10:11], v[22:23]
	v_fma_f64 v[0:1], s[10:11], v[20:21], -v[0:1]
	v_fmac_f64_e32 v[2:3], s[12:13], v[20:21]
	s_and_b64 vcc, exec, s[0:1]
	v_lshl_add_u64 v[4:5], v[4:5], 4, v[8:9]
	s_cbranch_vccnz .LBB275_27
; %bb.26:
	global_load_dwordx4 v[12:15], v[4:5], off
	s_waitcnt vmcnt(0)
	v_mul_f64 v[20:21], s[28:29], v[14:15]
	v_mul_f64 v[14:15], s[26:27], v[14:15]
	v_fma_f64 v[20:21], s[26:27], v[12:13], -v[20:21]
	v_fmac_f64_e32 v[14:15], s[28:29], v[12:13]
	v_add_f64 v[0:1], v[0:1], v[20:21]
	v_add_f64 v[2:3], v[2:3], v[14:15]
.LBB275_27:
	global_store_dwordx4 v[4:5], v[0:3], off
.LBB275_28:
	s_or_b64 exec, exec, s[4:5]
	v_cmp_le_i32_e32 vcc, v6, v10
	s_and_b64 s[2:3], s[2:3], vcc
	s_and_saveexec_b64 s[4:5], s[2:3]
	s_cbranch_execz .LBB275_32
; %bb.29:
	v_mul_f64 v[0:1], s[12:13], v[16:17]
	v_mul_f64 v[2:3], s[10:11], v[16:17]
	v_fma_f64 v[0:1], s[10:11], v[18:19], -v[0:1]
	v_fmac_f64_e32 v[2:3], s[12:13], v[18:19]
	s_and_b64 vcc, exec, s[0:1]
	v_lshl_add_u64 v[4:5], v[6:7], 4, v[8:9]
	s_cbranch_vccnz .LBB275_31
; %bb.30:
	global_load_dwordx4 v[6:9], v[4:5], off
	s_waitcnt vmcnt(0)
	v_mul_f64 v[10:11], s[28:29], v[8:9]
	v_mul_f64 v[8:9], s[26:27], v[8:9]
	v_fma_f64 v[10:11], s[26:27], v[6:7], -v[10:11]
	v_fmac_f64_e32 v[8:9], s[28:29], v[6:7]
	v_add_f64 v[0:1], v[0:1], v[10:11]
	v_add_f64 v[2:3], v[2:3], v[8:9]
.LBB275_31:
	global_store_dwordx4 v[4:5], v[0:3], off
.LBB275_32:
	s_endpgm
	.section	.rodata,"a",@progbits
	.p2align	6, 0x0
	.amdhsa_kernel _ZL29rocblas_internal_gemmt_kernelIlLi16ELi32ELi8ELc84ELc67ELc85ELb0ELb1E19rocblas_complex_numIdES1_PKS1_PS1_EviT_T9_T10_S5_lS7_S5_lS6_T11_S5_li
		.amdhsa_group_segment_fixed_size 8192
		.amdhsa_private_segment_fixed_size 0
		.amdhsa_kernarg_size 124
		.amdhsa_user_sgpr_count 2
		.amdhsa_user_sgpr_dispatch_ptr 0
		.amdhsa_user_sgpr_queue_ptr 0
		.amdhsa_user_sgpr_kernarg_segment_ptr 1
		.amdhsa_user_sgpr_dispatch_id 0
		.amdhsa_user_sgpr_kernarg_preload_length 0
		.amdhsa_user_sgpr_kernarg_preload_offset 0
		.amdhsa_user_sgpr_private_segment_size 0
		.amdhsa_uses_dynamic_stack 0
		.amdhsa_enable_private_segment 0
		.amdhsa_system_sgpr_workgroup_id_x 1
		.amdhsa_system_sgpr_workgroup_id_y 1
		.amdhsa_system_sgpr_workgroup_id_z 1
		.amdhsa_system_sgpr_workgroup_info 0
		.amdhsa_system_vgpr_workitem_id 1
		.amdhsa_next_free_vgpr 66
		.amdhsa_next_free_sgpr 42
		.amdhsa_accum_offset 68
		.amdhsa_reserve_vcc 1
		.amdhsa_float_round_mode_32 0
		.amdhsa_float_round_mode_16_64 0
		.amdhsa_float_denorm_mode_32 3
		.amdhsa_float_denorm_mode_16_64 3
		.amdhsa_dx10_clamp 1
		.amdhsa_ieee_mode 1
		.amdhsa_fp16_overflow 0
		.amdhsa_tg_split 0
		.amdhsa_exception_fp_ieee_invalid_op 0
		.amdhsa_exception_fp_denorm_src 0
		.amdhsa_exception_fp_ieee_div_zero 0
		.amdhsa_exception_fp_ieee_overflow 0
		.amdhsa_exception_fp_ieee_underflow 0
		.amdhsa_exception_fp_ieee_inexact 0
		.amdhsa_exception_int_div_zero 0
	.end_amdhsa_kernel
	.section	.text._ZL29rocblas_internal_gemmt_kernelIlLi16ELi32ELi8ELc84ELc67ELc85ELb0ELb1E19rocblas_complex_numIdES1_PKS1_PS1_EviT_T9_T10_S5_lS7_S5_lS6_T11_S5_li,"axG",@progbits,_ZL29rocblas_internal_gemmt_kernelIlLi16ELi32ELi8ELc84ELc67ELc85ELb0ELb1E19rocblas_complex_numIdES1_PKS1_PS1_EviT_T9_T10_S5_lS7_S5_lS6_T11_S5_li,comdat
.Lfunc_end275:
	.size	_ZL29rocblas_internal_gemmt_kernelIlLi16ELi32ELi8ELc84ELc67ELc85ELb0ELb1E19rocblas_complex_numIdES1_PKS1_PS1_EviT_T9_T10_S5_lS7_S5_lS6_T11_S5_li, .Lfunc_end275-_ZL29rocblas_internal_gemmt_kernelIlLi16ELi32ELi8ELc84ELc67ELc85ELb0ELb1E19rocblas_complex_numIdES1_PKS1_PS1_EviT_T9_T10_S5_lS7_S5_lS6_T11_S5_li
                                        ; -- End function
	.set _ZL29rocblas_internal_gemmt_kernelIlLi16ELi32ELi8ELc84ELc67ELc85ELb0ELb1E19rocblas_complex_numIdES1_PKS1_PS1_EviT_T9_T10_S5_lS7_S5_lS6_T11_S5_li.num_vgpr, 66
	.set _ZL29rocblas_internal_gemmt_kernelIlLi16ELi32ELi8ELc84ELc67ELc85ELb0ELb1E19rocblas_complex_numIdES1_PKS1_PS1_EviT_T9_T10_S5_lS7_S5_lS6_T11_S5_li.num_agpr, 0
	.set _ZL29rocblas_internal_gemmt_kernelIlLi16ELi32ELi8ELc84ELc67ELc85ELb0ELb1E19rocblas_complex_numIdES1_PKS1_PS1_EviT_T9_T10_S5_lS7_S5_lS6_T11_S5_li.numbered_sgpr, 42
	.set _ZL29rocblas_internal_gemmt_kernelIlLi16ELi32ELi8ELc84ELc67ELc85ELb0ELb1E19rocblas_complex_numIdES1_PKS1_PS1_EviT_T9_T10_S5_lS7_S5_lS6_T11_S5_li.num_named_barrier, 0
	.set _ZL29rocblas_internal_gemmt_kernelIlLi16ELi32ELi8ELc84ELc67ELc85ELb0ELb1E19rocblas_complex_numIdES1_PKS1_PS1_EviT_T9_T10_S5_lS7_S5_lS6_T11_S5_li.private_seg_size, 0
	.set _ZL29rocblas_internal_gemmt_kernelIlLi16ELi32ELi8ELc84ELc67ELc85ELb0ELb1E19rocblas_complex_numIdES1_PKS1_PS1_EviT_T9_T10_S5_lS7_S5_lS6_T11_S5_li.uses_vcc, 1
	.set _ZL29rocblas_internal_gemmt_kernelIlLi16ELi32ELi8ELc84ELc67ELc85ELb0ELb1E19rocblas_complex_numIdES1_PKS1_PS1_EviT_T9_T10_S5_lS7_S5_lS6_T11_S5_li.uses_flat_scratch, 0
	.set _ZL29rocblas_internal_gemmt_kernelIlLi16ELi32ELi8ELc84ELc67ELc85ELb0ELb1E19rocblas_complex_numIdES1_PKS1_PS1_EviT_T9_T10_S5_lS7_S5_lS6_T11_S5_li.has_dyn_sized_stack, 0
	.set _ZL29rocblas_internal_gemmt_kernelIlLi16ELi32ELi8ELc84ELc67ELc85ELb0ELb1E19rocblas_complex_numIdES1_PKS1_PS1_EviT_T9_T10_S5_lS7_S5_lS6_T11_S5_li.has_recursion, 0
	.set _ZL29rocblas_internal_gemmt_kernelIlLi16ELi32ELi8ELc84ELc67ELc85ELb0ELb1E19rocblas_complex_numIdES1_PKS1_PS1_EviT_T9_T10_S5_lS7_S5_lS6_T11_S5_li.has_indirect_call, 0
	.section	.AMDGPU.csdata,"",@progbits
; Kernel info:
; codeLenInByte = 3212
; TotalNumSgprs: 48
; NumVgprs: 66
; NumAgprs: 0
; TotalNumVgprs: 66
; ScratchSize: 0
; MemoryBound: 1
; FloatMode: 240
; IeeeMode: 1
; LDSByteSize: 8192 bytes/workgroup (compile time only)
; SGPRBlocks: 5
; VGPRBlocks: 8
; NumSGPRsForWavesPerEU: 48
; NumVGPRsForWavesPerEU: 66
; AccumOffset: 68
; Occupancy: 7
; WaveLimiterHint : 0
; COMPUTE_PGM_RSRC2:SCRATCH_EN: 0
; COMPUTE_PGM_RSRC2:USER_SGPR: 2
; COMPUTE_PGM_RSRC2:TRAP_HANDLER: 0
; COMPUTE_PGM_RSRC2:TGID_X_EN: 1
; COMPUTE_PGM_RSRC2:TGID_Y_EN: 1
; COMPUTE_PGM_RSRC2:TGID_Z_EN: 1
; COMPUTE_PGM_RSRC2:TIDIG_COMP_CNT: 1
; COMPUTE_PGM_RSRC3_GFX90A:ACCUM_OFFSET: 16
; COMPUTE_PGM_RSRC3_GFX90A:TG_SPLIT: 0
	.section	.text._ZL29rocblas_internal_gemmt_kernelIlLi16ELi32ELi8ELc67ELc78ELc85ELb1ELb0E19rocblas_complex_numIdES1_PKS1_PS1_EviT_T9_T10_S5_lS7_S5_lS6_T11_S5_li,"axG",@progbits,_ZL29rocblas_internal_gemmt_kernelIlLi16ELi32ELi8ELc67ELc78ELc85ELb1ELb0E19rocblas_complex_numIdES1_PKS1_PS1_EviT_T9_T10_S5_lS7_S5_lS6_T11_S5_li,comdat
	.globl	_ZL29rocblas_internal_gemmt_kernelIlLi16ELi32ELi8ELc67ELc78ELc85ELb1ELb0E19rocblas_complex_numIdES1_PKS1_PS1_EviT_T9_T10_S5_lS7_S5_lS6_T11_S5_li ; -- Begin function _ZL29rocblas_internal_gemmt_kernelIlLi16ELi32ELi8ELc67ELc78ELc85ELb1ELb0E19rocblas_complex_numIdES1_PKS1_PS1_EviT_T9_T10_S5_lS7_S5_lS6_T11_S5_li
	.p2align	8
	.type	_ZL29rocblas_internal_gemmt_kernelIlLi16ELi32ELi8ELc67ELc78ELc85ELb1ELb0E19rocblas_complex_numIdES1_PKS1_PS1_EviT_T9_T10_S5_lS7_S5_lS6_T11_S5_li,@function
_ZL29rocblas_internal_gemmt_kernelIlLi16ELi32ELi8ELc67ELc78ELc85ELb1ELb0E19rocblas_complex_numIdES1_PKS1_PS1_EviT_T9_T10_S5_lS7_S5_lS6_T11_S5_li: ; @_ZL29rocblas_internal_gemmt_kernelIlLi16ELi32ELi8ELc67ELc78ELc85ELb1ELb0E19rocblas_complex_numIdES1_PKS1_PS1_EviT_T9_T10_S5_lS7_S5_lS6_T11_S5_li
; %bb.0:
	s_load_dwordx8 s[24:31], s[0:1], 0x48
	s_load_dwordx16 s[8:23], s[0:1], 0x8
	s_mov_b64 s[34:35], 0
	s_waitcnt lgkmcnt(0)
	v_cmp_eq_f64_e64 s[36:37], s[26:27], 1.0
	v_cmp_eq_f64_e64 s[6:7], s[28:29], 0
	s_and_b64 s[36:37], s[36:37], s[6:7]
	s_andn2_b64 vcc, exec, s[36:37]
	s_mov_b64 s[36:37], -1
	s_cbranch_vccnz .LBB276_4
; %bb.1:
	s_cmp_lg_u64 s[8:9], 0
	s_cbranch_scc0 .LBB276_3
; %bb.2:
	v_cmp_neq_f64_e64 s[34:35], s[10:11], 0
	v_cmp_neq_f64_e64 s[36:37], s[12:13], 0
	s_or_b64 s[34:35], s[34:35], s[36:37]
.LBB276_3:
	s_mov_b64 s[36:37], s[34:35]
.LBB276_4:
	s_and_b64 vcc, exec, s[36:37]
	s_cbranch_vccz .LBB276_32
; %bb.5:
	s_load_dwordx4 s[36:39], s[0:1], 0x68
	s_load_dword s33, s[0:1], 0x0
	s_lshl_b32 s34, s2, 5
	s_lshl_b32 s35, s3, 5
	v_cmp_eq_f64_e64 s[0:1], s[10:11], 0
	v_cmp_eq_f64_e64 s[2:3], s[12:13], 0
	s_and_b64 s[0:1], s[0:1], s[2:3]
	v_cmp_lt_i64_e64 s[2:3], s[8:9], 1
	s_or_b64 s[0:1], s[0:1], s[2:3]
	v_and_b32_e32 v5, 0x3ff, v0
	v_bfe_u32 v7, v0, 10, 10
	v_mov_b64_e32 v[26:27], 0
	s_and_b64 vcc, exec, s[0:1]
	v_mov_b64_e32 v[28:29], 0
	v_mov_b64_e32 v[22:23], 0
	;; [unrolled: 1-line block ×7, first 2 shown]
	s_cbranch_vccnz .LBB276_16
; %bb.6:
	s_mul_i32 s0, s25, s4
	s_mul_hi_u32 s1, s24, s4
	s_add_i32 s1, s1, s0
	s_mul_i32 s0, s24, s4
	s_lshl_b64 s[0:1], s[0:1], 4
	s_add_u32 s2, s20, s0
	s_addc_u32 s3, s21, s1
	s_mul_i32 s0, s19, s4
	s_mul_hi_u32 s1, s18, s4
	s_add_i32 s1, s1, s0
	s_mul_i32 s0, s18, s4
	v_lshl_add_u32 v0, v7, 4, v5
	s_lshl_b64 s[0:1], s[0:1], 4
	v_lshrrev_b32_e32 v6, 5, v0
	v_lshrrev_b32_e32 v2, 3, v0
	v_and_b32_e32 v0, 31, v0
	s_add_u32 s14, s14, s0
	v_or_b32_e32 v1, s34, v0
	s_addc_u32 s15, s15, s1
	v_lshlrev_b32_e32 v0, 4, v0
	s_ashr_i32 s5, s34, 31
	s_waitcnt lgkmcnt(0)
	v_cmp_gt_i32_e64 s[0:1], s33, v1
	v_lshl_or_b32 v30, v6, 9, v0
	v_mul_lo_u32 v8, s17, v1
	v_mad_u64_u32 v[0:1], s[18:19], s16, v1, 0
	s_mul_i32 s5, s16, s5
	v_and_b32_e32 v4, 7, v5
	v_add3_u32 v1, v1, s5, v8
	v_lshl_add_u64 v[8:9], v[0:1], 4, s[14:15]
	v_lshlrev_b32_e32 v0, 4, v4
	v_add_u32_e32 v3, s35, v2
	v_lshl_or_b32 v0, v2, 7, v0
	v_add_u32_e32 v31, 0x1000, v0
	v_ashrrev_i32_e32 v0, 31, v3
	v_mul_lo_u32 v2, s22, v0
	v_mul_lo_u32 v10, s23, v3
	v_mad_u64_u32 v[0:1], s[14:15], s22, v3, 0
	v_add3_u32 v1, v1, v2, v10
	v_cmp_gt_i32_e32 vcc, s33, v3
	v_lshl_add_u64 v[10:11], v[0:1], 4, s[2:3]
	v_mov_b32_e32 v0, 0x1000
	v_mov_b32_e32 v13, 0
	v_lshlrev_b32_e32 v32, 4, v5
	v_lshl_add_u32 v33, v7, 7, v0
	v_mov_b64_e32 v[14:15], 0
	s_mov_b64 s[2:3], 0
	s_xor_b64 s[14:15], vcc, -1
	v_mov_b32_e32 v34, v13
	v_mov_b32_e32 v35, v13
	;; [unrolled: 1-line block ×4, first 2 shown]
	v_mov_b64_e32 v[16:17], 0
	v_mov_b64_e32 v[20:21], 0
	;; [unrolled: 1-line block ×7, first 2 shown]
	s_branch .LBB276_8
.LBB276_7:                              ;   in Loop: Header=BB276_8 Depth=1
	s_or_b64 exec, exec, s[16:17]
	s_waitcnt lgkmcnt(0)
	s_barrier
	ds_read_b128 v[0:3], v32
	ds_read_b128 v[38:41], v33
	ds_read_b128 v[42:45], v33 offset:16
	ds_read_b128 v[46:49], v33 offset:32
	;; [unrolled: 1-line block ×4, first 2 shown]
	s_waitcnt lgkmcnt(4)
	v_mul_f64 v[58:59], v[40:41], v[2:3]
	v_fma_f64 v[58:59], v[38:39], v[0:1], -v[58:59]
	v_mul_f64 v[60:61], v[38:39], v[2:3]
	v_fmac_f64_e32 v[60:61], v[40:41], v[0:1]
	v_add_f64 v[58:59], v[26:27], v[58:59]
	s_waitcnt lgkmcnt(0)
	v_mul_f64 v[26:27], v[40:41], v[56:57]
	v_add_f64 v[60:61], v[60:61], v[28:29]
	v_fma_f64 v[62:63], v[38:39], v[54:55], -v[26:27]
	ds_read_b128 v[26:29], v33 offset:2048
	v_mul_f64 v[38:39], v[38:39], v[56:57]
	v_fmac_f64_e32 v[38:39], v[40:41], v[54:55]
	v_add_f64 v[40:41], v[22:23], v[62:63]
	v_add_f64 v[38:39], v[38:39], v[24:25]
	ds_read_b128 v[22:25], v33 offset:2064
	s_waitcnt lgkmcnt(1)
	v_mul_f64 v[62:63], v[28:29], v[2:3]
	v_mul_f64 v[2:3], v[26:27], v[2:3]
	v_fma_f64 v[62:63], v[26:27], v[0:1], -v[62:63]
	v_fmac_f64_e32 v[2:3], v[28:29], v[0:1]
	v_mul_f64 v[0:1], v[28:29], v[56:57]
	v_add_f64 v[18:19], v[18:19], v[62:63]
	v_add_f64 v[20:21], v[2:3], v[20:21]
	v_fma_f64 v[62:63], v[26:27], v[54:55], -v[0:1]
	v_mul_f64 v[26:27], v[26:27], v[56:57]
	ds_read_b128 v[0:3], v32 offset:512
	v_fmac_f64_e32 v[26:27], v[28:29], v[54:55]
	v_add_f64 v[28:29], v[16:17], v[62:63]
	v_add_f64 v[26:27], v[26:27], v[14:15]
	ds_read_b128 v[14:17], v32 offset:768
	s_waitcnt lgkmcnt(1)
	v_mul_f64 v[54:55], v[44:45], v[2:3]
	v_fma_f64 v[54:55], v[42:43], v[0:1], -v[54:55]
	v_add_f64 v[54:55], v[58:59], v[54:55]
	v_mul_f64 v[56:57], v[42:43], v[2:3]
	s_waitcnt lgkmcnt(0)
	v_mul_f64 v[58:59], v[44:45], v[16:17]
	v_fma_f64 v[58:59], v[42:43], v[14:15], -v[58:59]
	v_mul_f64 v[42:43], v[42:43], v[16:17]
	v_fmac_f64_e32 v[42:43], v[44:45], v[14:15]
	v_add_f64 v[38:39], v[42:43], v[38:39]
	v_mul_f64 v[42:43], v[24:25], v[2:3]
	v_mul_f64 v[2:3], v[22:23], v[2:3]
	v_fmac_f64_e32 v[56:57], v[44:45], v[0:1]
	v_fma_f64 v[42:43], v[22:23], v[0:1], -v[42:43]
	v_fmac_f64_e32 v[2:3], v[24:25], v[0:1]
	v_mul_f64 v[0:1], v[24:25], v[16:17]
	v_add_f64 v[42:43], v[18:19], v[42:43]
	v_add_f64 v[44:45], v[2:3], v[20:21]
	v_fma_f64 v[18:19], v[22:23], v[14:15], -v[0:1]
	v_mul_f64 v[16:17], v[22:23], v[16:17]
	ds_read_b128 v[0:3], v32 offset:1024
	v_fmac_f64_e32 v[16:17], v[24:25], v[14:15]
	v_add_f64 v[26:27], v[16:17], v[26:27]
	ds_read_b128 v[14:17], v32 offset:1280
	v_add_f64 v[28:29], v[28:29], v[18:19]
	s_waitcnt lgkmcnt(1)
	v_mul_f64 v[18:19], v[48:49], v[2:3]
	v_fma_f64 v[18:19], v[46:47], v[0:1], -v[18:19]
	v_mul_f64 v[20:21], v[46:47], v[2:3]
	v_add_f64 v[56:57], v[56:57], v[60:61]
	v_fmac_f64_e32 v[20:21], v[48:49], v[0:1]
	v_add_f64 v[54:55], v[54:55], v[18:19]
	s_waitcnt lgkmcnt(0)
	v_mul_f64 v[18:19], v[48:49], v[16:17]
	v_add_f64 v[56:57], v[20:21], v[56:57]
	v_fma_f64 v[22:23], v[46:47], v[14:15], -v[18:19]
	ds_read_b128 v[18:21], v33 offset:2080
	v_mul_f64 v[24:25], v[46:47], v[16:17]
	v_add_f64 v[40:41], v[40:41], v[58:59]
	v_fmac_f64_e32 v[24:25], v[48:49], v[14:15]
	v_add_f64 v[40:41], v[40:41], v[22:23]
	v_add_f64 v[38:39], v[24:25], v[38:39]
	ds_read_b128 v[22:25], v33 offset:2096
	s_waitcnt lgkmcnt(1)
	v_mul_f64 v[46:47], v[20:21], v[2:3]
	v_mul_f64 v[2:3], v[18:19], v[2:3]
	v_fma_f64 v[46:47], v[18:19], v[0:1], -v[46:47]
	v_fmac_f64_e32 v[2:3], v[20:21], v[0:1]
	v_mul_f64 v[0:1], v[20:21], v[16:17]
	v_mul_f64 v[16:17], v[18:19], v[16:17]
	v_fmac_f64_e32 v[16:17], v[20:21], v[14:15]
	v_add_f64 v[42:43], v[42:43], v[46:47]
	v_add_f64 v[44:45], v[2:3], v[44:45]
	v_fma_f64 v[46:47], v[18:19], v[14:15], -v[0:1]
	ds_read_b128 v[0:3], v32 offset:1536
	v_add_f64 v[20:21], v[16:17], v[26:27]
	ds_read_b128 v[14:17], v32 offset:1792
	v_add_f64 v[18:19], v[28:29], v[46:47]
	s_add_u32 s2, s2, 8
	s_waitcnt lgkmcnt(1)
	v_mul_f64 v[26:27], v[52:53], v[2:3]
	v_mul_f64 v[28:29], v[50:51], v[2:3]
	s_waitcnt lgkmcnt(0)
	v_mul_f64 v[46:47], v[52:53], v[16:17]
	v_fma_f64 v[46:47], v[50:51], v[14:15], -v[46:47]
	v_add_f64 v[40:41], v[40:41], v[46:47]
	v_mul_f64 v[46:47], v[24:25], v[2:3]
	v_mul_f64 v[2:3], v[22:23], v[2:3]
	v_fma_f64 v[26:27], v[50:51], v[0:1], -v[26:27]
	v_fmac_f64_e32 v[28:29], v[52:53], v[0:1]
	v_fma_f64 v[46:47], v[22:23], v[0:1], -v[46:47]
	v_fmac_f64_e32 v[2:3], v[24:25], v[0:1]
	v_mul_f64 v[0:1], v[24:25], v[16:17]
	v_mul_f64 v[48:49], v[50:51], v[16:17]
	v_add_f64 v[42:43], v[42:43], v[46:47]
	v_fma_f64 v[46:47], v[22:23], v[14:15], -v[0:1]
	v_mul_f64 v[22:23], v[22:23], v[16:17]
	v_fmac_f64_e32 v[48:49], v[52:53], v[14:15]
	v_add_f64 v[44:45], v[2:3], v[44:45]
	v_fmac_f64_e32 v[22:23], v[24:25], v[14:15]
	ds_read_b128 v[0:3], v33 offset:64
	ds_read_b128 v[14:17], v32 offset:2048
	v_add_f64 v[38:39], v[48:49], v[38:39]
	v_add_f64 v[46:47], v[18:19], v[46:47]
	;; [unrolled: 1-line block ×3, first 2 shown]
	ds_read_b128 v[18:21], v32 offset:2304
	ds_read_b128 v[22:25], v33 offset:80
	s_waitcnt lgkmcnt(2)
	v_mul_f64 v[50:51], v[2:3], v[16:17]
	v_add_f64 v[26:27], v[54:55], v[26:27]
	v_fma_f64 v[50:51], v[0:1], v[14:15], -v[50:51]
	v_mul_f64 v[52:53], v[0:1], v[16:17]
	v_add_f64 v[28:29], v[28:29], v[56:57]
	v_fmac_f64_e32 v[52:53], v[2:3], v[14:15]
	v_add_f64 v[50:51], v[26:27], v[50:51]
	s_waitcnt lgkmcnt(1)
	v_mul_f64 v[26:27], v[2:3], v[20:21]
	v_add_f64 v[52:53], v[52:53], v[28:29]
	v_fma_f64 v[54:55], v[0:1], v[18:19], -v[26:27]
	ds_read_b128 v[26:29], v33 offset:2112
	v_mul_f64 v[0:1], v[0:1], v[20:21]
	v_fmac_f64_e32 v[0:1], v[2:3], v[18:19]
	v_add_f64 v[40:41], v[40:41], v[54:55]
	v_add_f64 v[38:39], v[0:1], v[38:39]
	ds_read_b128 v[0:3], v33 offset:2128
	s_waitcnt lgkmcnt(1)
	v_mul_f64 v[54:55], v[28:29], v[16:17]
	v_mul_f64 v[16:17], v[26:27], v[16:17]
	v_fma_f64 v[54:55], v[26:27], v[14:15], -v[54:55]
	v_fmac_f64_e32 v[16:17], v[28:29], v[14:15]
	v_mul_f64 v[14:15], v[28:29], v[20:21]
	v_add_f64 v[42:43], v[42:43], v[54:55]
	v_add_f64 v[44:45], v[16:17], v[44:45]
	v_fma_f64 v[54:55], v[26:27], v[18:19], -v[14:15]
	v_mul_f64 v[20:21], v[26:27], v[20:21]
	ds_read_b128 v[14:17], v32 offset:2560
	v_fmac_f64_e32 v[20:21], v[28:29], v[18:19]
	v_add_f64 v[28:29], v[20:21], v[48:49]
	ds_read_b128 v[18:21], v32 offset:2816
	v_add_f64 v[26:27], v[46:47], v[54:55]
	s_waitcnt lgkmcnt(1)
	v_mul_f64 v[46:47], v[24:25], v[16:17]
	v_fma_f64 v[46:47], v[22:23], v[14:15], -v[46:47]
	v_add_f64 v[46:47], v[50:51], v[46:47]
	s_waitcnt lgkmcnt(0)
	v_mul_f64 v[50:51], v[24:25], v[20:21]
	v_mul_f64 v[48:49], v[22:23], v[16:17]
	v_fma_f64 v[50:51], v[22:23], v[18:19], -v[50:51]
	v_mul_f64 v[22:23], v[22:23], v[20:21]
	v_fmac_f64_e32 v[22:23], v[24:25], v[18:19]
	v_add_f64 v[38:39], v[22:23], v[38:39]
	v_mul_f64 v[22:23], v[2:3], v[16:17]
	v_mul_f64 v[16:17], v[0:1], v[16:17]
	v_fmac_f64_e32 v[48:49], v[24:25], v[14:15]
	v_fma_f64 v[22:23], v[0:1], v[14:15], -v[22:23]
	v_fmac_f64_e32 v[16:17], v[2:3], v[14:15]
	v_mul_f64 v[14:15], v[2:3], v[20:21]
	v_mul_f64 v[20:21], v[0:1], v[20:21]
	v_add_f64 v[42:43], v[42:43], v[22:23]
	v_add_f64 v[44:45], v[16:17], v[44:45]
	v_fma_f64 v[22:23], v[0:1], v[18:19], -v[14:15]
	v_fmac_f64_e32 v[20:21], v[2:3], v[18:19]
	ds_read_b128 v[0:3], v33 offset:96
	ds_read_b128 v[14:17], v32 offset:3072
	v_add_f64 v[48:49], v[48:49], v[52:53]
	v_add_f64 v[40:41], v[40:41], v[50:51]
	;; [unrolled: 1-line block ×4, first 2 shown]
	ds_read_b128 v[18:21], v32 offset:3328
	ds_read_b128 v[22:25], v33 offset:112
	s_waitcnt lgkmcnt(2)
	v_mul_f64 v[26:27], v[2:3], v[16:17]
	v_fma_f64 v[26:27], v[0:1], v[14:15], -v[26:27]
	v_mul_f64 v[28:29], v[0:1], v[16:17]
	v_fmac_f64_e32 v[28:29], v[2:3], v[14:15]
	v_add_f64 v[46:47], v[46:47], v[26:27]
	s_waitcnt lgkmcnt(1)
	v_mul_f64 v[26:27], v[2:3], v[20:21]
	v_add_f64 v[48:49], v[28:29], v[48:49]
	v_fma_f64 v[54:55], v[0:1], v[18:19], -v[26:27]
	ds_read_b128 v[26:29], v33 offset:2144
	v_mul_f64 v[0:1], v[0:1], v[20:21]
	v_fmac_f64_e32 v[0:1], v[2:3], v[18:19]
	v_add_f64 v[56:57], v[0:1], v[38:39]
	ds_read_b128 v[0:3], v33 offset:2160
	s_waitcnt lgkmcnt(1)
	v_mul_f64 v[38:39], v[28:29], v[16:17]
	v_mul_f64 v[16:17], v[26:27], v[16:17]
	v_fma_f64 v[38:39], v[26:27], v[14:15], -v[38:39]
	v_fmac_f64_e32 v[16:17], v[28:29], v[14:15]
	v_mul_f64 v[14:15], v[28:29], v[20:21]
	v_add_f64 v[42:43], v[42:43], v[38:39]
	v_add_f64 v[44:45], v[16:17], v[44:45]
	v_fma_f64 v[38:39], v[26:27], v[18:19], -v[14:15]
	ds_read_b128 v[14:17], v32 offset:3584
	v_add_f64 v[54:55], v[40:41], v[54:55]
	v_add_f64 v[50:51], v[50:51], v[38:39]
	ds_read_b128 v[38:41], v32 offset:3840
	v_mul_f64 v[20:21], v[26:27], v[20:21]
	v_fmac_f64_e32 v[20:21], v[28:29], v[18:19]
	s_waitcnt lgkmcnt(1)
	v_mul_f64 v[18:19], v[24:25], v[16:17]
	v_fma_f64 v[18:19], v[22:23], v[14:15], -v[18:19]
	v_add_f64 v[52:53], v[20:21], v[52:53]
	v_mul_f64 v[20:21], v[22:23], v[16:17]
	v_add_f64 v[26:27], v[46:47], v[18:19]
	s_waitcnt lgkmcnt(0)
	v_mul_f64 v[18:19], v[24:25], v[40:41]
	v_fmac_f64_e32 v[20:21], v[24:25], v[14:15]
	v_fma_f64 v[18:19], v[22:23], v[38:39], -v[18:19]
	v_add_f64 v[28:29], v[20:21], v[48:49]
	v_mul_f64 v[20:21], v[22:23], v[40:41]
	v_add_f64 v[22:23], v[54:55], v[18:19]
	v_mul_f64 v[18:19], v[2:3], v[16:17]
	v_mul_f64 v[16:17], v[0:1], v[16:17]
	v_fma_f64 v[18:19], v[0:1], v[14:15], -v[18:19]
	v_fmac_f64_e32 v[16:17], v[2:3], v[14:15]
	v_mul_f64 v[14:15], v[2:3], v[40:41]
	v_fma_f64 v[14:15], v[0:1], v[38:39], -v[14:15]
	v_mul_f64 v[0:1], v[0:1], v[40:41]
	v_fmac_f64_e32 v[20:21], v[24:25], v[38:39]
	v_fmac_f64_e32 v[0:1], v[2:3], v[38:39]
	s_addc_u32 s3, s3, 0
	v_add_f64 v[24:25], v[20:21], v[56:57]
	v_add_f64 v[20:21], v[16:17], v[44:45]
	;; [unrolled: 1-line block ×4, first 2 shown]
	v_mov_b64_e32 v[0:1], s[2:3]
	v_cmp_gt_i64_e32 vcc, s[8:9], v[0:1]
	v_add_f64 v[18:19], v[42:43], v[18:19]
	s_barrier
	s_cbranch_vccz .LBB276_16
.LBB276_8:                              ; =>This Inner Loop Header: Depth=1
	v_mov_b64_e32 v[0:1], 0
	v_mov_b64_e32 v[2:3], 0
	s_and_saveexec_b64 s[16:17], s[0:1]
	s_cbranch_execz .LBB276_12
; %bb.9:                                ;   in Loop: Header=BB276_8 Depth=1
	v_add_u32_e32 v12, s2, v6
	v_cmp_gt_u64_e32 vcc, s[8:9], v[12:13]
	v_mov_b64_e32 v[2:3], 0
	v_mov_b64_e32 v[0:1], 0
	s_and_saveexec_b64 s[18:19], vcc
	s_cbranch_execz .LBB276_11
; %bb.10:                               ;   in Loop: Header=BB276_8 Depth=1
	v_lshl_add_u64 v[0:1], v[12:13], 4, v[8:9]
	global_load_dwordx4 v[0:3], v[0:1], off
	s_waitcnt vmcnt(0)
	v_xor_b32_e32 v3, 0x80000000, v3
.LBB276_11:                             ;   in Loop: Header=BB276_8 Depth=1
	s_or_b64 exec, exec, s[18:19]
.LBB276_12:                             ;   in Loop: Header=BB276_8 Depth=1
	s_or_b64 exec, exec, s[16:17]
	v_add_u32_e32 v12, s2, v4
	v_cmp_le_u64_e32 vcc, s[8:9], v[12:13]
	s_or_b64 s[16:17], vcc, s[14:15]
	ds_write_b128 v30, v[0:3]
	s_and_saveexec_b64 s[18:19], s[16:17]
	s_xor_b64 s[16:17], exec, s[18:19]
; %bb.13:                               ;   in Loop: Header=BB276_8 Depth=1
	ds_write_b128 v31, v[34:37]
; %bb.14:                               ;   in Loop: Header=BB276_8 Depth=1
	s_andn2_saveexec_b64 s[16:17], s[16:17]
	s_cbranch_execz .LBB276_7
; %bb.15:                               ;   in Loop: Header=BB276_8 Depth=1
	v_lshl_add_u64 v[0:1], v[12:13], 4, v[10:11]
	global_load_dwordx4 v[0:3], v[0:1], off
	s_waitcnt vmcnt(0)
	ds_write2_b64 v31, v[0:1], v[2:3] offset1:1
	s_branch .LBB276_7
.LBB276_16:
	s_waitcnt lgkmcnt(0)
	s_mul_i32 s0, s39, s4
	s_mul_hi_u32 s1, s38, s4
	s_add_i32 s1, s1, s0
	s_mul_i32 s0, s38, s4
	s_lshl_b64 s[0:1], s[0:1], 4
	v_add_u32_e32 v10, s35, v7
	s_add_u32 s4, s30, s0
	v_ashrrev_i32_e32 v0, 31, v10
	s_addc_u32 s5, s31, s1
	v_cmp_neq_f64_e64 s[0:1], s[26:27], 0
	s_xor_b64 s[6:7], s[6:7], -1
	v_mul_lo_u32 v2, s36, v0
	v_mul_lo_u32 v3, s37, v10
	v_mad_u64_u32 v[0:1], s[8:9], s36, v10, 0
	v_add_u32_e32 v4, s34, v5
	v_add3_u32 v1, v1, v2, v3
	s_or_b64 s[0:1], s[0:1], s[6:7]
	v_cmp_gt_i32_e64 s[2:3], s33, v10
	v_lshl_add_u64 v[8:9], v[0:1], 4, s[4:5]
	v_cmp_le_i32_e32 vcc, v4, v10
	v_cndmask_b32_e64 v0, 0, 1, s[0:1]
	s_and_b64 s[8:9], s[2:3], vcc
	v_ashrrev_i32_e32 v5, 31, v4
	v_cmp_ne_u32_e64 s[0:1], 1, v0
	s_and_saveexec_b64 s[6:7], s[8:9]
	s_cbranch_execz .LBB276_20
; %bb.17:
	v_mul_f64 v[0:1], s[12:13], v[28:29]
	v_mul_f64 v[2:3], s[10:11], v[28:29]
	v_fma_f64 v[0:1], s[10:11], v[26:27], -v[0:1]
	v_fmac_f64_e32 v[2:3], s[12:13], v[26:27]
	s_and_b64 vcc, exec, s[0:1]
	v_lshl_add_u64 v[6:7], v[4:5], 4, v[8:9]
	s_cbranch_vccnz .LBB276_19
; %bb.18:
	global_load_dwordx4 v[26:29], v[6:7], off
	s_waitcnt vmcnt(0)
	v_mul_f64 v[12:13], s[28:29], v[28:29]
	v_mul_f64 v[28:29], s[26:27], v[28:29]
	v_fma_f64 v[12:13], s[26:27], v[26:27], -v[12:13]
	v_fmac_f64_e32 v[28:29], s[28:29], v[26:27]
	v_add_f64 v[0:1], v[0:1], v[12:13]
	v_add_f64 v[2:3], v[2:3], v[28:29]
.LBB276_19:
	global_store_dwordx4 v[6:7], v[0:3], off
.LBB276_20:
	s_or_b64 exec, exec, s[6:7]
	v_add_u32_e32 v6, 16, v4
	v_cmp_le_i32_e32 vcc, v6, v10
	s_and_b64 s[6:7], s[2:3], vcc
	v_ashrrev_i32_e32 v7, 31, v6
	s_and_saveexec_b64 s[2:3], s[6:7]
	s_cbranch_execz .LBB276_24
; %bb.21:
	v_mul_f64 v[0:1], s[12:13], v[24:25]
	v_mul_f64 v[2:3], s[10:11], v[24:25]
	v_fma_f64 v[0:1], s[10:11], v[22:23], -v[0:1]
	v_fmac_f64_e32 v[2:3], s[12:13], v[22:23]
	s_and_b64 vcc, exec, s[0:1]
	v_lshl_add_u64 v[8:9], v[6:7], 4, v[8:9]
	s_cbranch_vccnz .LBB276_23
; %bb.22:
	global_load_dwordx4 v[22:25], v[8:9], off
	s_waitcnt vmcnt(0)
	v_mul_f64 v[12:13], s[28:29], v[24:25]
	v_mul_f64 v[24:25], s[26:27], v[24:25]
	v_fma_f64 v[12:13], s[26:27], v[22:23], -v[12:13]
	v_fmac_f64_e32 v[24:25], s[28:29], v[22:23]
	v_add_f64 v[0:1], v[0:1], v[12:13]
	v_add_f64 v[2:3], v[2:3], v[24:25]
.LBB276_23:
	global_store_dwordx4 v[8:9], v[0:3], off
.LBB276_24:
	s_or_b64 exec, exec, s[2:3]
	v_add_u32_e32 v10, 16, v10
	v_ashrrev_i32_e32 v0, 31, v10
	v_mul_lo_u32 v2, s36, v0
	v_mul_lo_u32 v3, s37, v10
	v_mad_u64_u32 v[0:1], s[6:7], s36, v10, 0
	v_cmp_gt_i32_e64 s[2:3], s33, v10
	v_add3_u32 v1, v1, v2, v3
	v_cmp_le_i32_e32 vcc, v4, v10
	v_lshl_add_u64 v[8:9], v[0:1], 4, s[4:5]
	s_and_b64 s[6:7], s[2:3], vcc
	s_and_saveexec_b64 s[4:5], s[6:7]
	s_cbranch_execz .LBB276_28
; %bb.25:
	v_mul_f64 v[0:1], s[12:13], v[20:21]
	v_mul_f64 v[2:3], s[10:11], v[20:21]
	v_fma_f64 v[0:1], s[10:11], v[18:19], -v[0:1]
	v_fmac_f64_e32 v[2:3], s[12:13], v[18:19]
	s_and_b64 vcc, exec, s[0:1]
	v_lshl_add_u64 v[4:5], v[4:5], 4, v[8:9]
	s_cbranch_vccnz .LBB276_27
; %bb.26:
	global_load_dwordx4 v[18:21], v[4:5], off
	s_waitcnt vmcnt(0)
	v_mul_f64 v[12:13], s[28:29], v[20:21]
	v_mul_f64 v[20:21], s[26:27], v[20:21]
	v_fma_f64 v[12:13], s[26:27], v[18:19], -v[12:13]
	v_fmac_f64_e32 v[20:21], s[28:29], v[18:19]
	v_add_f64 v[0:1], v[0:1], v[12:13]
	v_add_f64 v[2:3], v[2:3], v[20:21]
.LBB276_27:
	global_store_dwordx4 v[4:5], v[0:3], off
.LBB276_28:
	s_or_b64 exec, exec, s[4:5]
	v_cmp_le_i32_e32 vcc, v6, v10
	s_and_b64 s[2:3], s[2:3], vcc
	s_and_saveexec_b64 s[4:5], s[2:3]
	s_cbranch_execz .LBB276_32
; %bb.29:
	v_mul_f64 v[0:1], s[12:13], v[14:15]
	v_mul_f64 v[2:3], s[10:11], v[14:15]
	v_fma_f64 v[0:1], s[10:11], v[16:17], -v[0:1]
	v_fmac_f64_e32 v[2:3], s[12:13], v[16:17]
	s_and_b64 vcc, exec, s[0:1]
	v_lshl_add_u64 v[4:5], v[6:7], 4, v[8:9]
	s_cbranch_vccnz .LBB276_31
; %bb.30:
	global_load_dwordx4 v[6:9], v[4:5], off
	s_waitcnt vmcnt(0)
	v_mul_f64 v[10:11], s[28:29], v[8:9]
	v_mul_f64 v[8:9], s[26:27], v[8:9]
	v_fma_f64 v[10:11], s[26:27], v[6:7], -v[10:11]
	v_fmac_f64_e32 v[8:9], s[28:29], v[6:7]
	v_add_f64 v[0:1], v[0:1], v[10:11]
	v_add_f64 v[2:3], v[2:3], v[8:9]
.LBB276_31:
	global_store_dwordx4 v[4:5], v[0:3], off
.LBB276_32:
	s_endpgm
	.section	.rodata,"a",@progbits
	.p2align	6, 0x0
	.amdhsa_kernel _ZL29rocblas_internal_gemmt_kernelIlLi16ELi32ELi8ELc67ELc78ELc85ELb1ELb0E19rocblas_complex_numIdES1_PKS1_PS1_EviT_T9_T10_S5_lS7_S5_lS6_T11_S5_li
		.amdhsa_group_segment_fixed_size 8192
		.amdhsa_private_segment_fixed_size 0
		.amdhsa_kernarg_size 124
		.amdhsa_user_sgpr_count 2
		.amdhsa_user_sgpr_dispatch_ptr 0
		.amdhsa_user_sgpr_queue_ptr 0
		.amdhsa_user_sgpr_kernarg_segment_ptr 1
		.amdhsa_user_sgpr_dispatch_id 0
		.amdhsa_user_sgpr_kernarg_preload_length 0
		.amdhsa_user_sgpr_kernarg_preload_offset 0
		.amdhsa_user_sgpr_private_segment_size 0
		.amdhsa_uses_dynamic_stack 0
		.amdhsa_enable_private_segment 0
		.amdhsa_system_sgpr_workgroup_id_x 1
		.amdhsa_system_sgpr_workgroup_id_y 1
		.amdhsa_system_sgpr_workgroup_id_z 1
		.amdhsa_system_sgpr_workgroup_info 0
		.amdhsa_system_vgpr_workitem_id 1
		.amdhsa_next_free_vgpr 64
		.amdhsa_next_free_sgpr 40
		.amdhsa_accum_offset 64
		.amdhsa_reserve_vcc 1
		.amdhsa_float_round_mode_32 0
		.amdhsa_float_round_mode_16_64 0
		.amdhsa_float_denorm_mode_32 3
		.amdhsa_float_denorm_mode_16_64 3
		.amdhsa_dx10_clamp 1
		.amdhsa_ieee_mode 1
		.amdhsa_fp16_overflow 0
		.amdhsa_tg_split 0
		.amdhsa_exception_fp_ieee_invalid_op 0
		.amdhsa_exception_fp_denorm_src 0
		.amdhsa_exception_fp_ieee_div_zero 0
		.amdhsa_exception_fp_ieee_overflow 0
		.amdhsa_exception_fp_ieee_underflow 0
		.amdhsa_exception_fp_ieee_inexact 0
		.amdhsa_exception_int_div_zero 0
	.end_amdhsa_kernel
	.section	.text._ZL29rocblas_internal_gemmt_kernelIlLi16ELi32ELi8ELc67ELc78ELc85ELb1ELb0E19rocblas_complex_numIdES1_PKS1_PS1_EviT_T9_T10_S5_lS7_S5_lS6_T11_S5_li,"axG",@progbits,_ZL29rocblas_internal_gemmt_kernelIlLi16ELi32ELi8ELc67ELc78ELc85ELb1ELb0E19rocblas_complex_numIdES1_PKS1_PS1_EviT_T9_T10_S5_lS7_S5_lS6_T11_S5_li,comdat
.Lfunc_end276:
	.size	_ZL29rocblas_internal_gemmt_kernelIlLi16ELi32ELi8ELc67ELc78ELc85ELb1ELb0E19rocblas_complex_numIdES1_PKS1_PS1_EviT_T9_T10_S5_lS7_S5_lS6_T11_S5_li, .Lfunc_end276-_ZL29rocblas_internal_gemmt_kernelIlLi16ELi32ELi8ELc67ELc78ELc85ELb1ELb0E19rocblas_complex_numIdES1_PKS1_PS1_EviT_T9_T10_S5_lS7_S5_lS6_T11_S5_li
                                        ; -- End function
	.set _ZL29rocblas_internal_gemmt_kernelIlLi16ELi32ELi8ELc67ELc78ELc85ELb1ELb0E19rocblas_complex_numIdES1_PKS1_PS1_EviT_T9_T10_S5_lS7_S5_lS6_T11_S5_li.num_vgpr, 64
	.set _ZL29rocblas_internal_gemmt_kernelIlLi16ELi32ELi8ELc67ELc78ELc85ELb1ELb0E19rocblas_complex_numIdES1_PKS1_PS1_EviT_T9_T10_S5_lS7_S5_lS6_T11_S5_li.num_agpr, 0
	.set _ZL29rocblas_internal_gemmt_kernelIlLi16ELi32ELi8ELc67ELc78ELc85ELb1ELb0E19rocblas_complex_numIdES1_PKS1_PS1_EviT_T9_T10_S5_lS7_S5_lS6_T11_S5_li.numbered_sgpr, 40
	.set _ZL29rocblas_internal_gemmt_kernelIlLi16ELi32ELi8ELc67ELc78ELc85ELb1ELb0E19rocblas_complex_numIdES1_PKS1_PS1_EviT_T9_T10_S5_lS7_S5_lS6_T11_S5_li.num_named_barrier, 0
	.set _ZL29rocblas_internal_gemmt_kernelIlLi16ELi32ELi8ELc67ELc78ELc85ELb1ELb0E19rocblas_complex_numIdES1_PKS1_PS1_EviT_T9_T10_S5_lS7_S5_lS6_T11_S5_li.private_seg_size, 0
	.set _ZL29rocblas_internal_gemmt_kernelIlLi16ELi32ELi8ELc67ELc78ELc85ELb1ELb0E19rocblas_complex_numIdES1_PKS1_PS1_EviT_T9_T10_S5_lS7_S5_lS6_T11_S5_li.uses_vcc, 1
	.set _ZL29rocblas_internal_gemmt_kernelIlLi16ELi32ELi8ELc67ELc78ELc85ELb1ELb0E19rocblas_complex_numIdES1_PKS1_PS1_EviT_T9_T10_S5_lS7_S5_lS6_T11_S5_li.uses_flat_scratch, 0
	.set _ZL29rocblas_internal_gemmt_kernelIlLi16ELi32ELi8ELc67ELc78ELc85ELb1ELb0E19rocblas_complex_numIdES1_PKS1_PS1_EviT_T9_T10_S5_lS7_S5_lS6_T11_S5_li.has_dyn_sized_stack, 0
	.set _ZL29rocblas_internal_gemmt_kernelIlLi16ELi32ELi8ELc67ELc78ELc85ELb1ELb0E19rocblas_complex_numIdES1_PKS1_PS1_EviT_T9_T10_S5_lS7_S5_lS6_T11_S5_li.has_recursion, 0
	.set _ZL29rocblas_internal_gemmt_kernelIlLi16ELi32ELi8ELc67ELc78ELc85ELb1ELb0E19rocblas_complex_numIdES1_PKS1_PS1_EviT_T9_T10_S5_lS7_S5_lS6_T11_S5_li.has_indirect_call, 0
	.section	.AMDGPU.csdata,"",@progbits
; Kernel info:
; codeLenInByte = 3148
; TotalNumSgprs: 46
; NumVgprs: 64
; NumAgprs: 0
; TotalNumVgprs: 64
; ScratchSize: 0
; MemoryBound: 1
; FloatMode: 240
; IeeeMode: 1
; LDSByteSize: 8192 bytes/workgroup (compile time only)
; SGPRBlocks: 5
; VGPRBlocks: 7
; NumSGPRsForWavesPerEU: 46
; NumVGPRsForWavesPerEU: 64
; AccumOffset: 64
; Occupancy: 8
; WaveLimiterHint : 0
; COMPUTE_PGM_RSRC2:SCRATCH_EN: 0
; COMPUTE_PGM_RSRC2:USER_SGPR: 2
; COMPUTE_PGM_RSRC2:TRAP_HANDLER: 0
; COMPUTE_PGM_RSRC2:TGID_X_EN: 1
; COMPUTE_PGM_RSRC2:TGID_Y_EN: 1
; COMPUTE_PGM_RSRC2:TGID_Z_EN: 1
; COMPUTE_PGM_RSRC2:TIDIG_COMP_CNT: 1
; COMPUTE_PGM_RSRC3_GFX90A:ACCUM_OFFSET: 15
; COMPUTE_PGM_RSRC3_GFX90A:TG_SPLIT: 0
	.section	.text._ZL29rocblas_internal_gemmt_kernelIlLi16ELi32ELi8ELc67ELc84ELc85ELb1ELb0E19rocblas_complex_numIdES1_PKS1_PS1_EviT_T9_T10_S5_lS7_S5_lS6_T11_S5_li,"axG",@progbits,_ZL29rocblas_internal_gemmt_kernelIlLi16ELi32ELi8ELc67ELc84ELc85ELb1ELb0E19rocblas_complex_numIdES1_PKS1_PS1_EviT_T9_T10_S5_lS7_S5_lS6_T11_S5_li,comdat
	.globl	_ZL29rocblas_internal_gemmt_kernelIlLi16ELi32ELi8ELc67ELc84ELc85ELb1ELb0E19rocblas_complex_numIdES1_PKS1_PS1_EviT_T9_T10_S5_lS7_S5_lS6_T11_S5_li ; -- Begin function _ZL29rocblas_internal_gemmt_kernelIlLi16ELi32ELi8ELc67ELc84ELc85ELb1ELb0E19rocblas_complex_numIdES1_PKS1_PS1_EviT_T9_T10_S5_lS7_S5_lS6_T11_S5_li
	.p2align	8
	.type	_ZL29rocblas_internal_gemmt_kernelIlLi16ELi32ELi8ELc67ELc84ELc85ELb1ELb0E19rocblas_complex_numIdES1_PKS1_PS1_EviT_T9_T10_S5_lS7_S5_lS6_T11_S5_li,@function
_ZL29rocblas_internal_gemmt_kernelIlLi16ELi32ELi8ELc67ELc84ELc85ELb1ELb0E19rocblas_complex_numIdES1_PKS1_PS1_EviT_T9_T10_S5_lS7_S5_lS6_T11_S5_li: ; @_ZL29rocblas_internal_gemmt_kernelIlLi16ELi32ELi8ELc67ELc84ELc85ELb1ELb0E19rocblas_complex_numIdES1_PKS1_PS1_EviT_T9_T10_S5_lS7_S5_lS6_T11_S5_li
; %bb.0:
	s_load_dwordx8 s[24:31], s[0:1], 0x48
	s_load_dwordx16 s[8:23], s[0:1], 0x8
	s_mov_b64 s[34:35], 0
	s_waitcnt lgkmcnt(0)
	v_cmp_eq_f64_e64 s[36:37], s[26:27], 1.0
	v_cmp_eq_f64_e64 s[6:7], s[28:29], 0
	s_and_b64 s[36:37], s[36:37], s[6:7]
	s_andn2_b64 vcc, exec, s[36:37]
	s_mov_b64 s[36:37], -1
	s_cbranch_vccnz .LBB277_4
; %bb.1:
	s_cmp_lg_u64 s[8:9], 0
	s_cbranch_scc0 .LBB277_3
; %bb.2:
	v_cmp_neq_f64_e64 s[34:35], s[10:11], 0
	v_cmp_neq_f64_e64 s[36:37], s[12:13], 0
	s_or_b64 s[34:35], s[34:35], s[36:37]
.LBB277_3:
	s_mov_b64 s[36:37], s[34:35]
.LBB277_4:
	s_and_b64 vcc, exec, s[36:37]
	s_cbranch_vccz .LBB277_32
; %bb.5:
	s_load_dwordx4 s[36:39], s[0:1], 0x68
	s_load_dword s33, s[0:1], 0x0
	s_lshl_b32 s34, s2, 5
	s_lshl_b32 s35, s3, 5
	v_cmp_eq_f64_e64 s[0:1], s[10:11], 0
	v_cmp_eq_f64_e64 s[2:3], s[12:13], 0
	s_and_b64 s[0:1], s[0:1], s[2:3]
	v_cmp_lt_i64_e64 s[2:3], s[8:9], 1
	s_or_b64 s[0:1], s[0:1], s[2:3]
	v_and_b32_e32 v5, 0x3ff, v0
	v_bfe_u32 v7, v0, 10, 10
	v_mov_b64_e32 v[26:27], 0
	s_and_b64 vcc, exec, s[0:1]
	v_mov_b64_e32 v[28:29], 0
	v_mov_b64_e32 v[22:23], 0
	;; [unrolled: 1-line block ×7, first 2 shown]
	s_cbranch_vccnz .LBB277_16
; %bb.6:
	s_mul_i32 s0, s25, s4
	s_mul_hi_u32 s1, s24, s4
	s_add_i32 s1, s1, s0
	s_mul_i32 s0, s24, s4
	s_lshl_b64 s[0:1], s[0:1], 4
	s_add_u32 s2, s20, s0
	s_addc_u32 s3, s21, s1
	s_mul_i32 s0, s19, s4
	s_mul_hi_u32 s1, s18, s4
	s_add_i32 s1, s1, s0
	s_mul_i32 s0, s18, s4
	v_lshl_add_u32 v1, v7, 4, v5
	s_lshl_b64 s[0:1], s[0:1], 4
	v_lshrrev_b32_e32 v6, 5, v1
	v_lshrrev_b32_e32 v10, 3, v1
	v_and_b32_e32 v1, 31, v1
	s_add_u32 s14, s14, s0
	v_or_b32_e32 v2, s34, v1
	s_addc_u32 s15, s15, s1
	v_lshlrev_b32_e32 v1, 4, v1
	s_ashr_i32 s5, s34, 31
	v_and_b32_e32 v4, 7, v5
	s_waitcnt lgkmcnt(0)
	v_cmp_gt_i32_e64 s[0:1], s33, v2
	v_lshl_or_b32 v30, v6, 9, v1
	v_mul_lo_u32 v1, s17, v2
	v_mad_u64_u32 v[2:3], s[18:19], s16, v2, 0
	s_mul_i32 s5, s16, s5
	v_add3_u32 v3, v3, s5, v1
	v_lshlrev_b32_e32 v1, 4, v4
	v_add_u32_e32 v0, s35, v10
	v_lshl_or_b32 v1, v10, 7, v1
	v_add_u32_e32 v31, 0x1000, v1
	v_ashrrev_i32_e32 v1, 31, v0
	v_cmp_gt_i32_e32 vcc, s33, v0
	v_lshl_add_u64 v[10:11], v[0:1], 4, s[2:3]
	v_mov_b32_e32 v0, 0x1000
	v_mov_b32_e32 v13, 0
	v_lshl_add_u64 v[8:9], v[2:3], 4, s[14:15]
	v_lshlrev_b32_e32 v32, 4, v5
	v_lshl_add_u32 v33, v7, 7, v0
	v_mov_b64_e32 v[14:15], 0
	s_mov_b64 s[2:3], 0
	s_xor_b64 s[14:15], vcc, -1
	v_mov_b32_e32 v34, v13
	v_mov_b32_e32 v35, v13
	;; [unrolled: 1-line block ×4, first 2 shown]
	v_mov_b64_e32 v[16:17], 0
	v_mov_b64_e32 v[20:21], 0
	;; [unrolled: 1-line block ×7, first 2 shown]
	s_branch .LBB277_8
.LBB277_7:                              ;   in Loop: Header=BB277_8 Depth=1
	s_or_b64 exec, exec, s[16:17]
	s_waitcnt lgkmcnt(0)
	s_barrier
	ds_read_b128 v[0:3], v32
	ds_read_b128 v[38:41], v33
	ds_read_b128 v[42:45], v33 offset:16
	ds_read_b128 v[46:49], v33 offset:32
	;; [unrolled: 1-line block ×4, first 2 shown]
	s_waitcnt lgkmcnt(4)
	v_mul_f64 v[58:59], v[40:41], v[2:3]
	v_fma_f64 v[58:59], v[38:39], v[0:1], -v[58:59]
	v_mul_f64 v[60:61], v[38:39], v[2:3]
	v_fmac_f64_e32 v[60:61], v[40:41], v[0:1]
	v_add_f64 v[58:59], v[26:27], v[58:59]
	s_waitcnt lgkmcnt(0)
	v_mul_f64 v[26:27], v[40:41], v[56:57]
	v_add_f64 v[60:61], v[60:61], v[28:29]
	v_fma_f64 v[62:63], v[38:39], v[54:55], -v[26:27]
	ds_read_b128 v[26:29], v33 offset:2048
	v_mul_f64 v[38:39], v[38:39], v[56:57]
	v_fmac_f64_e32 v[38:39], v[40:41], v[54:55]
	v_add_f64 v[40:41], v[22:23], v[62:63]
	v_add_f64 v[38:39], v[38:39], v[24:25]
	ds_read_b128 v[22:25], v33 offset:2064
	s_waitcnt lgkmcnt(1)
	v_mul_f64 v[62:63], v[28:29], v[2:3]
	v_mul_f64 v[2:3], v[26:27], v[2:3]
	v_fma_f64 v[62:63], v[26:27], v[0:1], -v[62:63]
	v_fmac_f64_e32 v[2:3], v[28:29], v[0:1]
	v_mul_f64 v[0:1], v[28:29], v[56:57]
	v_add_f64 v[18:19], v[18:19], v[62:63]
	v_add_f64 v[20:21], v[2:3], v[20:21]
	v_fma_f64 v[62:63], v[26:27], v[54:55], -v[0:1]
	v_mul_f64 v[26:27], v[26:27], v[56:57]
	ds_read_b128 v[0:3], v32 offset:512
	v_fmac_f64_e32 v[26:27], v[28:29], v[54:55]
	v_add_f64 v[28:29], v[16:17], v[62:63]
	v_add_f64 v[26:27], v[26:27], v[14:15]
	ds_read_b128 v[14:17], v32 offset:768
	s_waitcnt lgkmcnt(1)
	v_mul_f64 v[54:55], v[44:45], v[2:3]
	v_fma_f64 v[54:55], v[42:43], v[0:1], -v[54:55]
	v_add_f64 v[54:55], v[58:59], v[54:55]
	v_mul_f64 v[56:57], v[42:43], v[2:3]
	s_waitcnt lgkmcnt(0)
	v_mul_f64 v[58:59], v[44:45], v[16:17]
	v_fma_f64 v[58:59], v[42:43], v[14:15], -v[58:59]
	v_mul_f64 v[42:43], v[42:43], v[16:17]
	v_fmac_f64_e32 v[42:43], v[44:45], v[14:15]
	v_add_f64 v[38:39], v[42:43], v[38:39]
	v_mul_f64 v[42:43], v[24:25], v[2:3]
	v_mul_f64 v[2:3], v[22:23], v[2:3]
	v_fmac_f64_e32 v[56:57], v[44:45], v[0:1]
	v_fma_f64 v[42:43], v[22:23], v[0:1], -v[42:43]
	v_fmac_f64_e32 v[2:3], v[24:25], v[0:1]
	v_mul_f64 v[0:1], v[24:25], v[16:17]
	v_add_f64 v[42:43], v[18:19], v[42:43]
	v_add_f64 v[44:45], v[2:3], v[20:21]
	v_fma_f64 v[18:19], v[22:23], v[14:15], -v[0:1]
	v_mul_f64 v[16:17], v[22:23], v[16:17]
	ds_read_b128 v[0:3], v32 offset:1024
	v_fmac_f64_e32 v[16:17], v[24:25], v[14:15]
	v_add_f64 v[26:27], v[16:17], v[26:27]
	ds_read_b128 v[14:17], v32 offset:1280
	v_add_f64 v[28:29], v[28:29], v[18:19]
	s_waitcnt lgkmcnt(1)
	v_mul_f64 v[18:19], v[48:49], v[2:3]
	v_fma_f64 v[18:19], v[46:47], v[0:1], -v[18:19]
	v_mul_f64 v[20:21], v[46:47], v[2:3]
	v_add_f64 v[56:57], v[56:57], v[60:61]
	v_fmac_f64_e32 v[20:21], v[48:49], v[0:1]
	v_add_f64 v[54:55], v[54:55], v[18:19]
	s_waitcnt lgkmcnt(0)
	v_mul_f64 v[18:19], v[48:49], v[16:17]
	v_add_f64 v[56:57], v[20:21], v[56:57]
	v_fma_f64 v[22:23], v[46:47], v[14:15], -v[18:19]
	ds_read_b128 v[18:21], v33 offset:2080
	v_mul_f64 v[24:25], v[46:47], v[16:17]
	v_add_f64 v[40:41], v[40:41], v[58:59]
	v_fmac_f64_e32 v[24:25], v[48:49], v[14:15]
	v_add_f64 v[40:41], v[40:41], v[22:23]
	v_add_f64 v[38:39], v[24:25], v[38:39]
	ds_read_b128 v[22:25], v33 offset:2096
	s_waitcnt lgkmcnt(1)
	v_mul_f64 v[46:47], v[20:21], v[2:3]
	v_mul_f64 v[2:3], v[18:19], v[2:3]
	v_fma_f64 v[46:47], v[18:19], v[0:1], -v[46:47]
	v_fmac_f64_e32 v[2:3], v[20:21], v[0:1]
	v_mul_f64 v[0:1], v[20:21], v[16:17]
	v_mul_f64 v[16:17], v[18:19], v[16:17]
	v_fmac_f64_e32 v[16:17], v[20:21], v[14:15]
	v_add_f64 v[42:43], v[42:43], v[46:47]
	v_add_f64 v[44:45], v[2:3], v[44:45]
	v_fma_f64 v[46:47], v[18:19], v[14:15], -v[0:1]
	ds_read_b128 v[0:3], v32 offset:1536
	v_add_f64 v[20:21], v[16:17], v[26:27]
	ds_read_b128 v[14:17], v32 offset:1792
	v_add_f64 v[18:19], v[28:29], v[46:47]
	s_add_u32 s2, s2, 8
	s_waitcnt lgkmcnt(1)
	v_mul_f64 v[26:27], v[52:53], v[2:3]
	v_mul_f64 v[28:29], v[50:51], v[2:3]
	s_waitcnt lgkmcnt(0)
	v_mul_f64 v[46:47], v[52:53], v[16:17]
	v_fma_f64 v[46:47], v[50:51], v[14:15], -v[46:47]
	v_add_f64 v[40:41], v[40:41], v[46:47]
	v_mul_f64 v[46:47], v[24:25], v[2:3]
	v_mul_f64 v[2:3], v[22:23], v[2:3]
	v_fma_f64 v[26:27], v[50:51], v[0:1], -v[26:27]
	v_fmac_f64_e32 v[28:29], v[52:53], v[0:1]
	v_fma_f64 v[46:47], v[22:23], v[0:1], -v[46:47]
	v_fmac_f64_e32 v[2:3], v[24:25], v[0:1]
	v_mul_f64 v[0:1], v[24:25], v[16:17]
	v_mul_f64 v[48:49], v[50:51], v[16:17]
	v_add_f64 v[42:43], v[42:43], v[46:47]
	v_fma_f64 v[46:47], v[22:23], v[14:15], -v[0:1]
	v_mul_f64 v[22:23], v[22:23], v[16:17]
	v_fmac_f64_e32 v[48:49], v[52:53], v[14:15]
	v_add_f64 v[44:45], v[2:3], v[44:45]
	v_fmac_f64_e32 v[22:23], v[24:25], v[14:15]
	ds_read_b128 v[0:3], v33 offset:64
	ds_read_b128 v[14:17], v32 offset:2048
	v_add_f64 v[38:39], v[48:49], v[38:39]
	v_add_f64 v[46:47], v[18:19], v[46:47]
	v_add_f64 v[48:49], v[22:23], v[20:21]
	ds_read_b128 v[18:21], v32 offset:2304
	ds_read_b128 v[22:25], v33 offset:80
	s_waitcnt lgkmcnt(2)
	v_mul_f64 v[50:51], v[2:3], v[16:17]
	v_add_f64 v[26:27], v[54:55], v[26:27]
	v_fma_f64 v[50:51], v[0:1], v[14:15], -v[50:51]
	v_mul_f64 v[52:53], v[0:1], v[16:17]
	v_add_f64 v[28:29], v[28:29], v[56:57]
	v_fmac_f64_e32 v[52:53], v[2:3], v[14:15]
	v_add_f64 v[50:51], v[26:27], v[50:51]
	s_waitcnt lgkmcnt(1)
	v_mul_f64 v[26:27], v[2:3], v[20:21]
	v_add_f64 v[52:53], v[52:53], v[28:29]
	v_fma_f64 v[54:55], v[0:1], v[18:19], -v[26:27]
	ds_read_b128 v[26:29], v33 offset:2112
	v_mul_f64 v[0:1], v[0:1], v[20:21]
	v_fmac_f64_e32 v[0:1], v[2:3], v[18:19]
	v_add_f64 v[40:41], v[40:41], v[54:55]
	v_add_f64 v[38:39], v[0:1], v[38:39]
	ds_read_b128 v[0:3], v33 offset:2128
	s_waitcnt lgkmcnt(1)
	v_mul_f64 v[54:55], v[28:29], v[16:17]
	v_mul_f64 v[16:17], v[26:27], v[16:17]
	v_fma_f64 v[54:55], v[26:27], v[14:15], -v[54:55]
	v_fmac_f64_e32 v[16:17], v[28:29], v[14:15]
	v_mul_f64 v[14:15], v[28:29], v[20:21]
	v_add_f64 v[42:43], v[42:43], v[54:55]
	v_add_f64 v[44:45], v[16:17], v[44:45]
	v_fma_f64 v[54:55], v[26:27], v[18:19], -v[14:15]
	v_mul_f64 v[20:21], v[26:27], v[20:21]
	ds_read_b128 v[14:17], v32 offset:2560
	v_fmac_f64_e32 v[20:21], v[28:29], v[18:19]
	v_add_f64 v[28:29], v[20:21], v[48:49]
	ds_read_b128 v[18:21], v32 offset:2816
	v_add_f64 v[26:27], v[46:47], v[54:55]
	s_waitcnt lgkmcnt(1)
	v_mul_f64 v[46:47], v[24:25], v[16:17]
	v_fma_f64 v[46:47], v[22:23], v[14:15], -v[46:47]
	v_add_f64 v[46:47], v[50:51], v[46:47]
	s_waitcnt lgkmcnt(0)
	v_mul_f64 v[50:51], v[24:25], v[20:21]
	v_mul_f64 v[48:49], v[22:23], v[16:17]
	v_fma_f64 v[50:51], v[22:23], v[18:19], -v[50:51]
	v_mul_f64 v[22:23], v[22:23], v[20:21]
	v_fmac_f64_e32 v[22:23], v[24:25], v[18:19]
	v_add_f64 v[38:39], v[22:23], v[38:39]
	v_mul_f64 v[22:23], v[2:3], v[16:17]
	v_mul_f64 v[16:17], v[0:1], v[16:17]
	v_fmac_f64_e32 v[48:49], v[24:25], v[14:15]
	v_fma_f64 v[22:23], v[0:1], v[14:15], -v[22:23]
	v_fmac_f64_e32 v[16:17], v[2:3], v[14:15]
	v_mul_f64 v[14:15], v[2:3], v[20:21]
	v_mul_f64 v[20:21], v[0:1], v[20:21]
	v_add_f64 v[42:43], v[42:43], v[22:23]
	v_add_f64 v[44:45], v[16:17], v[44:45]
	v_fma_f64 v[22:23], v[0:1], v[18:19], -v[14:15]
	v_fmac_f64_e32 v[20:21], v[2:3], v[18:19]
	ds_read_b128 v[0:3], v33 offset:96
	ds_read_b128 v[14:17], v32 offset:3072
	v_add_f64 v[48:49], v[48:49], v[52:53]
	v_add_f64 v[40:41], v[40:41], v[50:51]
	;; [unrolled: 1-line block ×4, first 2 shown]
	ds_read_b128 v[18:21], v32 offset:3328
	ds_read_b128 v[22:25], v33 offset:112
	s_waitcnt lgkmcnt(2)
	v_mul_f64 v[26:27], v[2:3], v[16:17]
	v_fma_f64 v[26:27], v[0:1], v[14:15], -v[26:27]
	v_mul_f64 v[28:29], v[0:1], v[16:17]
	v_fmac_f64_e32 v[28:29], v[2:3], v[14:15]
	v_add_f64 v[46:47], v[46:47], v[26:27]
	s_waitcnt lgkmcnt(1)
	v_mul_f64 v[26:27], v[2:3], v[20:21]
	v_add_f64 v[48:49], v[28:29], v[48:49]
	v_fma_f64 v[54:55], v[0:1], v[18:19], -v[26:27]
	ds_read_b128 v[26:29], v33 offset:2144
	v_mul_f64 v[0:1], v[0:1], v[20:21]
	v_fmac_f64_e32 v[0:1], v[2:3], v[18:19]
	v_add_f64 v[56:57], v[0:1], v[38:39]
	ds_read_b128 v[0:3], v33 offset:2160
	s_waitcnt lgkmcnt(1)
	v_mul_f64 v[38:39], v[28:29], v[16:17]
	v_mul_f64 v[16:17], v[26:27], v[16:17]
	v_fma_f64 v[38:39], v[26:27], v[14:15], -v[38:39]
	v_fmac_f64_e32 v[16:17], v[28:29], v[14:15]
	v_mul_f64 v[14:15], v[28:29], v[20:21]
	v_add_f64 v[42:43], v[42:43], v[38:39]
	v_add_f64 v[44:45], v[16:17], v[44:45]
	v_fma_f64 v[38:39], v[26:27], v[18:19], -v[14:15]
	ds_read_b128 v[14:17], v32 offset:3584
	v_add_f64 v[54:55], v[40:41], v[54:55]
	v_add_f64 v[50:51], v[50:51], v[38:39]
	ds_read_b128 v[38:41], v32 offset:3840
	v_mul_f64 v[20:21], v[26:27], v[20:21]
	v_fmac_f64_e32 v[20:21], v[28:29], v[18:19]
	s_waitcnt lgkmcnt(1)
	v_mul_f64 v[18:19], v[24:25], v[16:17]
	v_fma_f64 v[18:19], v[22:23], v[14:15], -v[18:19]
	v_add_f64 v[52:53], v[20:21], v[52:53]
	v_mul_f64 v[20:21], v[22:23], v[16:17]
	v_add_f64 v[26:27], v[46:47], v[18:19]
	s_waitcnt lgkmcnt(0)
	v_mul_f64 v[18:19], v[24:25], v[40:41]
	v_fmac_f64_e32 v[20:21], v[24:25], v[14:15]
	v_fma_f64 v[18:19], v[22:23], v[38:39], -v[18:19]
	v_add_f64 v[28:29], v[20:21], v[48:49]
	v_mul_f64 v[20:21], v[22:23], v[40:41]
	v_add_f64 v[22:23], v[54:55], v[18:19]
	v_mul_f64 v[18:19], v[2:3], v[16:17]
	v_mul_f64 v[16:17], v[0:1], v[16:17]
	v_fma_f64 v[18:19], v[0:1], v[14:15], -v[18:19]
	v_fmac_f64_e32 v[16:17], v[2:3], v[14:15]
	v_mul_f64 v[14:15], v[2:3], v[40:41]
	v_fma_f64 v[14:15], v[0:1], v[38:39], -v[14:15]
	v_mul_f64 v[0:1], v[0:1], v[40:41]
	v_fmac_f64_e32 v[20:21], v[24:25], v[38:39]
	v_fmac_f64_e32 v[0:1], v[2:3], v[38:39]
	s_addc_u32 s3, s3, 0
	v_add_f64 v[24:25], v[20:21], v[56:57]
	v_add_f64 v[20:21], v[16:17], v[44:45]
	;; [unrolled: 1-line block ×4, first 2 shown]
	v_mov_b64_e32 v[0:1], s[2:3]
	v_cmp_gt_i64_e32 vcc, s[8:9], v[0:1]
	v_add_f64 v[18:19], v[42:43], v[18:19]
	s_barrier
	s_cbranch_vccz .LBB277_16
.LBB277_8:                              ; =>This Inner Loop Header: Depth=1
	v_mov_b64_e32 v[0:1], 0
	v_mov_b64_e32 v[2:3], 0
	s_and_saveexec_b64 s[16:17], s[0:1]
	s_cbranch_execz .LBB277_12
; %bb.9:                                ;   in Loop: Header=BB277_8 Depth=1
	v_add_u32_e32 v12, s2, v6
	v_cmp_gt_u64_e32 vcc, s[8:9], v[12:13]
	v_mov_b64_e32 v[2:3], 0
	v_mov_b64_e32 v[0:1], 0
	s_and_saveexec_b64 s[18:19], vcc
	s_cbranch_execz .LBB277_11
; %bb.10:                               ;   in Loop: Header=BB277_8 Depth=1
	v_lshl_add_u64 v[0:1], v[12:13], 4, v[8:9]
	global_load_dwordx4 v[0:3], v[0:1], off
	s_waitcnt vmcnt(0)
	v_xor_b32_e32 v3, 0x80000000, v3
.LBB277_11:                             ;   in Loop: Header=BB277_8 Depth=1
	s_or_b64 exec, exec, s[18:19]
.LBB277_12:                             ;   in Loop: Header=BB277_8 Depth=1
	s_or_b64 exec, exec, s[16:17]
	v_add_u32_e32 v12, s2, v4
	v_cmp_le_u64_e32 vcc, s[8:9], v[12:13]
	s_or_b64 s[16:17], vcc, s[14:15]
	ds_write_b128 v30, v[0:3]
	s_and_saveexec_b64 s[18:19], s[16:17]
	s_xor_b64 s[16:17], exec, s[18:19]
; %bb.13:                               ;   in Loop: Header=BB277_8 Depth=1
	ds_write_b128 v31, v[34:37]
; %bb.14:                               ;   in Loop: Header=BB277_8 Depth=1
	s_andn2_saveexec_b64 s[16:17], s[16:17]
	s_cbranch_execz .LBB277_7
; %bb.15:                               ;   in Loop: Header=BB277_8 Depth=1
	v_mad_u64_u32 v[0:1], s[18:19], s22, v12, 0
	v_mov_b32_e32 v2, v1
	v_mad_u64_u32 v[2:3], s[18:19], s23, v12, v[2:3]
	v_mov_b32_e32 v1, v2
	v_lshl_add_u64 v[0:1], v[0:1], 4, v[10:11]
	global_load_dwordx4 v[0:3], v[0:1], off
	s_waitcnt vmcnt(0)
	ds_write2_b64 v31, v[0:1], v[2:3] offset1:1
	s_branch .LBB277_7
.LBB277_16:
	s_waitcnt lgkmcnt(0)
	s_mul_i32 s0, s39, s4
	s_mul_hi_u32 s1, s38, s4
	s_add_i32 s1, s1, s0
	s_mul_i32 s0, s38, s4
	s_lshl_b64 s[0:1], s[0:1], 4
	v_add_u32_e32 v10, s35, v7
	s_add_u32 s4, s30, s0
	v_ashrrev_i32_e32 v0, 31, v10
	s_addc_u32 s5, s31, s1
	v_cmp_neq_f64_e64 s[0:1], s[26:27], 0
	s_xor_b64 s[6:7], s[6:7], -1
	v_mul_lo_u32 v2, s36, v0
	v_mul_lo_u32 v3, s37, v10
	v_mad_u64_u32 v[0:1], s[8:9], s36, v10, 0
	v_add_u32_e32 v4, s34, v5
	v_add3_u32 v1, v1, v2, v3
	s_or_b64 s[0:1], s[0:1], s[6:7]
	v_cmp_gt_i32_e64 s[2:3], s33, v10
	v_lshl_add_u64 v[8:9], v[0:1], 4, s[4:5]
	v_cmp_le_i32_e32 vcc, v4, v10
	v_cndmask_b32_e64 v0, 0, 1, s[0:1]
	s_and_b64 s[8:9], s[2:3], vcc
	v_ashrrev_i32_e32 v5, 31, v4
	v_cmp_ne_u32_e64 s[0:1], 1, v0
	s_and_saveexec_b64 s[6:7], s[8:9]
	s_cbranch_execz .LBB277_20
; %bb.17:
	v_mul_f64 v[0:1], s[12:13], v[28:29]
	v_mul_f64 v[2:3], s[10:11], v[28:29]
	v_fma_f64 v[0:1], s[10:11], v[26:27], -v[0:1]
	v_fmac_f64_e32 v[2:3], s[12:13], v[26:27]
	s_and_b64 vcc, exec, s[0:1]
	v_lshl_add_u64 v[6:7], v[4:5], 4, v[8:9]
	s_cbranch_vccnz .LBB277_19
; %bb.18:
	global_load_dwordx4 v[26:29], v[6:7], off
	s_waitcnt vmcnt(0)
	v_mul_f64 v[12:13], s[28:29], v[28:29]
	v_mul_f64 v[28:29], s[26:27], v[28:29]
	v_fma_f64 v[12:13], s[26:27], v[26:27], -v[12:13]
	v_fmac_f64_e32 v[28:29], s[28:29], v[26:27]
	v_add_f64 v[0:1], v[0:1], v[12:13]
	v_add_f64 v[2:3], v[2:3], v[28:29]
.LBB277_19:
	global_store_dwordx4 v[6:7], v[0:3], off
.LBB277_20:
	s_or_b64 exec, exec, s[6:7]
	v_add_u32_e32 v6, 16, v4
	v_cmp_le_i32_e32 vcc, v6, v10
	s_and_b64 s[6:7], s[2:3], vcc
	v_ashrrev_i32_e32 v7, 31, v6
	s_and_saveexec_b64 s[2:3], s[6:7]
	s_cbranch_execz .LBB277_24
; %bb.21:
	v_mul_f64 v[0:1], s[12:13], v[24:25]
	v_mul_f64 v[2:3], s[10:11], v[24:25]
	v_fma_f64 v[0:1], s[10:11], v[22:23], -v[0:1]
	v_fmac_f64_e32 v[2:3], s[12:13], v[22:23]
	s_and_b64 vcc, exec, s[0:1]
	v_lshl_add_u64 v[8:9], v[6:7], 4, v[8:9]
	s_cbranch_vccnz .LBB277_23
; %bb.22:
	global_load_dwordx4 v[22:25], v[8:9], off
	s_waitcnt vmcnt(0)
	v_mul_f64 v[12:13], s[28:29], v[24:25]
	v_mul_f64 v[24:25], s[26:27], v[24:25]
	v_fma_f64 v[12:13], s[26:27], v[22:23], -v[12:13]
	v_fmac_f64_e32 v[24:25], s[28:29], v[22:23]
	v_add_f64 v[0:1], v[0:1], v[12:13]
	v_add_f64 v[2:3], v[2:3], v[24:25]
.LBB277_23:
	global_store_dwordx4 v[8:9], v[0:3], off
.LBB277_24:
	s_or_b64 exec, exec, s[2:3]
	v_add_u32_e32 v10, 16, v10
	v_ashrrev_i32_e32 v0, 31, v10
	v_mul_lo_u32 v2, s36, v0
	v_mul_lo_u32 v3, s37, v10
	v_mad_u64_u32 v[0:1], s[6:7], s36, v10, 0
	v_cmp_gt_i32_e64 s[2:3], s33, v10
	v_add3_u32 v1, v1, v2, v3
	v_cmp_le_i32_e32 vcc, v4, v10
	v_lshl_add_u64 v[8:9], v[0:1], 4, s[4:5]
	s_and_b64 s[6:7], s[2:3], vcc
	s_and_saveexec_b64 s[4:5], s[6:7]
	s_cbranch_execz .LBB277_28
; %bb.25:
	v_mul_f64 v[0:1], s[12:13], v[20:21]
	v_mul_f64 v[2:3], s[10:11], v[20:21]
	v_fma_f64 v[0:1], s[10:11], v[18:19], -v[0:1]
	v_fmac_f64_e32 v[2:3], s[12:13], v[18:19]
	s_and_b64 vcc, exec, s[0:1]
	v_lshl_add_u64 v[4:5], v[4:5], 4, v[8:9]
	s_cbranch_vccnz .LBB277_27
; %bb.26:
	global_load_dwordx4 v[18:21], v[4:5], off
	s_waitcnt vmcnt(0)
	v_mul_f64 v[12:13], s[28:29], v[20:21]
	v_mul_f64 v[20:21], s[26:27], v[20:21]
	v_fma_f64 v[12:13], s[26:27], v[18:19], -v[12:13]
	v_fmac_f64_e32 v[20:21], s[28:29], v[18:19]
	v_add_f64 v[0:1], v[0:1], v[12:13]
	v_add_f64 v[2:3], v[2:3], v[20:21]
.LBB277_27:
	global_store_dwordx4 v[4:5], v[0:3], off
.LBB277_28:
	s_or_b64 exec, exec, s[4:5]
	v_cmp_le_i32_e32 vcc, v6, v10
	s_and_b64 s[2:3], s[2:3], vcc
	s_and_saveexec_b64 s[4:5], s[2:3]
	s_cbranch_execz .LBB277_32
; %bb.29:
	v_mul_f64 v[0:1], s[12:13], v[14:15]
	v_mul_f64 v[2:3], s[10:11], v[14:15]
	v_fma_f64 v[0:1], s[10:11], v[16:17], -v[0:1]
	v_fmac_f64_e32 v[2:3], s[12:13], v[16:17]
	s_and_b64 vcc, exec, s[0:1]
	v_lshl_add_u64 v[4:5], v[6:7], 4, v[8:9]
	s_cbranch_vccnz .LBB277_31
; %bb.30:
	global_load_dwordx4 v[6:9], v[4:5], off
	s_waitcnt vmcnt(0)
	v_mul_f64 v[10:11], s[28:29], v[8:9]
	v_mul_f64 v[8:9], s[26:27], v[8:9]
	v_fma_f64 v[10:11], s[26:27], v[6:7], -v[10:11]
	v_fmac_f64_e32 v[8:9], s[28:29], v[6:7]
	v_add_f64 v[0:1], v[0:1], v[10:11]
	v_add_f64 v[2:3], v[2:3], v[8:9]
.LBB277_31:
	global_store_dwordx4 v[4:5], v[0:3], off
.LBB277_32:
	s_endpgm
	.section	.rodata,"a",@progbits
	.p2align	6, 0x0
	.amdhsa_kernel _ZL29rocblas_internal_gemmt_kernelIlLi16ELi32ELi8ELc67ELc84ELc85ELb1ELb0E19rocblas_complex_numIdES1_PKS1_PS1_EviT_T9_T10_S5_lS7_S5_lS6_T11_S5_li
		.amdhsa_group_segment_fixed_size 8192
		.amdhsa_private_segment_fixed_size 0
		.amdhsa_kernarg_size 124
		.amdhsa_user_sgpr_count 2
		.amdhsa_user_sgpr_dispatch_ptr 0
		.amdhsa_user_sgpr_queue_ptr 0
		.amdhsa_user_sgpr_kernarg_segment_ptr 1
		.amdhsa_user_sgpr_dispatch_id 0
		.amdhsa_user_sgpr_kernarg_preload_length 0
		.amdhsa_user_sgpr_kernarg_preload_offset 0
		.amdhsa_user_sgpr_private_segment_size 0
		.amdhsa_uses_dynamic_stack 0
		.amdhsa_enable_private_segment 0
		.amdhsa_system_sgpr_workgroup_id_x 1
		.amdhsa_system_sgpr_workgroup_id_y 1
		.amdhsa_system_sgpr_workgroup_id_z 1
		.amdhsa_system_sgpr_workgroup_info 0
		.amdhsa_system_vgpr_workitem_id 1
		.amdhsa_next_free_vgpr 64
		.amdhsa_next_free_sgpr 40
		.amdhsa_accum_offset 64
		.amdhsa_reserve_vcc 1
		.amdhsa_float_round_mode_32 0
		.amdhsa_float_round_mode_16_64 0
		.amdhsa_float_denorm_mode_32 3
		.amdhsa_float_denorm_mode_16_64 3
		.amdhsa_dx10_clamp 1
		.amdhsa_ieee_mode 1
		.amdhsa_fp16_overflow 0
		.amdhsa_tg_split 0
		.amdhsa_exception_fp_ieee_invalid_op 0
		.amdhsa_exception_fp_denorm_src 0
		.amdhsa_exception_fp_ieee_div_zero 0
		.amdhsa_exception_fp_ieee_overflow 0
		.amdhsa_exception_fp_ieee_underflow 0
		.amdhsa_exception_fp_ieee_inexact 0
		.amdhsa_exception_int_div_zero 0
	.end_amdhsa_kernel
	.section	.text._ZL29rocblas_internal_gemmt_kernelIlLi16ELi32ELi8ELc67ELc84ELc85ELb1ELb0E19rocblas_complex_numIdES1_PKS1_PS1_EviT_T9_T10_S5_lS7_S5_lS6_T11_S5_li,"axG",@progbits,_ZL29rocblas_internal_gemmt_kernelIlLi16ELi32ELi8ELc67ELc84ELc85ELb1ELb0E19rocblas_complex_numIdES1_PKS1_PS1_EviT_T9_T10_S5_lS7_S5_lS6_T11_S5_li,comdat
.Lfunc_end277:
	.size	_ZL29rocblas_internal_gemmt_kernelIlLi16ELi32ELi8ELc67ELc84ELc85ELb1ELb0E19rocblas_complex_numIdES1_PKS1_PS1_EviT_T9_T10_S5_lS7_S5_lS6_T11_S5_li, .Lfunc_end277-_ZL29rocblas_internal_gemmt_kernelIlLi16ELi32ELi8ELc67ELc84ELc85ELb1ELb0E19rocblas_complex_numIdES1_PKS1_PS1_EviT_T9_T10_S5_lS7_S5_lS6_T11_S5_li
                                        ; -- End function
	.set _ZL29rocblas_internal_gemmt_kernelIlLi16ELi32ELi8ELc67ELc84ELc85ELb1ELb0E19rocblas_complex_numIdES1_PKS1_PS1_EviT_T9_T10_S5_lS7_S5_lS6_T11_S5_li.num_vgpr, 64
	.set _ZL29rocblas_internal_gemmt_kernelIlLi16ELi32ELi8ELc67ELc84ELc85ELb1ELb0E19rocblas_complex_numIdES1_PKS1_PS1_EviT_T9_T10_S5_lS7_S5_lS6_T11_S5_li.num_agpr, 0
	.set _ZL29rocblas_internal_gemmt_kernelIlLi16ELi32ELi8ELc67ELc84ELc85ELb1ELb0E19rocblas_complex_numIdES1_PKS1_PS1_EviT_T9_T10_S5_lS7_S5_lS6_T11_S5_li.numbered_sgpr, 40
	.set _ZL29rocblas_internal_gemmt_kernelIlLi16ELi32ELi8ELc67ELc84ELc85ELb1ELb0E19rocblas_complex_numIdES1_PKS1_PS1_EviT_T9_T10_S5_lS7_S5_lS6_T11_S5_li.num_named_barrier, 0
	.set _ZL29rocblas_internal_gemmt_kernelIlLi16ELi32ELi8ELc67ELc84ELc85ELb1ELb0E19rocblas_complex_numIdES1_PKS1_PS1_EviT_T9_T10_S5_lS7_S5_lS6_T11_S5_li.private_seg_size, 0
	.set _ZL29rocblas_internal_gemmt_kernelIlLi16ELi32ELi8ELc67ELc84ELc85ELb1ELb0E19rocblas_complex_numIdES1_PKS1_PS1_EviT_T9_T10_S5_lS7_S5_lS6_T11_S5_li.uses_vcc, 1
	.set _ZL29rocblas_internal_gemmt_kernelIlLi16ELi32ELi8ELc67ELc84ELc85ELb1ELb0E19rocblas_complex_numIdES1_PKS1_PS1_EviT_T9_T10_S5_lS7_S5_lS6_T11_S5_li.uses_flat_scratch, 0
	.set _ZL29rocblas_internal_gemmt_kernelIlLi16ELi32ELi8ELc67ELc84ELc85ELb1ELb0E19rocblas_complex_numIdES1_PKS1_PS1_EviT_T9_T10_S5_lS7_S5_lS6_T11_S5_li.has_dyn_sized_stack, 0
	.set _ZL29rocblas_internal_gemmt_kernelIlLi16ELi32ELi8ELc67ELc84ELc85ELb1ELb0E19rocblas_complex_numIdES1_PKS1_PS1_EviT_T9_T10_S5_lS7_S5_lS6_T11_S5_li.has_recursion, 0
	.set _ZL29rocblas_internal_gemmt_kernelIlLi16ELi32ELi8ELc67ELc84ELc85ELb1ELb0E19rocblas_complex_numIdES1_PKS1_PS1_EviT_T9_T10_S5_lS7_S5_lS6_T11_S5_li.has_indirect_call, 0
	.section	.AMDGPU.csdata,"",@progbits
; Kernel info:
; codeLenInByte = 3140
; TotalNumSgprs: 46
; NumVgprs: 64
; NumAgprs: 0
; TotalNumVgprs: 64
; ScratchSize: 0
; MemoryBound: 1
; FloatMode: 240
; IeeeMode: 1
; LDSByteSize: 8192 bytes/workgroup (compile time only)
; SGPRBlocks: 5
; VGPRBlocks: 7
; NumSGPRsForWavesPerEU: 46
; NumVGPRsForWavesPerEU: 64
; AccumOffset: 64
; Occupancy: 8
; WaveLimiterHint : 0
; COMPUTE_PGM_RSRC2:SCRATCH_EN: 0
; COMPUTE_PGM_RSRC2:USER_SGPR: 2
; COMPUTE_PGM_RSRC2:TRAP_HANDLER: 0
; COMPUTE_PGM_RSRC2:TGID_X_EN: 1
; COMPUTE_PGM_RSRC2:TGID_Y_EN: 1
; COMPUTE_PGM_RSRC2:TGID_Z_EN: 1
; COMPUTE_PGM_RSRC2:TIDIG_COMP_CNT: 1
; COMPUTE_PGM_RSRC3_GFX90A:ACCUM_OFFSET: 15
; COMPUTE_PGM_RSRC3_GFX90A:TG_SPLIT: 0
	.section	.text._ZL29rocblas_internal_gemmt_kernelIlLi16ELi32ELi8ELc67ELc67ELc85ELb1ELb1E19rocblas_complex_numIdES1_PKS1_PS1_EviT_T9_T10_S5_lS7_S5_lS6_T11_S5_li,"axG",@progbits,_ZL29rocblas_internal_gemmt_kernelIlLi16ELi32ELi8ELc67ELc67ELc85ELb1ELb1E19rocblas_complex_numIdES1_PKS1_PS1_EviT_T9_T10_S5_lS7_S5_lS6_T11_S5_li,comdat
	.globl	_ZL29rocblas_internal_gemmt_kernelIlLi16ELi32ELi8ELc67ELc67ELc85ELb1ELb1E19rocblas_complex_numIdES1_PKS1_PS1_EviT_T9_T10_S5_lS7_S5_lS6_T11_S5_li ; -- Begin function _ZL29rocblas_internal_gemmt_kernelIlLi16ELi32ELi8ELc67ELc67ELc85ELb1ELb1E19rocblas_complex_numIdES1_PKS1_PS1_EviT_T9_T10_S5_lS7_S5_lS6_T11_S5_li
	.p2align	8
	.type	_ZL29rocblas_internal_gemmt_kernelIlLi16ELi32ELi8ELc67ELc67ELc85ELb1ELb1E19rocblas_complex_numIdES1_PKS1_PS1_EviT_T9_T10_S5_lS7_S5_lS6_T11_S5_li,@function
_ZL29rocblas_internal_gemmt_kernelIlLi16ELi32ELi8ELc67ELc67ELc85ELb1ELb1E19rocblas_complex_numIdES1_PKS1_PS1_EviT_T9_T10_S5_lS7_S5_lS6_T11_S5_li: ; @_ZL29rocblas_internal_gemmt_kernelIlLi16ELi32ELi8ELc67ELc67ELc85ELb1ELb1E19rocblas_complex_numIdES1_PKS1_PS1_EviT_T9_T10_S5_lS7_S5_lS6_T11_S5_li
; %bb.0:
	s_load_dwordx8 s[24:31], s[0:1], 0x48
	s_load_dwordx16 s[8:23], s[0:1], 0x8
	s_mov_b64 s[34:35], 0
	s_waitcnt lgkmcnt(0)
	v_cmp_eq_f64_e64 s[36:37], s[26:27], 1.0
	v_cmp_eq_f64_e64 s[6:7], s[28:29], 0
	s_and_b64 s[36:37], s[36:37], s[6:7]
	s_andn2_b64 vcc, exec, s[36:37]
	s_mov_b64 s[36:37], -1
	s_cbranch_vccnz .LBB278_4
; %bb.1:
	s_cmp_lg_u64 s[8:9], 0
	s_cbranch_scc0 .LBB278_3
; %bb.2:
	v_cmp_neq_f64_e64 s[34:35], s[10:11], 0
	v_cmp_neq_f64_e64 s[36:37], s[12:13], 0
	s_or_b64 s[34:35], s[34:35], s[36:37]
.LBB278_3:
	s_mov_b64 s[36:37], s[34:35]
.LBB278_4:
	s_and_b64 vcc, exec, s[36:37]
	s_cbranch_vccz .LBB278_30
; %bb.5:
	s_load_dwordx4 s[36:39], s[0:1], 0x68
	s_load_dword s33, s[0:1], 0x0
	s_lshl_b32 s34, s2, 5
	s_lshl_b32 s35, s3, 5
	v_cmp_eq_f64_e64 s[0:1], s[10:11], 0
	v_cmp_eq_f64_e64 s[2:3], s[12:13], 0
	s_and_b64 s[0:1], s[0:1], s[2:3]
	v_cmp_lt_i64_e64 s[2:3], s[8:9], 1
	s_or_b64 s[0:1], s[0:1], s[2:3]
	v_and_b32_e32 v5, 0x3ff, v0
	v_bfe_u32 v7, v0, 10, 10
	v_mov_b64_e32 v[26:27], 0
	s_and_b64 vcc, exec, s[0:1]
	v_mov_b64_e32 v[28:29], 0
	v_mov_b64_e32 v[22:23], 0
	;; [unrolled: 1-line block ×7, first 2 shown]
	s_cbranch_vccnz .LBB278_14
; %bb.6:
	s_mul_i32 s0, s25, s4
	s_mul_hi_u32 s1, s24, s4
	s_add_i32 s1, s1, s0
	s_mul_i32 s0, s24, s4
	s_lshl_b64 s[0:1], s[0:1], 4
	s_add_u32 s20, s20, s0
	s_addc_u32 s21, s21, s1
	s_mul_i32 s0, s19, s4
	s_mul_hi_u32 s1, s18, s4
	s_add_i32 s1, s1, s0
	s_mul_i32 s0, s18, s4
	v_lshl_add_u32 v1, v7, 4, v5
	s_lshl_b64 s[0:1], s[0:1], 4
	v_lshrrev_b32_e32 v6, 5, v1
	v_lshrrev_b32_e32 v10, 3, v1
	v_and_b32_e32 v1, 31, v1
	s_add_u32 s2, s14, s0
	v_or_b32_e32 v2, s34, v1
	s_addc_u32 s3, s15, s1
	v_lshlrev_b32_e32 v1, 4, v1
	s_ashr_i32 s5, s34, 31
	v_and_b32_e32 v4, 7, v5
	s_waitcnt lgkmcnt(0)
	v_cmp_gt_i32_e64 s[0:1], s33, v2
	v_lshl_or_b32 v30, v6, 9, v1
	v_mul_lo_u32 v1, s17, v2
	v_mad_u64_u32 v[2:3], s[14:15], s16, v2, 0
	s_mul_i32 s5, s16, s5
	v_add3_u32 v3, v3, s5, v1
	v_lshlrev_b32_e32 v1, 4, v4
	v_add_u32_e32 v0, s35, v10
	v_lshl_or_b32 v1, v10, 7, v1
	v_add_u32_e32 v31, 0x1000, v1
	v_ashrrev_i32_e32 v1, 31, v0
	v_lshl_add_u64 v[8:9], v[2:3], 4, s[2:3]
	v_cmp_gt_i32_e64 s[2:3], s33, v0
	v_lshl_add_u64 v[10:11], v[0:1], 4, s[20:21]
	v_mov_b32_e32 v0, 0x1000
	v_lshlrev_b32_e32 v32, 4, v5
	v_lshl_add_u32 v33, v7, 7, v0
	v_mov_b32_e32 v13, 0
	v_mov_b64_e32 v[14:15], 0
	s_mov_b64 s[14:15], 0
	v_mov_b64_e32 v[16:17], 0
	v_mov_b64_e32 v[20:21], 0
	;; [unrolled: 1-line block ×7, first 2 shown]
	s_branch .LBB278_8
.LBB278_7:                              ;   in Loop: Header=BB278_8 Depth=1
	s_or_b64 exec, exec, s[16:17]
	ds_write_b128 v31, v[0:3]
	s_waitcnt lgkmcnt(0)
	s_barrier
	ds_read_b128 v[0:3], v32
	ds_read_b128 v[34:37], v33
	ds_read_b128 v[38:41], v33 offset:16
	ds_read_b128 v[42:45], v33 offset:32
	;; [unrolled: 1-line block ×4, first 2 shown]
	s_waitcnt lgkmcnt(4)
	v_mul_f64 v[54:55], v[36:37], v[2:3]
	v_fma_f64 v[54:55], v[34:35], v[0:1], -v[54:55]
	v_mul_f64 v[56:57], v[34:35], v[2:3]
	v_fmac_f64_e32 v[56:57], v[36:37], v[0:1]
	v_add_f64 v[54:55], v[26:27], v[54:55]
	s_waitcnt lgkmcnt(0)
	v_mul_f64 v[26:27], v[36:37], v[52:53]
	v_add_f64 v[56:57], v[56:57], v[28:29]
	v_fma_f64 v[58:59], v[34:35], v[50:51], -v[26:27]
	ds_read_b128 v[26:29], v33 offset:2048
	v_mul_f64 v[34:35], v[34:35], v[52:53]
	v_fmac_f64_e32 v[34:35], v[36:37], v[50:51]
	v_add_f64 v[36:37], v[22:23], v[58:59]
	v_add_f64 v[34:35], v[34:35], v[24:25]
	ds_read_b128 v[22:25], v33 offset:2064
	s_waitcnt lgkmcnt(1)
	v_mul_f64 v[58:59], v[28:29], v[2:3]
	v_mul_f64 v[2:3], v[26:27], v[2:3]
	v_fma_f64 v[58:59], v[26:27], v[0:1], -v[58:59]
	v_fmac_f64_e32 v[2:3], v[28:29], v[0:1]
	v_mul_f64 v[0:1], v[28:29], v[52:53]
	v_add_f64 v[18:19], v[18:19], v[58:59]
	v_add_f64 v[20:21], v[2:3], v[20:21]
	v_fma_f64 v[58:59], v[26:27], v[50:51], -v[0:1]
	v_mul_f64 v[26:27], v[26:27], v[52:53]
	ds_read_b128 v[0:3], v32 offset:512
	v_fmac_f64_e32 v[26:27], v[28:29], v[50:51]
	v_add_f64 v[28:29], v[16:17], v[58:59]
	v_add_f64 v[26:27], v[26:27], v[14:15]
	ds_read_b128 v[14:17], v32 offset:768
	s_waitcnt lgkmcnt(1)
	v_mul_f64 v[50:51], v[40:41], v[2:3]
	v_fma_f64 v[50:51], v[38:39], v[0:1], -v[50:51]
	v_add_f64 v[50:51], v[54:55], v[50:51]
	v_mul_f64 v[52:53], v[38:39], v[2:3]
	s_waitcnt lgkmcnt(0)
	v_mul_f64 v[54:55], v[40:41], v[16:17]
	v_fma_f64 v[54:55], v[38:39], v[14:15], -v[54:55]
	v_mul_f64 v[38:39], v[38:39], v[16:17]
	v_fmac_f64_e32 v[38:39], v[40:41], v[14:15]
	v_add_f64 v[34:35], v[38:39], v[34:35]
	v_mul_f64 v[38:39], v[24:25], v[2:3]
	v_mul_f64 v[2:3], v[22:23], v[2:3]
	v_fmac_f64_e32 v[52:53], v[40:41], v[0:1]
	v_fma_f64 v[38:39], v[22:23], v[0:1], -v[38:39]
	v_fmac_f64_e32 v[2:3], v[24:25], v[0:1]
	v_mul_f64 v[0:1], v[24:25], v[16:17]
	v_add_f64 v[38:39], v[18:19], v[38:39]
	v_add_f64 v[40:41], v[2:3], v[20:21]
	v_fma_f64 v[18:19], v[22:23], v[14:15], -v[0:1]
	v_mul_f64 v[16:17], v[22:23], v[16:17]
	ds_read_b128 v[0:3], v32 offset:1024
	v_fmac_f64_e32 v[16:17], v[24:25], v[14:15]
	v_add_f64 v[26:27], v[16:17], v[26:27]
	ds_read_b128 v[14:17], v32 offset:1280
	v_add_f64 v[28:29], v[28:29], v[18:19]
	s_waitcnt lgkmcnt(1)
	v_mul_f64 v[18:19], v[44:45], v[2:3]
	v_fma_f64 v[18:19], v[42:43], v[0:1], -v[18:19]
	v_mul_f64 v[20:21], v[42:43], v[2:3]
	v_add_f64 v[52:53], v[52:53], v[56:57]
	v_fmac_f64_e32 v[20:21], v[44:45], v[0:1]
	v_add_f64 v[50:51], v[50:51], v[18:19]
	s_waitcnt lgkmcnt(0)
	v_mul_f64 v[18:19], v[44:45], v[16:17]
	v_add_f64 v[52:53], v[20:21], v[52:53]
	v_fma_f64 v[22:23], v[42:43], v[14:15], -v[18:19]
	ds_read_b128 v[18:21], v33 offset:2080
	v_mul_f64 v[24:25], v[42:43], v[16:17]
	v_add_f64 v[36:37], v[36:37], v[54:55]
	v_fmac_f64_e32 v[24:25], v[44:45], v[14:15]
	v_add_f64 v[36:37], v[36:37], v[22:23]
	v_add_f64 v[34:35], v[24:25], v[34:35]
	ds_read_b128 v[22:25], v33 offset:2096
	s_waitcnt lgkmcnt(1)
	v_mul_f64 v[42:43], v[20:21], v[2:3]
	v_mul_f64 v[2:3], v[18:19], v[2:3]
	v_fma_f64 v[42:43], v[18:19], v[0:1], -v[42:43]
	v_fmac_f64_e32 v[2:3], v[20:21], v[0:1]
	v_mul_f64 v[0:1], v[20:21], v[16:17]
	v_mul_f64 v[16:17], v[18:19], v[16:17]
	v_fmac_f64_e32 v[16:17], v[20:21], v[14:15]
	v_add_f64 v[38:39], v[38:39], v[42:43]
	v_add_f64 v[40:41], v[2:3], v[40:41]
	v_fma_f64 v[42:43], v[18:19], v[14:15], -v[0:1]
	ds_read_b128 v[0:3], v32 offset:1536
	v_add_f64 v[20:21], v[16:17], v[26:27]
	ds_read_b128 v[14:17], v32 offset:1792
	v_add_f64 v[18:19], v[28:29], v[42:43]
	s_add_u32 s14, s14, 8
	s_waitcnt lgkmcnt(1)
	v_mul_f64 v[26:27], v[48:49], v[2:3]
	v_mul_f64 v[28:29], v[46:47], v[2:3]
	s_waitcnt lgkmcnt(0)
	v_mul_f64 v[42:43], v[48:49], v[16:17]
	v_fma_f64 v[42:43], v[46:47], v[14:15], -v[42:43]
	v_add_f64 v[36:37], v[36:37], v[42:43]
	v_mul_f64 v[42:43], v[24:25], v[2:3]
	v_mul_f64 v[2:3], v[22:23], v[2:3]
	v_fma_f64 v[26:27], v[46:47], v[0:1], -v[26:27]
	v_fmac_f64_e32 v[28:29], v[48:49], v[0:1]
	v_fma_f64 v[42:43], v[22:23], v[0:1], -v[42:43]
	v_fmac_f64_e32 v[2:3], v[24:25], v[0:1]
	v_mul_f64 v[0:1], v[24:25], v[16:17]
	v_mul_f64 v[44:45], v[46:47], v[16:17]
	v_add_f64 v[38:39], v[38:39], v[42:43]
	v_fma_f64 v[42:43], v[22:23], v[14:15], -v[0:1]
	v_mul_f64 v[22:23], v[22:23], v[16:17]
	v_fmac_f64_e32 v[44:45], v[48:49], v[14:15]
	v_add_f64 v[40:41], v[2:3], v[40:41]
	v_fmac_f64_e32 v[22:23], v[24:25], v[14:15]
	ds_read_b128 v[0:3], v33 offset:64
	ds_read_b128 v[14:17], v32 offset:2048
	v_add_f64 v[34:35], v[44:45], v[34:35]
	v_add_f64 v[42:43], v[18:19], v[42:43]
	;; [unrolled: 1-line block ×3, first 2 shown]
	ds_read_b128 v[18:21], v32 offset:2304
	ds_read_b128 v[22:25], v33 offset:80
	s_waitcnt lgkmcnt(2)
	v_mul_f64 v[46:47], v[2:3], v[16:17]
	v_add_f64 v[26:27], v[50:51], v[26:27]
	v_fma_f64 v[46:47], v[0:1], v[14:15], -v[46:47]
	v_mul_f64 v[48:49], v[0:1], v[16:17]
	v_add_f64 v[28:29], v[28:29], v[52:53]
	v_fmac_f64_e32 v[48:49], v[2:3], v[14:15]
	v_add_f64 v[46:47], v[26:27], v[46:47]
	s_waitcnt lgkmcnt(1)
	v_mul_f64 v[26:27], v[2:3], v[20:21]
	v_add_f64 v[48:49], v[48:49], v[28:29]
	v_fma_f64 v[50:51], v[0:1], v[18:19], -v[26:27]
	ds_read_b128 v[26:29], v33 offset:2112
	v_mul_f64 v[0:1], v[0:1], v[20:21]
	v_fmac_f64_e32 v[0:1], v[2:3], v[18:19]
	v_add_f64 v[36:37], v[36:37], v[50:51]
	v_add_f64 v[34:35], v[0:1], v[34:35]
	ds_read_b128 v[0:3], v33 offset:2128
	s_waitcnt lgkmcnt(1)
	v_mul_f64 v[50:51], v[28:29], v[16:17]
	v_mul_f64 v[16:17], v[26:27], v[16:17]
	v_fma_f64 v[50:51], v[26:27], v[14:15], -v[50:51]
	v_fmac_f64_e32 v[16:17], v[28:29], v[14:15]
	v_mul_f64 v[14:15], v[28:29], v[20:21]
	v_add_f64 v[38:39], v[38:39], v[50:51]
	v_add_f64 v[40:41], v[16:17], v[40:41]
	v_fma_f64 v[50:51], v[26:27], v[18:19], -v[14:15]
	v_mul_f64 v[20:21], v[26:27], v[20:21]
	ds_read_b128 v[14:17], v32 offset:2560
	v_fmac_f64_e32 v[20:21], v[28:29], v[18:19]
	v_add_f64 v[28:29], v[20:21], v[44:45]
	ds_read_b128 v[18:21], v32 offset:2816
	v_add_f64 v[26:27], v[42:43], v[50:51]
	s_waitcnt lgkmcnt(1)
	v_mul_f64 v[42:43], v[24:25], v[16:17]
	v_fma_f64 v[42:43], v[22:23], v[14:15], -v[42:43]
	v_add_f64 v[42:43], v[46:47], v[42:43]
	s_waitcnt lgkmcnt(0)
	v_mul_f64 v[46:47], v[24:25], v[20:21]
	v_mul_f64 v[44:45], v[22:23], v[16:17]
	v_fma_f64 v[46:47], v[22:23], v[18:19], -v[46:47]
	v_mul_f64 v[22:23], v[22:23], v[20:21]
	v_fmac_f64_e32 v[22:23], v[24:25], v[18:19]
	v_add_f64 v[34:35], v[22:23], v[34:35]
	v_mul_f64 v[22:23], v[2:3], v[16:17]
	v_mul_f64 v[16:17], v[0:1], v[16:17]
	v_fmac_f64_e32 v[44:45], v[24:25], v[14:15]
	v_fma_f64 v[22:23], v[0:1], v[14:15], -v[22:23]
	v_fmac_f64_e32 v[16:17], v[2:3], v[14:15]
	v_mul_f64 v[14:15], v[2:3], v[20:21]
	v_mul_f64 v[20:21], v[0:1], v[20:21]
	v_add_f64 v[38:39], v[38:39], v[22:23]
	v_add_f64 v[40:41], v[16:17], v[40:41]
	v_fma_f64 v[22:23], v[0:1], v[18:19], -v[14:15]
	v_fmac_f64_e32 v[20:21], v[2:3], v[18:19]
	ds_read_b128 v[0:3], v33 offset:96
	ds_read_b128 v[14:17], v32 offset:3072
	v_add_f64 v[44:45], v[44:45], v[48:49]
	v_add_f64 v[36:37], v[36:37], v[46:47]
	;; [unrolled: 1-line block ×4, first 2 shown]
	ds_read_b128 v[18:21], v32 offset:3328
	ds_read_b128 v[22:25], v33 offset:112
	s_waitcnt lgkmcnt(2)
	v_mul_f64 v[26:27], v[2:3], v[16:17]
	v_fma_f64 v[26:27], v[0:1], v[14:15], -v[26:27]
	v_mul_f64 v[28:29], v[0:1], v[16:17]
	v_fmac_f64_e32 v[28:29], v[2:3], v[14:15]
	v_add_f64 v[42:43], v[42:43], v[26:27]
	s_waitcnt lgkmcnt(1)
	v_mul_f64 v[26:27], v[2:3], v[20:21]
	v_add_f64 v[44:45], v[28:29], v[44:45]
	v_fma_f64 v[50:51], v[0:1], v[18:19], -v[26:27]
	ds_read_b128 v[26:29], v33 offset:2144
	v_mul_f64 v[0:1], v[0:1], v[20:21]
	v_fmac_f64_e32 v[0:1], v[2:3], v[18:19]
	v_add_f64 v[52:53], v[0:1], v[34:35]
	ds_read_b128 v[0:3], v33 offset:2160
	s_waitcnt lgkmcnt(1)
	v_mul_f64 v[34:35], v[28:29], v[16:17]
	v_mul_f64 v[16:17], v[26:27], v[16:17]
	v_fma_f64 v[34:35], v[26:27], v[14:15], -v[34:35]
	v_fmac_f64_e32 v[16:17], v[28:29], v[14:15]
	v_mul_f64 v[14:15], v[28:29], v[20:21]
	v_add_f64 v[38:39], v[38:39], v[34:35]
	v_add_f64 v[40:41], v[16:17], v[40:41]
	v_fma_f64 v[34:35], v[26:27], v[18:19], -v[14:15]
	ds_read_b128 v[14:17], v32 offset:3584
	v_add_f64 v[50:51], v[36:37], v[50:51]
	v_add_f64 v[46:47], v[46:47], v[34:35]
	ds_read_b128 v[34:37], v32 offset:3840
	v_mul_f64 v[20:21], v[26:27], v[20:21]
	v_fmac_f64_e32 v[20:21], v[28:29], v[18:19]
	s_waitcnt lgkmcnt(1)
	v_mul_f64 v[18:19], v[24:25], v[16:17]
	v_fma_f64 v[18:19], v[22:23], v[14:15], -v[18:19]
	v_add_f64 v[48:49], v[20:21], v[48:49]
	v_mul_f64 v[20:21], v[22:23], v[16:17]
	v_add_f64 v[26:27], v[42:43], v[18:19]
	s_waitcnt lgkmcnt(0)
	v_mul_f64 v[18:19], v[24:25], v[36:37]
	v_fmac_f64_e32 v[20:21], v[24:25], v[14:15]
	v_fma_f64 v[18:19], v[22:23], v[34:35], -v[18:19]
	v_add_f64 v[28:29], v[20:21], v[44:45]
	v_mul_f64 v[20:21], v[22:23], v[36:37]
	v_add_f64 v[22:23], v[50:51], v[18:19]
	v_mul_f64 v[18:19], v[2:3], v[16:17]
	v_mul_f64 v[16:17], v[0:1], v[16:17]
	v_fma_f64 v[18:19], v[0:1], v[14:15], -v[18:19]
	v_fmac_f64_e32 v[16:17], v[2:3], v[14:15]
	v_mul_f64 v[14:15], v[2:3], v[36:37]
	v_fma_f64 v[14:15], v[0:1], v[34:35], -v[14:15]
	v_mul_f64 v[0:1], v[0:1], v[36:37]
	v_fmac_f64_e32 v[20:21], v[24:25], v[34:35]
	v_fmac_f64_e32 v[0:1], v[2:3], v[34:35]
	s_addc_u32 s15, s15, 0
	v_add_f64 v[24:25], v[20:21], v[52:53]
	v_add_f64 v[20:21], v[16:17], v[40:41]
	v_add_f64 v[16:17], v[46:47], v[14:15]
	v_add_f64 v[14:15], v[0:1], v[48:49]
	v_mov_b64_e32 v[0:1], s[14:15]
	v_cmp_gt_i64_e32 vcc, s[8:9], v[0:1]
	v_add_f64 v[18:19], v[38:39], v[18:19]
	s_barrier
	s_cbranch_vccz .LBB278_14
.LBB278_8:                              ; =>This Inner Loop Header: Depth=1
	v_mov_b64_e32 v[0:1], 0
	v_mov_b64_e32 v[2:3], 0
	s_and_saveexec_b64 s[16:17], s[0:1]
	s_cbranch_execz .LBB278_12
; %bb.9:                                ;   in Loop: Header=BB278_8 Depth=1
	v_add_u32_e32 v12, s14, v6
	v_cmp_gt_u64_e32 vcc, s[8:9], v[12:13]
	v_mov_b64_e32 v[2:3], 0
	v_mov_b64_e32 v[0:1], 0
	s_and_saveexec_b64 s[18:19], vcc
	s_cbranch_execz .LBB278_11
; %bb.10:                               ;   in Loop: Header=BB278_8 Depth=1
	v_lshl_add_u64 v[0:1], v[12:13], 4, v[8:9]
	global_load_dwordx4 v[0:3], v[0:1], off
	s_waitcnt vmcnt(0)
	v_xor_b32_e32 v3, 0x80000000, v3
.LBB278_11:                             ;   in Loop: Header=BB278_8 Depth=1
	s_or_b64 exec, exec, s[18:19]
.LBB278_12:                             ;   in Loop: Header=BB278_8 Depth=1
	s_or_b64 exec, exec, s[16:17]
	v_add_u32_e32 v12, s14, v4
	v_cmp_gt_u64_e32 vcc, s[8:9], v[12:13]
	ds_write_b128 v30, v[0:3]
	s_and_b64 s[18:19], vcc, s[2:3]
	v_mov_b64_e32 v[0:1], 0
	v_mov_b64_e32 v[2:3], 0
	s_and_saveexec_b64 s[16:17], s[18:19]
	s_cbranch_execz .LBB278_7
; %bb.13:                               ;   in Loop: Header=BB278_8 Depth=1
	v_mad_u64_u32 v[0:1], s[18:19], s22, v12, 0
	v_mov_b32_e32 v2, v1
	v_mad_u64_u32 v[2:3], s[18:19], s23, v12, v[2:3]
	v_mov_b32_e32 v1, v2
	v_lshl_add_u64 v[0:1], v[0:1], 4, v[10:11]
	global_load_dwordx4 v[0:3], v[0:1], off
	s_waitcnt vmcnt(0)
	v_xor_b32_e32 v3, 0x80000000, v3
	s_branch .LBB278_7
.LBB278_14:
	s_waitcnt lgkmcnt(0)
	s_mul_i32 s0, s39, s4
	s_mul_hi_u32 s1, s38, s4
	s_add_i32 s1, s1, s0
	s_mul_i32 s0, s38, s4
	s_lshl_b64 s[0:1], s[0:1], 4
	v_add_u32_e32 v10, s35, v7
	s_add_u32 s4, s30, s0
	v_ashrrev_i32_e32 v0, 31, v10
	s_addc_u32 s5, s31, s1
	v_cmp_neq_f64_e64 s[0:1], s[26:27], 0
	s_xor_b64 s[6:7], s[6:7], -1
	v_mul_lo_u32 v2, s36, v0
	v_mul_lo_u32 v3, s37, v10
	v_mad_u64_u32 v[0:1], s[8:9], s36, v10, 0
	v_add_u32_e32 v4, s34, v5
	v_add3_u32 v1, v1, v2, v3
	s_or_b64 s[0:1], s[0:1], s[6:7]
	v_cmp_gt_i32_e64 s[2:3], s33, v10
	v_lshl_add_u64 v[8:9], v[0:1], 4, s[4:5]
	v_cmp_le_i32_e32 vcc, v4, v10
	v_cndmask_b32_e64 v0, 0, 1, s[0:1]
	s_and_b64 s[8:9], s[2:3], vcc
	v_ashrrev_i32_e32 v5, 31, v4
	v_cmp_ne_u32_e64 s[0:1], 1, v0
	s_and_saveexec_b64 s[6:7], s[8:9]
	s_cbranch_execz .LBB278_18
; %bb.15:
	v_mul_f64 v[0:1], s[12:13], v[28:29]
	v_mul_f64 v[2:3], s[10:11], v[28:29]
	v_fma_f64 v[0:1], s[10:11], v[26:27], -v[0:1]
	v_fmac_f64_e32 v[2:3], s[12:13], v[26:27]
	s_and_b64 vcc, exec, s[0:1]
	v_lshl_add_u64 v[6:7], v[4:5], 4, v[8:9]
	s_cbranch_vccnz .LBB278_17
; %bb.16:
	global_load_dwordx4 v[26:29], v[6:7], off
	s_waitcnt vmcnt(0)
	v_mul_f64 v[12:13], s[28:29], v[28:29]
	v_mul_f64 v[28:29], s[26:27], v[28:29]
	v_fma_f64 v[12:13], s[26:27], v[26:27], -v[12:13]
	v_fmac_f64_e32 v[28:29], s[28:29], v[26:27]
	v_add_f64 v[0:1], v[0:1], v[12:13]
	v_add_f64 v[2:3], v[2:3], v[28:29]
.LBB278_17:
	global_store_dwordx4 v[6:7], v[0:3], off
.LBB278_18:
	s_or_b64 exec, exec, s[6:7]
	v_add_u32_e32 v6, 16, v4
	v_cmp_le_i32_e32 vcc, v6, v10
	s_and_b64 s[6:7], s[2:3], vcc
	v_ashrrev_i32_e32 v7, 31, v6
	s_and_saveexec_b64 s[2:3], s[6:7]
	s_cbranch_execz .LBB278_22
; %bb.19:
	v_mul_f64 v[0:1], s[12:13], v[24:25]
	v_mul_f64 v[2:3], s[10:11], v[24:25]
	v_fma_f64 v[0:1], s[10:11], v[22:23], -v[0:1]
	v_fmac_f64_e32 v[2:3], s[12:13], v[22:23]
	s_and_b64 vcc, exec, s[0:1]
	v_lshl_add_u64 v[8:9], v[6:7], 4, v[8:9]
	s_cbranch_vccnz .LBB278_21
; %bb.20:
	global_load_dwordx4 v[22:25], v[8:9], off
	s_waitcnt vmcnt(0)
	v_mul_f64 v[12:13], s[28:29], v[24:25]
	v_mul_f64 v[24:25], s[26:27], v[24:25]
	v_fma_f64 v[12:13], s[26:27], v[22:23], -v[12:13]
	v_fmac_f64_e32 v[24:25], s[28:29], v[22:23]
	v_add_f64 v[0:1], v[0:1], v[12:13]
	v_add_f64 v[2:3], v[2:3], v[24:25]
.LBB278_21:
	global_store_dwordx4 v[8:9], v[0:3], off
.LBB278_22:
	s_or_b64 exec, exec, s[2:3]
	v_add_u32_e32 v10, 16, v10
	v_ashrrev_i32_e32 v0, 31, v10
	v_mul_lo_u32 v2, s36, v0
	v_mul_lo_u32 v3, s37, v10
	v_mad_u64_u32 v[0:1], s[6:7], s36, v10, 0
	v_cmp_gt_i32_e64 s[2:3], s33, v10
	v_add3_u32 v1, v1, v2, v3
	v_cmp_le_i32_e32 vcc, v4, v10
	v_lshl_add_u64 v[8:9], v[0:1], 4, s[4:5]
	s_and_b64 s[6:7], s[2:3], vcc
	s_and_saveexec_b64 s[4:5], s[6:7]
	s_cbranch_execz .LBB278_26
; %bb.23:
	v_mul_f64 v[0:1], s[12:13], v[20:21]
	v_mul_f64 v[2:3], s[10:11], v[20:21]
	v_fma_f64 v[0:1], s[10:11], v[18:19], -v[0:1]
	v_fmac_f64_e32 v[2:3], s[12:13], v[18:19]
	s_and_b64 vcc, exec, s[0:1]
	v_lshl_add_u64 v[4:5], v[4:5], 4, v[8:9]
	s_cbranch_vccnz .LBB278_25
; %bb.24:
	global_load_dwordx4 v[18:21], v[4:5], off
	s_waitcnt vmcnt(0)
	v_mul_f64 v[12:13], s[28:29], v[20:21]
	v_mul_f64 v[20:21], s[26:27], v[20:21]
	v_fma_f64 v[12:13], s[26:27], v[18:19], -v[12:13]
	v_fmac_f64_e32 v[20:21], s[28:29], v[18:19]
	v_add_f64 v[0:1], v[0:1], v[12:13]
	v_add_f64 v[2:3], v[2:3], v[20:21]
.LBB278_25:
	global_store_dwordx4 v[4:5], v[0:3], off
.LBB278_26:
	s_or_b64 exec, exec, s[4:5]
	v_cmp_le_i32_e32 vcc, v6, v10
	s_and_b64 s[2:3], s[2:3], vcc
	s_and_saveexec_b64 s[4:5], s[2:3]
	s_cbranch_execz .LBB278_30
; %bb.27:
	v_mul_f64 v[0:1], s[12:13], v[14:15]
	v_mul_f64 v[2:3], s[10:11], v[14:15]
	v_fma_f64 v[0:1], s[10:11], v[16:17], -v[0:1]
	v_fmac_f64_e32 v[2:3], s[12:13], v[16:17]
	s_and_b64 vcc, exec, s[0:1]
	v_lshl_add_u64 v[4:5], v[6:7], 4, v[8:9]
	s_cbranch_vccnz .LBB278_29
; %bb.28:
	global_load_dwordx4 v[6:9], v[4:5], off
	s_waitcnt vmcnt(0)
	v_mul_f64 v[10:11], s[28:29], v[8:9]
	v_mul_f64 v[8:9], s[26:27], v[8:9]
	v_fma_f64 v[10:11], s[26:27], v[6:7], -v[10:11]
	v_fmac_f64_e32 v[8:9], s[28:29], v[6:7]
	v_add_f64 v[0:1], v[0:1], v[10:11]
	v_add_f64 v[2:3], v[2:3], v[8:9]
.LBB278_29:
	global_store_dwordx4 v[4:5], v[0:3], off
.LBB278_30:
	s_endpgm
	.section	.rodata,"a",@progbits
	.p2align	6, 0x0
	.amdhsa_kernel _ZL29rocblas_internal_gemmt_kernelIlLi16ELi32ELi8ELc67ELc67ELc85ELb1ELb1E19rocblas_complex_numIdES1_PKS1_PS1_EviT_T9_T10_S5_lS7_S5_lS6_T11_S5_li
		.amdhsa_group_segment_fixed_size 8192
		.amdhsa_private_segment_fixed_size 0
		.amdhsa_kernarg_size 124
		.amdhsa_user_sgpr_count 2
		.amdhsa_user_sgpr_dispatch_ptr 0
		.amdhsa_user_sgpr_queue_ptr 0
		.amdhsa_user_sgpr_kernarg_segment_ptr 1
		.amdhsa_user_sgpr_dispatch_id 0
		.amdhsa_user_sgpr_kernarg_preload_length 0
		.amdhsa_user_sgpr_kernarg_preload_offset 0
		.amdhsa_user_sgpr_private_segment_size 0
		.amdhsa_uses_dynamic_stack 0
		.amdhsa_enable_private_segment 0
		.amdhsa_system_sgpr_workgroup_id_x 1
		.amdhsa_system_sgpr_workgroup_id_y 1
		.amdhsa_system_sgpr_workgroup_id_z 1
		.amdhsa_system_sgpr_workgroup_info 0
		.amdhsa_system_vgpr_workitem_id 1
		.amdhsa_next_free_vgpr 60
		.amdhsa_next_free_sgpr 40
		.amdhsa_accum_offset 60
		.amdhsa_reserve_vcc 1
		.amdhsa_float_round_mode_32 0
		.amdhsa_float_round_mode_16_64 0
		.amdhsa_float_denorm_mode_32 3
		.amdhsa_float_denorm_mode_16_64 3
		.amdhsa_dx10_clamp 1
		.amdhsa_ieee_mode 1
		.amdhsa_fp16_overflow 0
		.amdhsa_tg_split 0
		.amdhsa_exception_fp_ieee_invalid_op 0
		.amdhsa_exception_fp_denorm_src 0
		.amdhsa_exception_fp_ieee_div_zero 0
		.amdhsa_exception_fp_ieee_overflow 0
		.amdhsa_exception_fp_ieee_underflow 0
		.amdhsa_exception_fp_ieee_inexact 0
		.amdhsa_exception_int_div_zero 0
	.end_amdhsa_kernel
	.section	.text._ZL29rocblas_internal_gemmt_kernelIlLi16ELi32ELi8ELc67ELc67ELc85ELb1ELb1E19rocblas_complex_numIdES1_PKS1_PS1_EviT_T9_T10_S5_lS7_S5_lS6_T11_S5_li,"axG",@progbits,_ZL29rocblas_internal_gemmt_kernelIlLi16ELi32ELi8ELc67ELc67ELc85ELb1ELb1E19rocblas_complex_numIdES1_PKS1_PS1_EviT_T9_T10_S5_lS7_S5_lS6_T11_S5_li,comdat
.Lfunc_end278:
	.size	_ZL29rocblas_internal_gemmt_kernelIlLi16ELi32ELi8ELc67ELc67ELc85ELb1ELb1E19rocblas_complex_numIdES1_PKS1_PS1_EviT_T9_T10_S5_lS7_S5_lS6_T11_S5_li, .Lfunc_end278-_ZL29rocblas_internal_gemmt_kernelIlLi16ELi32ELi8ELc67ELc67ELc85ELb1ELb1E19rocblas_complex_numIdES1_PKS1_PS1_EviT_T9_T10_S5_lS7_S5_lS6_T11_S5_li
                                        ; -- End function
	.set _ZL29rocblas_internal_gemmt_kernelIlLi16ELi32ELi8ELc67ELc67ELc85ELb1ELb1E19rocblas_complex_numIdES1_PKS1_PS1_EviT_T9_T10_S5_lS7_S5_lS6_T11_S5_li.num_vgpr, 60
	.set _ZL29rocblas_internal_gemmt_kernelIlLi16ELi32ELi8ELc67ELc67ELc85ELb1ELb1E19rocblas_complex_numIdES1_PKS1_PS1_EviT_T9_T10_S5_lS7_S5_lS6_T11_S5_li.num_agpr, 0
	.set _ZL29rocblas_internal_gemmt_kernelIlLi16ELi32ELi8ELc67ELc67ELc85ELb1ELb1E19rocblas_complex_numIdES1_PKS1_PS1_EviT_T9_T10_S5_lS7_S5_lS6_T11_S5_li.numbered_sgpr, 40
	.set _ZL29rocblas_internal_gemmt_kernelIlLi16ELi32ELi8ELc67ELc67ELc85ELb1ELb1E19rocblas_complex_numIdES1_PKS1_PS1_EviT_T9_T10_S5_lS7_S5_lS6_T11_S5_li.num_named_barrier, 0
	.set _ZL29rocblas_internal_gemmt_kernelIlLi16ELi32ELi8ELc67ELc67ELc85ELb1ELb1E19rocblas_complex_numIdES1_PKS1_PS1_EviT_T9_T10_S5_lS7_S5_lS6_T11_S5_li.private_seg_size, 0
	.set _ZL29rocblas_internal_gemmt_kernelIlLi16ELi32ELi8ELc67ELc67ELc85ELb1ELb1E19rocblas_complex_numIdES1_PKS1_PS1_EviT_T9_T10_S5_lS7_S5_lS6_T11_S5_li.uses_vcc, 1
	.set _ZL29rocblas_internal_gemmt_kernelIlLi16ELi32ELi8ELc67ELc67ELc85ELb1ELb1E19rocblas_complex_numIdES1_PKS1_PS1_EviT_T9_T10_S5_lS7_S5_lS6_T11_S5_li.uses_flat_scratch, 0
	.set _ZL29rocblas_internal_gemmt_kernelIlLi16ELi32ELi8ELc67ELc67ELc85ELb1ELb1E19rocblas_complex_numIdES1_PKS1_PS1_EviT_T9_T10_S5_lS7_S5_lS6_T11_S5_li.has_dyn_sized_stack, 0
	.set _ZL29rocblas_internal_gemmt_kernelIlLi16ELi32ELi8ELc67ELc67ELc85ELb1ELb1E19rocblas_complex_numIdES1_PKS1_PS1_EviT_T9_T10_S5_lS7_S5_lS6_T11_S5_li.has_recursion, 0
	.set _ZL29rocblas_internal_gemmt_kernelIlLi16ELi32ELi8ELc67ELc67ELc85ELb1ELb1E19rocblas_complex_numIdES1_PKS1_PS1_EviT_T9_T10_S5_lS7_S5_lS6_T11_S5_li.has_indirect_call, 0
	.section	.AMDGPU.csdata,"",@progbits
; Kernel info:
; codeLenInByte = 3124
; TotalNumSgprs: 46
; NumVgprs: 60
; NumAgprs: 0
; TotalNumVgprs: 60
; ScratchSize: 0
; MemoryBound: 1
; FloatMode: 240
; IeeeMode: 1
; LDSByteSize: 8192 bytes/workgroup (compile time only)
; SGPRBlocks: 5
; VGPRBlocks: 7
; NumSGPRsForWavesPerEU: 46
; NumVGPRsForWavesPerEU: 60
; AccumOffset: 60
; Occupancy: 8
; WaveLimiterHint : 0
; COMPUTE_PGM_RSRC2:SCRATCH_EN: 0
; COMPUTE_PGM_RSRC2:USER_SGPR: 2
; COMPUTE_PGM_RSRC2:TRAP_HANDLER: 0
; COMPUTE_PGM_RSRC2:TGID_X_EN: 1
; COMPUTE_PGM_RSRC2:TGID_Y_EN: 1
; COMPUTE_PGM_RSRC2:TGID_Z_EN: 1
; COMPUTE_PGM_RSRC2:TIDIG_COMP_CNT: 1
; COMPUTE_PGM_RSRC3_GFX90A:ACCUM_OFFSET: 14
; COMPUTE_PGM_RSRC3_GFX90A:TG_SPLIT: 0
	.section	.text._ZL29rocblas_internal_gemmt_kernelIlLi16ELi32ELi8ELc78ELc78ELc76ELb0ELb0E19rocblas_complex_numIdES1_PKS1_PS1_EviT_T9_T10_S5_lS7_S5_lS6_T11_S5_li,"axG",@progbits,_ZL29rocblas_internal_gemmt_kernelIlLi16ELi32ELi8ELc78ELc78ELc76ELb0ELb0E19rocblas_complex_numIdES1_PKS1_PS1_EviT_T9_T10_S5_lS7_S5_lS6_T11_S5_li,comdat
	.globl	_ZL29rocblas_internal_gemmt_kernelIlLi16ELi32ELi8ELc78ELc78ELc76ELb0ELb0E19rocblas_complex_numIdES1_PKS1_PS1_EviT_T9_T10_S5_lS7_S5_lS6_T11_S5_li ; -- Begin function _ZL29rocblas_internal_gemmt_kernelIlLi16ELi32ELi8ELc78ELc78ELc76ELb0ELb0E19rocblas_complex_numIdES1_PKS1_PS1_EviT_T9_T10_S5_lS7_S5_lS6_T11_S5_li
	.p2align	8
	.type	_ZL29rocblas_internal_gemmt_kernelIlLi16ELi32ELi8ELc78ELc78ELc76ELb0ELb0E19rocblas_complex_numIdES1_PKS1_PS1_EviT_T9_T10_S5_lS7_S5_lS6_T11_S5_li,@function
_ZL29rocblas_internal_gemmt_kernelIlLi16ELi32ELi8ELc78ELc78ELc76ELb0ELb0E19rocblas_complex_numIdES1_PKS1_PS1_EviT_T9_T10_S5_lS7_S5_lS6_T11_S5_li: ; @_ZL29rocblas_internal_gemmt_kernelIlLi16ELi32ELi8ELc78ELc78ELc76ELb0ELb0E19rocblas_complex_numIdES1_PKS1_PS1_EviT_T9_T10_S5_lS7_S5_lS6_T11_S5_li
; %bb.0:
	s_load_dwordx8 s[24:31], s[0:1], 0x48
	s_load_dwordx16 s[8:23], s[0:1], 0x8
	s_mov_b64 s[34:35], 0
	s_waitcnt lgkmcnt(0)
	v_cmp_eq_f64_e64 s[36:37], s[26:27], 1.0
	v_cmp_eq_f64_e64 s[6:7], s[28:29], 0
	s_and_b64 s[36:37], s[36:37], s[6:7]
	s_andn2_b64 vcc, exec, s[36:37]
	s_mov_b64 s[36:37], -1
	s_cbranch_vccnz .LBB279_4
; %bb.1:
	s_cmp_lg_u64 s[8:9], 0
	s_cbranch_scc0 .LBB279_3
; %bb.2:
	v_cmp_neq_f64_e64 s[34:35], s[10:11], 0
	v_cmp_neq_f64_e64 s[36:37], s[12:13], 0
	s_or_b64 s[34:35], s[34:35], s[36:37]
.LBB279_3:
	s_mov_b64 s[36:37], s[34:35]
.LBB279_4:
	s_and_b64 vcc, exec, s[36:37]
	s_cbranch_vccz .LBB279_34
; %bb.5:
	s_load_dwordx4 s[36:39], s[0:1], 0x68
	s_load_dword s33, s[0:1], 0x0
	s_lshl_b32 s5, s2, 5
	s_lshl_b32 s34, s3, 5
	v_cmp_eq_f64_e64 s[0:1], s[10:11], 0
	v_cmp_eq_f64_e64 s[2:3], s[12:13], 0
	s_and_b64 s[0:1], s[0:1], s[2:3]
	v_cmp_lt_i64_e64 s[2:3], s[8:9], 1
	s_or_b64 s[0:1], s[0:1], s[2:3]
	v_and_b32_e32 v1, 0x3ff, v0
	v_bfe_u32 v3, v0, 10, 10
	v_mov_b64_e32 v[24:25], 0
	s_and_b64 vcc, exec, s[0:1]
	v_mov_b64_e32 v[26:27], 0
	v_mov_b64_e32 v[16:17], 0
	v_mov_b64_e32 v[18:19], 0
	v_mov_b64_e32 v[20:21], 0
	v_mov_b64_e32 v[22:23], 0
	v_mov_b64_e32 v[14:15], 0
	v_mov_b64_e32 v[12:13], 0
	s_cbranch_vccnz .LBB279_18
; %bb.6:
	s_mul_i32 s0, s25, s4
	s_mul_hi_u32 s1, s24, s4
	s_add_i32 s1, s1, s0
	s_mul_i32 s0, s24, s4
	s_lshl_b64 s[0:1], s[0:1], 4
	s_add_u32 s20, s20, s0
	s_addc_u32 s21, s21, s1
	s_mul_i32 s0, s19, s4
	s_mul_hi_u32 s1, s18, s4
	v_lshl_add_u32 v4, v3, 4, v1
	v_and_b32_e32 v0, 7, v1
	s_add_i32 s1, s1, s0
	s_mul_i32 s0, s18, s4
	v_lshrrev_b32_e32 v6, 3, v4
	v_and_b32_e32 v5, 31, v4
	s_lshl_b64 s[0:1], s[0:1], 4
	v_lshlrev_b32_e32 v8, 4, v0
	v_lshrrev_b32_e32 v2, 5, v4
	v_add_u32_e32 v7, s34, v6
	v_or_b32_e32 v4, s5, v5
	s_add_u32 s14, s14, s0
	v_lshlrev_b32_e32 v5, 4, v5
	v_lshl_or_b32 v6, v6, 7, v8
	s_addc_u32 s15, s15, s1
	v_lshl_or_b32 v28, v2, 9, v5
	v_ashrrev_i32_e32 v5, 31, v4
	v_add_u32_e32 v29, 0x1000, v6
	v_ashrrev_i32_e32 v6, 31, v7
	s_waitcnt lgkmcnt(0)
	v_cmp_gt_i32_e64 s[0:1], s33, v4
	v_cmp_le_i32_e64 s[2:3], s33, v4
	v_lshl_add_u64 v[4:5], v[4:5], 4, s[14:15]
	v_cmp_gt_i32_e32 vcc, s33, v7
	v_mul_lo_u32 v8, s22, v6
	v_mul_lo_u32 v9, s23, v7
	v_mad_u64_u32 v[6:7], s[14:15], s22, v7, 0
	v_add3_u32 v7, v7, v8, v9
	v_mov_b32_e32 v8, 0x1000
	v_mov_b32_e32 v9, 0
	v_lshl_add_u64 v[6:7], v[6:7], 4, s[20:21]
	v_lshlrev_b32_e32 v30, 4, v1
	v_lshl_add_u32 v31, v3, 7, v8
	v_mov_b64_e32 v[12:13], 0
	s_mov_b64 s[14:15], 0
	s_xor_b64 s[18:19], vcc, -1
	v_mov_b32_e32 v32, v9
	v_mov_b32_e32 v33, v9
	v_mov_b32_e32 v34, v9
	v_mov_b32_e32 v35, v9
	v_mov_b64_e32 v[14:15], 0
	v_mov_b64_e32 v[22:23], 0
	;; [unrolled: 1-line block ×7, first 2 shown]
                                        ; implicit-def: $vgpr10_vgpr11
	s_branch .LBB279_8
.LBB279_7:                              ;   in Loop: Header=BB279_8 Depth=1
	s_or_b64 exec, exec, s[20:21]
	s_waitcnt lgkmcnt(0)
	s_barrier
	ds_read_b128 v[36:39], v31
	ds_read_b128 v[40:43], v31 offset:16
	ds_read_b128 v[44:47], v31 offset:32
	;; [unrolled: 1-line block ×3, first 2 shown]
	ds_read_b128 v[52:55], v30
	s_add_u32 s14, s14, 8
	s_addc_u32 s15, s15, 0
	s_waitcnt lgkmcnt(0)
	v_mul_f64 v[56:57], v[38:39], v[54:55]
	v_mul_f64 v[58:59], v[36:37], v[54:55]
	v_fma_f64 v[56:57], v[36:37], v[52:53], -v[56:57]
	v_fmac_f64_e32 v[58:59], v[38:39], v[52:53]
	v_add_f64 v[56:57], v[24:25], v[56:57]
	v_add_f64 v[58:59], v[58:59], v[26:27]
	ds_read_b128 v[24:27], v30 offset:256
	s_waitcnt lgkmcnt(0)
	v_mul_f64 v[60:61], v[38:39], v[26:27]
	v_fma_f64 v[60:61], v[36:37], v[24:25], -v[60:61]
	v_mul_f64 v[36:37], v[36:37], v[26:27]
	v_fmac_f64_e32 v[36:37], v[38:39], v[24:25]
	v_add_f64 v[38:39], v[16:17], v[60:61]
	v_add_f64 v[36:37], v[36:37], v[18:19]
	ds_read_b128 v[16:19], v31 offset:2048
	s_waitcnt lgkmcnt(0)
	v_mul_f64 v[60:61], v[18:19], v[54:55]
	v_fma_f64 v[60:61], v[16:17], v[52:53], -v[60:61]
	v_mul_f64 v[54:55], v[16:17], v[54:55]
	v_fmac_f64_e32 v[54:55], v[18:19], v[52:53]
	v_add_f64 v[52:53], v[20:21], v[60:61]
	v_mul_f64 v[20:21], v[18:19], v[26:27]
	v_fma_f64 v[20:21], v[16:17], v[24:25], -v[20:21]
	v_mul_f64 v[16:17], v[16:17], v[26:27]
	v_fmac_f64_e32 v[16:17], v[18:19], v[24:25]
	v_add_f64 v[24:25], v[14:15], v[20:21]
	v_add_f64 v[26:27], v[16:17], v[12:13]
	ds_read_b128 v[12:15], v30 offset:512
	v_add_f64 v[54:55], v[54:55], v[22:23]
	s_waitcnt lgkmcnt(0)
	v_mul_f64 v[16:17], v[42:43], v[14:15]
	v_mul_f64 v[18:19], v[40:41], v[14:15]
	v_fma_f64 v[16:17], v[40:41], v[12:13], -v[16:17]
	v_fmac_f64_e32 v[18:19], v[42:43], v[12:13]
	v_add_f64 v[56:57], v[56:57], v[16:17]
	v_add_f64 v[58:59], v[18:19], v[58:59]
	ds_read_b128 v[16:19], v30 offset:768
	s_waitcnt lgkmcnt(0)
	v_mul_f64 v[20:21], v[42:43], v[18:19]
	v_mul_f64 v[22:23], v[40:41], v[18:19]
	v_fma_f64 v[20:21], v[40:41], v[16:17], -v[20:21]
	v_fmac_f64_e32 v[22:23], v[42:43], v[16:17]
	v_add_f64 v[38:39], v[38:39], v[20:21]
	v_add_f64 v[36:37], v[22:23], v[36:37]
	ds_read_b128 v[20:23], v31 offset:2064
	s_waitcnt lgkmcnt(0)
	v_mul_f64 v[40:41], v[22:23], v[14:15]
	v_mul_f64 v[14:15], v[20:21], v[14:15]
	v_fmac_f64_e32 v[14:15], v[22:23], v[12:13]
	v_fma_f64 v[40:41], v[20:21], v[12:13], -v[40:41]
	v_add_f64 v[42:43], v[14:15], v[54:55]
	v_mul_f64 v[12:13], v[22:23], v[18:19]
	v_mul_f64 v[14:15], v[20:21], v[18:19]
	v_fma_f64 v[12:13], v[20:21], v[16:17], -v[12:13]
	v_fmac_f64_e32 v[14:15], v[22:23], v[16:17]
	v_add_f64 v[24:25], v[24:25], v[12:13]
	v_add_f64 v[26:27], v[14:15], v[26:27]
	ds_read_b128 v[12:15], v30 offset:1024
	v_add_f64 v[40:41], v[52:53], v[40:41]
	s_waitcnt lgkmcnt(0)
	v_mul_f64 v[16:17], v[46:47], v[14:15]
	v_mul_f64 v[18:19], v[44:45], v[14:15]
	v_fma_f64 v[16:17], v[44:45], v[12:13], -v[16:17]
	v_fmac_f64_e32 v[18:19], v[46:47], v[12:13]
	v_add_f64 v[52:53], v[56:57], v[16:17]
	v_add_f64 v[54:55], v[18:19], v[58:59]
	ds_read_b128 v[16:19], v30 offset:1280
	s_waitcnt lgkmcnt(0)
	v_mul_f64 v[20:21], v[46:47], v[18:19]
	v_mul_f64 v[22:23], v[44:45], v[18:19]
	v_fma_f64 v[20:21], v[44:45], v[16:17], -v[20:21]
	v_fmac_f64_e32 v[22:23], v[46:47], v[16:17]
	v_add_f64 v[38:39], v[38:39], v[20:21]
	v_add_f64 v[36:37], v[22:23], v[36:37]
	ds_read_b128 v[20:23], v31 offset:2080
	s_waitcnt lgkmcnt(0)
	v_mul_f64 v[44:45], v[22:23], v[14:15]
	v_mul_f64 v[14:15], v[20:21], v[14:15]
	v_fmac_f64_e32 v[14:15], v[22:23], v[12:13]
	v_fma_f64 v[44:45], v[20:21], v[12:13], -v[44:45]
	v_add_f64 v[42:43], v[14:15], v[42:43]
	v_mul_f64 v[12:13], v[22:23], v[18:19]
	v_mul_f64 v[14:15], v[20:21], v[18:19]
	v_fma_f64 v[12:13], v[20:21], v[16:17], -v[12:13]
	;; [unrolled: 30-line block ×3, first 2 shown]
	v_fmac_f64_e32 v[14:15], v[22:23], v[16:17]
	v_add_f64 v[24:25], v[24:25], v[12:13]
	v_add_f64 v[26:27], v[14:15], v[26:27]
	ds_read_b128 v[12:15], v31 offset:64
	ds_read_b128 v[16:19], v30 offset:2048
	v_add_f64 v[40:41], v[40:41], v[48:49]
	s_waitcnt lgkmcnt(0)
	v_mul_f64 v[20:21], v[14:15], v[18:19]
	v_mul_f64 v[22:23], v[12:13], v[18:19]
	v_fma_f64 v[20:21], v[12:13], v[16:17], -v[20:21]
	v_fmac_f64_e32 v[22:23], v[14:15], v[16:17]
	v_add_f64 v[44:45], v[44:45], v[20:21]
	v_add_f64 v[46:47], v[22:23], v[46:47]
	ds_read_b128 v[20:23], v30 offset:2304
	s_waitcnt lgkmcnt(0)
	v_mul_f64 v[48:49], v[14:15], v[22:23]
	v_fma_f64 v[48:49], v[12:13], v[20:21], -v[48:49]
	v_mul_f64 v[12:13], v[12:13], v[22:23]
	v_fmac_f64_e32 v[12:13], v[14:15], v[20:21]
	v_add_f64 v[36:37], v[12:13], v[36:37]
	ds_read_b128 v[12:15], v31 offset:2112
	v_add_f64 v[38:39], v[38:39], v[48:49]
	s_waitcnt lgkmcnt(0)
	v_mul_f64 v[48:49], v[14:15], v[18:19]
	v_mul_f64 v[18:19], v[12:13], v[18:19]
	v_fma_f64 v[48:49], v[12:13], v[16:17], -v[48:49]
	v_fmac_f64_e32 v[18:19], v[14:15], v[16:17]
	v_mul_f64 v[16:17], v[14:15], v[22:23]
	v_fma_f64 v[16:17], v[12:13], v[20:21], -v[16:17]
	v_mul_f64 v[12:13], v[12:13], v[22:23]
	v_fmac_f64_e32 v[12:13], v[14:15], v[20:21]
	v_add_f64 v[42:43], v[18:19], v[42:43]
	v_add_f64 v[24:25], v[24:25], v[16:17]
	v_add_f64 v[26:27], v[12:13], v[26:27]
	ds_read_b128 v[12:15], v31 offset:80
	ds_read_b128 v[16:19], v30 offset:2560
	v_add_f64 v[40:41], v[40:41], v[48:49]
	s_waitcnt lgkmcnt(0)
	v_mul_f64 v[20:21], v[14:15], v[18:19]
	v_mul_f64 v[22:23], v[12:13], v[18:19]
	v_fma_f64 v[20:21], v[12:13], v[16:17], -v[20:21]
	v_fmac_f64_e32 v[22:23], v[14:15], v[16:17]
	v_add_f64 v[44:45], v[44:45], v[20:21]
	v_add_f64 v[46:47], v[22:23], v[46:47]
	ds_read_b128 v[20:23], v30 offset:2816
	s_waitcnt lgkmcnt(0)
	v_mul_f64 v[48:49], v[14:15], v[22:23]
	v_fma_f64 v[48:49], v[12:13], v[20:21], -v[48:49]
	v_mul_f64 v[12:13], v[12:13], v[22:23]
	v_fmac_f64_e32 v[12:13], v[14:15], v[20:21]
	v_add_f64 v[36:37], v[12:13], v[36:37]
	ds_read_b128 v[12:15], v31 offset:2128
	v_add_f64 v[38:39], v[38:39], v[48:49]
	s_waitcnt lgkmcnt(0)
	v_mul_f64 v[48:49], v[14:15], v[18:19]
	v_mul_f64 v[18:19], v[12:13], v[18:19]
	v_fma_f64 v[48:49], v[12:13], v[16:17], -v[48:49]
	v_fmac_f64_e32 v[18:19], v[14:15], v[16:17]
	v_mul_f64 v[16:17], v[14:15], v[22:23]
	v_fma_f64 v[16:17], v[12:13], v[20:21], -v[16:17]
	v_mul_f64 v[12:13], v[12:13], v[22:23]
	v_fmac_f64_e32 v[12:13], v[14:15], v[20:21]
	v_add_f64 v[42:43], v[18:19], v[42:43]
	;; [unrolled: 31-line block ×3, first 2 shown]
	ds_read_b128 v[12:15], v31 offset:112
	ds_read_b128 v[20:23], v30 offset:3584
	v_add_f64 v[40:41], v[40:41], v[36:37]
	ds_read_b128 v[36:39], v30 offset:3840
	v_add_f64 v[52:53], v[24:25], v[16:17]
	v_add_f64 v[42:43], v[18:19], v[42:43]
	s_waitcnt lgkmcnt(1)
	v_mul_f64 v[16:17], v[14:15], v[22:23]
	v_fma_f64 v[16:17], v[12:13], v[20:21], -v[16:17]
	v_add_f64 v[24:25], v[44:45], v[16:17]
	s_waitcnt lgkmcnt(0)
	v_mul_f64 v[16:17], v[14:15], v[38:39]
	v_mul_f64 v[18:19], v[12:13], v[22:23]
	v_fma_f64 v[16:17], v[12:13], v[36:37], -v[16:17]
	v_mul_f64 v[12:13], v[12:13], v[38:39]
	v_fmac_f64_e32 v[18:19], v[14:15], v[20:21]
	v_fmac_f64_e32 v[12:13], v[14:15], v[36:37]
	v_add_f64 v[26:27], v[18:19], v[46:47]
	v_add_f64 v[18:19], v[12:13], v[50:51]
	ds_read_b128 v[12:15], v31 offset:2160
	v_add_f64 v[16:17], v[48:49], v[16:17]
	s_waitcnt lgkmcnt(0)
	s_barrier
	v_mul_f64 v[44:45], v[14:15], v[22:23]
	v_fma_f64 v[44:45], v[12:13], v[20:21], -v[44:45]
	v_mul_f64 v[22:23], v[12:13], v[22:23]
	v_fmac_f64_e32 v[22:23], v[14:15], v[20:21]
	v_add_f64 v[20:21], v[40:41], v[44:45]
	v_mul_f64 v[40:41], v[14:15], v[38:39]
	v_fma_f64 v[40:41], v[12:13], v[36:37], -v[40:41]
	v_mul_f64 v[12:13], v[12:13], v[38:39]
	v_fmac_f64_e32 v[12:13], v[14:15], v[36:37]
	v_mov_b64_e32 v[36:37], s[14:15]
	v_cmp_gt_i64_e32 vcc, s[8:9], v[36:37]
	v_add_f64 v[22:23], v[22:23], v[42:43]
	v_add_f64 v[14:15], v[52:53], v[40:41]
	;; [unrolled: 1-line block ×3, first 2 shown]
	s_cbranch_vccz .LBB279_18
.LBB279_8:                              ; =>This Inner Loop Header: Depth=1
	s_mov_b64 s[24:25], s[2:3]
	s_mov_b64 s[20:21], 0
	s_and_saveexec_b64 s[22:23], s[0:1]
	s_cbranch_execnz .LBB279_16
; %bb.9:                                ;   in Loop: Header=BB279_8 Depth=1
	s_or_b64 exec, exec, s[22:23]
	s_and_saveexec_b64 s[22:23], s[24:25]
	s_xor_b64 s[22:23], exec, s[22:23]
	s_cbranch_execnz .LBB279_17
.LBB279_10:                             ;   in Loop: Header=BB279_8 Depth=1
	s_or_b64 exec, exec, s[22:23]
	s_and_saveexec_b64 s[22:23], s[20:21]
	s_cbranch_execz .LBB279_12
.LBB279_11:                             ;   in Loop: Header=BB279_8 Depth=1
	v_mul_lo_u32 v8, s17, v10
	v_mul_lo_u32 v38, s16, v11
	v_mad_u64_u32 v[36:37], s[20:21], s16, v10, 0
	v_add3_u32 v37, v37, v38, v8
	v_lshl_add_u64 v[36:37], v[36:37], 4, v[4:5]
	global_load_dwordx4 v[36:39], v[36:37], off
	s_waitcnt vmcnt(0)
	ds_write2_b64 v28, v[36:37], v[38:39] offset1:1
.LBB279_12:                             ;   in Loop: Header=BB279_8 Depth=1
	s_or_b64 exec, exec, s[22:23]
	v_add_u32_e32 v8, s14, v0
	v_cmp_le_u64_e32 vcc, s[8:9], v[8:9]
	s_or_b64 s[20:21], vcc, s[18:19]
	s_and_saveexec_b64 s[22:23], s[20:21]
	s_xor_b64 s[20:21], exec, s[22:23]
; %bb.13:                               ;   in Loop: Header=BB279_8 Depth=1
	ds_write_b128 v29, v[32:35]
; %bb.14:                               ;   in Loop: Header=BB279_8 Depth=1
	s_andn2_saveexec_b64 s[20:21], s[20:21]
	s_cbranch_execz .LBB279_7
; %bb.15:                               ;   in Loop: Header=BB279_8 Depth=1
	v_lshl_add_u64 v[36:37], v[8:9], 4, v[6:7]
	global_load_dwordx4 v[36:39], v[36:37], off
	s_waitcnt vmcnt(0)
	ds_write2_b64 v29, v[36:37], v[38:39] offset1:1
	s_branch .LBB279_7
.LBB279_16:                             ;   in Loop: Header=BB279_8 Depth=1
	v_add_u32_e32 v8, s14, v2
	v_cmp_le_u64_e32 vcc, s[8:9], v[8:9]
	s_andn2_b64 s[24:25], s[2:3], exec
	s_and_b64 s[40:41], vcc, exec
	s_mov_b64 s[20:21], exec
	s_or_b64 s[24:25], s[24:25], s[40:41]
	v_mov_b64_e32 v[10:11], v[8:9]
	s_or_b64 exec, exec, s[22:23]
	s_and_saveexec_b64 s[22:23], s[24:25]
	s_xor_b64 s[22:23], exec, s[22:23]
	s_cbranch_execz .LBB279_10
.LBB279_17:                             ;   in Loop: Header=BB279_8 Depth=1
	ds_write_b128 v28, v[32:35]
	s_andn2_b64 s[20:21], s[20:21], exec
	s_or_b64 exec, exec, s[22:23]
	s_and_saveexec_b64 s[22:23], s[20:21]
	s_cbranch_execnz .LBB279_11
	s_branch .LBB279_12
.LBB279_18:
	s_waitcnt lgkmcnt(0)
	s_mul_i32 s0, s39, s4
	s_mul_hi_u32 s1, s38, s4
	s_add_i32 s1, s1, s0
	s_mul_i32 s0, s38, s4
	s_lshl_b64 s[0:1], s[0:1], 4
	v_add_u32_e32 v10, s34, v3
	s_add_u32 s8, s30, s0
	v_ashrrev_i32_e32 v0, 31, v10
	s_addc_u32 s9, s31, s1
	v_add_u32_e32 v4, s5, v1
	v_cmp_neq_f64_e64 s[0:1], s[26:27], 0
	s_xor_b64 s[4:5], s[6:7], -1
	v_mul_lo_u32 v2, s36, v0
	v_mul_lo_u32 v3, s37, v10
	v_mad_u64_u32 v[0:1], s[2:3], s36, v10, 0
	v_add3_u32 v1, v1, v2, v3
	s_or_b64 s[0:1], s[0:1], s[4:5]
	v_lshl_add_u64 v[8:9], v[0:1], 4, s[8:9]
	v_cmp_le_i32_e32 vcc, v10, v4
	v_cmp_gt_i32_e64 s[2:3], s33, v4
	v_cndmask_b32_e64 v0, 0, 1, s[0:1]
	s_and_b64 s[6:7], vcc, s[2:3]
	v_ashrrev_i32_e32 v5, 31, v4
	v_cmp_ne_u32_e64 s[0:1], 1, v0
	s_and_saveexec_b64 s[4:5], s[6:7]
	s_cbranch_execz .LBB279_22
; %bb.19:
	v_mul_f64 v[0:1], s[12:13], v[26:27]
	v_mul_f64 v[2:3], s[10:11], v[26:27]
	v_fma_f64 v[0:1], s[10:11], v[24:25], -v[0:1]
	v_fmac_f64_e32 v[2:3], s[12:13], v[24:25]
	s_and_b64 vcc, exec, s[0:1]
	v_lshl_add_u64 v[6:7], v[4:5], 4, v[8:9]
	s_cbranch_vccnz .LBB279_21
; %bb.20:
	global_load_dwordx4 v[24:27], v[6:7], off
	s_waitcnt vmcnt(0)
	v_mul_f64 v[28:29], s[28:29], v[26:27]
	v_mul_f64 v[26:27], s[26:27], v[26:27]
	v_fma_f64 v[28:29], s[26:27], v[24:25], -v[28:29]
	v_fmac_f64_e32 v[26:27], s[28:29], v[24:25]
	v_add_f64 v[0:1], v[0:1], v[28:29]
	v_add_f64 v[2:3], v[2:3], v[26:27]
.LBB279_21:
	global_store_dwordx4 v[6:7], v[0:3], off
.LBB279_22:
	s_or_b64 exec, exec, s[4:5]
	v_add_u32_e32 v6, 16, v4
	v_cmp_le_i32_e32 vcc, v10, v6
	v_cmp_gt_i32_e64 s[4:5], s33, v6
	s_and_b64 s[14:15], vcc, s[4:5]
	v_ashrrev_i32_e32 v7, 31, v6
	s_and_saveexec_b64 s[6:7], s[14:15]
	s_cbranch_execz .LBB279_26
; %bb.23:
	v_mul_f64 v[0:1], s[12:13], v[18:19]
	v_mul_f64 v[2:3], s[10:11], v[18:19]
	v_fma_f64 v[0:1], s[10:11], v[16:17], -v[0:1]
	v_fmac_f64_e32 v[2:3], s[12:13], v[16:17]
	s_and_b64 vcc, exec, s[0:1]
	v_lshl_add_u64 v[8:9], v[6:7], 4, v[8:9]
	s_cbranch_vccnz .LBB279_25
; %bb.24:
	global_load_dwordx4 v[16:19], v[8:9], off
	s_waitcnt vmcnt(0)
	v_mul_f64 v[24:25], s[28:29], v[18:19]
	v_mul_f64 v[18:19], s[26:27], v[18:19]
	v_fma_f64 v[24:25], s[26:27], v[16:17], -v[24:25]
	v_fmac_f64_e32 v[18:19], s[28:29], v[16:17]
	v_add_f64 v[0:1], v[0:1], v[24:25]
	v_add_f64 v[2:3], v[2:3], v[18:19]
.LBB279_25:
	global_store_dwordx4 v[8:9], v[0:3], off
.LBB279_26:
	s_or_b64 exec, exec, s[6:7]
	v_add_u32_e32 v10, 16, v10
	v_ashrrev_i32_e32 v0, 31, v10
	v_mul_lo_u32 v2, s36, v0
	v_mul_lo_u32 v3, s37, v10
	v_mad_u64_u32 v[0:1], s[6:7], s36, v10, 0
	v_add3_u32 v1, v1, v2, v3
	v_cmp_le_i32_e32 vcc, v10, v4
	v_lshl_add_u64 v[8:9], v[0:1], 4, s[8:9]
	s_and_b64 s[6:7], vcc, s[2:3]
	s_and_saveexec_b64 s[2:3], s[6:7]
	s_cbranch_execz .LBB279_30
; %bb.27:
	v_mul_f64 v[0:1], s[12:13], v[22:23]
	v_mul_f64 v[2:3], s[10:11], v[22:23]
	v_fma_f64 v[0:1], s[10:11], v[20:21], -v[0:1]
	v_fmac_f64_e32 v[2:3], s[12:13], v[20:21]
	s_and_b64 vcc, exec, s[0:1]
	v_lshl_add_u64 v[4:5], v[4:5], 4, v[8:9]
	s_cbranch_vccnz .LBB279_29
; %bb.28:
	global_load_dwordx4 v[16:19], v[4:5], off
	s_waitcnt vmcnt(0)
	v_mul_f64 v[20:21], s[28:29], v[18:19]
	v_mul_f64 v[18:19], s[26:27], v[18:19]
	v_fma_f64 v[20:21], s[26:27], v[16:17], -v[20:21]
	v_fmac_f64_e32 v[18:19], s[28:29], v[16:17]
	v_add_f64 v[0:1], v[0:1], v[20:21]
	v_add_f64 v[2:3], v[2:3], v[18:19]
.LBB279_29:
	global_store_dwordx4 v[4:5], v[0:3], off
.LBB279_30:
	s_or_b64 exec, exec, s[2:3]
	v_cmp_le_i32_e32 vcc, v10, v6
	s_and_b64 s[2:3], vcc, s[4:5]
	s_and_saveexec_b64 s[4:5], s[2:3]
	s_cbranch_execz .LBB279_34
; %bb.31:
	v_mul_f64 v[0:1], s[12:13], v[12:13]
	v_mul_f64 v[2:3], s[10:11], v[12:13]
	v_fma_f64 v[0:1], s[10:11], v[14:15], -v[0:1]
	v_fmac_f64_e32 v[2:3], s[12:13], v[14:15]
	s_and_b64 vcc, exec, s[0:1]
	v_lshl_add_u64 v[4:5], v[6:7], 4, v[8:9]
	s_cbranch_vccnz .LBB279_33
; %bb.32:
	global_load_dwordx4 v[6:9], v[4:5], off
	s_waitcnt vmcnt(0)
	v_mul_f64 v[10:11], s[28:29], v[8:9]
	v_mul_f64 v[8:9], s[26:27], v[8:9]
	v_fma_f64 v[10:11], s[26:27], v[6:7], -v[10:11]
	v_fmac_f64_e32 v[8:9], s[28:29], v[6:7]
	v_add_f64 v[0:1], v[0:1], v[10:11]
	v_add_f64 v[2:3], v[2:3], v[8:9]
.LBB279_33:
	global_store_dwordx4 v[4:5], v[0:3], off
.LBB279_34:
	s_endpgm
	.section	.rodata,"a",@progbits
	.p2align	6, 0x0
	.amdhsa_kernel _ZL29rocblas_internal_gemmt_kernelIlLi16ELi32ELi8ELc78ELc78ELc76ELb0ELb0E19rocblas_complex_numIdES1_PKS1_PS1_EviT_T9_T10_S5_lS7_S5_lS6_T11_S5_li
		.amdhsa_group_segment_fixed_size 8192
		.amdhsa_private_segment_fixed_size 0
		.amdhsa_kernarg_size 124
		.amdhsa_user_sgpr_count 2
		.amdhsa_user_sgpr_dispatch_ptr 0
		.amdhsa_user_sgpr_queue_ptr 0
		.amdhsa_user_sgpr_kernarg_segment_ptr 1
		.amdhsa_user_sgpr_dispatch_id 0
		.amdhsa_user_sgpr_kernarg_preload_length 0
		.amdhsa_user_sgpr_kernarg_preload_offset 0
		.amdhsa_user_sgpr_private_segment_size 0
		.amdhsa_uses_dynamic_stack 0
		.amdhsa_enable_private_segment 0
		.amdhsa_system_sgpr_workgroup_id_x 1
		.amdhsa_system_sgpr_workgroup_id_y 1
		.amdhsa_system_sgpr_workgroup_id_z 1
		.amdhsa_system_sgpr_workgroup_info 0
		.amdhsa_system_vgpr_workitem_id 1
		.amdhsa_next_free_vgpr 62
		.amdhsa_next_free_sgpr 42
		.amdhsa_accum_offset 64
		.amdhsa_reserve_vcc 1
		.amdhsa_float_round_mode_32 0
		.amdhsa_float_round_mode_16_64 0
		.amdhsa_float_denorm_mode_32 3
		.amdhsa_float_denorm_mode_16_64 3
		.amdhsa_dx10_clamp 1
		.amdhsa_ieee_mode 1
		.amdhsa_fp16_overflow 0
		.amdhsa_tg_split 0
		.amdhsa_exception_fp_ieee_invalid_op 0
		.amdhsa_exception_fp_denorm_src 0
		.amdhsa_exception_fp_ieee_div_zero 0
		.amdhsa_exception_fp_ieee_overflow 0
		.amdhsa_exception_fp_ieee_underflow 0
		.amdhsa_exception_fp_ieee_inexact 0
		.amdhsa_exception_int_div_zero 0
	.end_amdhsa_kernel
	.section	.text._ZL29rocblas_internal_gemmt_kernelIlLi16ELi32ELi8ELc78ELc78ELc76ELb0ELb0E19rocblas_complex_numIdES1_PKS1_PS1_EviT_T9_T10_S5_lS7_S5_lS6_T11_S5_li,"axG",@progbits,_ZL29rocblas_internal_gemmt_kernelIlLi16ELi32ELi8ELc78ELc78ELc76ELb0ELb0E19rocblas_complex_numIdES1_PKS1_PS1_EviT_T9_T10_S5_lS7_S5_lS6_T11_S5_li,comdat
.Lfunc_end279:
	.size	_ZL29rocblas_internal_gemmt_kernelIlLi16ELi32ELi8ELc78ELc78ELc76ELb0ELb0E19rocblas_complex_numIdES1_PKS1_PS1_EviT_T9_T10_S5_lS7_S5_lS6_T11_S5_li, .Lfunc_end279-_ZL29rocblas_internal_gemmt_kernelIlLi16ELi32ELi8ELc78ELc78ELc76ELb0ELb0E19rocblas_complex_numIdES1_PKS1_PS1_EviT_T9_T10_S5_lS7_S5_lS6_T11_S5_li
                                        ; -- End function
	.set _ZL29rocblas_internal_gemmt_kernelIlLi16ELi32ELi8ELc78ELc78ELc76ELb0ELb0E19rocblas_complex_numIdES1_PKS1_PS1_EviT_T9_T10_S5_lS7_S5_lS6_T11_S5_li.num_vgpr, 62
	.set _ZL29rocblas_internal_gemmt_kernelIlLi16ELi32ELi8ELc78ELc78ELc76ELb0ELb0E19rocblas_complex_numIdES1_PKS1_PS1_EviT_T9_T10_S5_lS7_S5_lS6_T11_S5_li.num_agpr, 0
	.set _ZL29rocblas_internal_gemmt_kernelIlLi16ELi32ELi8ELc78ELc78ELc76ELb0ELb0E19rocblas_complex_numIdES1_PKS1_PS1_EviT_T9_T10_S5_lS7_S5_lS6_T11_S5_li.numbered_sgpr, 42
	.set _ZL29rocblas_internal_gemmt_kernelIlLi16ELi32ELi8ELc78ELc78ELc76ELb0ELb0E19rocblas_complex_numIdES1_PKS1_PS1_EviT_T9_T10_S5_lS7_S5_lS6_T11_S5_li.num_named_barrier, 0
	.set _ZL29rocblas_internal_gemmt_kernelIlLi16ELi32ELi8ELc78ELc78ELc76ELb0ELb0E19rocblas_complex_numIdES1_PKS1_PS1_EviT_T9_T10_S5_lS7_S5_lS6_T11_S5_li.private_seg_size, 0
	.set _ZL29rocblas_internal_gemmt_kernelIlLi16ELi32ELi8ELc78ELc78ELc76ELb0ELb0E19rocblas_complex_numIdES1_PKS1_PS1_EviT_T9_T10_S5_lS7_S5_lS6_T11_S5_li.uses_vcc, 1
	.set _ZL29rocblas_internal_gemmt_kernelIlLi16ELi32ELi8ELc78ELc78ELc76ELb0ELb0E19rocblas_complex_numIdES1_PKS1_PS1_EviT_T9_T10_S5_lS7_S5_lS6_T11_S5_li.uses_flat_scratch, 0
	.set _ZL29rocblas_internal_gemmt_kernelIlLi16ELi32ELi8ELc78ELc78ELc76ELb0ELb0E19rocblas_complex_numIdES1_PKS1_PS1_EviT_T9_T10_S5_lS7_S5_lS6_T11_S5_li.has_dyn_sized_stack, 0
	.set _ZL29rocblas_internal_gemmt_kernelIlLi16ELi32ELi8ELc78ELc78ELc76ELb0ELb0E19rocblas_complex_numIdES1_PKS1_PS1_EviT_T9_T10_S5_lS7_S5_lS6_T11_S5_li.has_recursion, 0
	.set _ZL29rocblas_internal_gemmt_kernelIlLi16ELi32ELi8ELc78ELc78ELc76ELb0ELb0E19rocblas_complex_numIdES1_PKS1_PS1_EviT_T9_T10_S5_lS7_S5_lS6_T11_S5_li.has_indirect_call, 0
	.section	.AMDGPU.csdata,"",@progbits
; Kernel info:
; codeLenInByte = 3240
; TotalNumSgprs: 48
; NumVgprs: 62
; NumAgprs: 0
; TotalNumVgprs: 62
; ScratchSize: 0
; MemoryBound: 0
; FloatMode: 240
; IeeeMode: 1
; LDSByteSize: 8192 bytes/workgroup (compile time only)
; SGPRBlocks: 5
; VGPRBlocks: 7
; NumSGPRsForWavesPerEU: 48
; NumVGPRsForWavesPerEU: 62
; AccumOffset: 64
; Occupancy: 8
; WaveLimiterHint : 0
; COMPUTE_PGM_RSRC2:SCRATCH_EN: 0
; COMPUTE_PGM_RSRC2:USER_SGPR: 2
; COMPUTE_PGM_RSRC2:TRAP_HANDLER: 0
; COMPUTE_PGM_RSRC2:TGID_X_EN: 1
; COMPUTE_PGM_RSRC2:TGID_Y_EN: 1
; COMPUTE_PGM_RSRC2:TGID_Z_EN: 1
; COMPUTE_PGM_RSRC2:TIDIG_COMP_CNT: 1
; COMPUTE_PGM_RSRC3_GFX90A:ACCUM_OFFSET: 15
; COMPUTE_PGM_RSRC3_GFX90A:TG_SPLIT: 0
	.section	.text._ZL29rocblas_internal_gemmt_kernelIlLi16ELi32ELi8ELc78ELc84ELc76ELb0ELb0E19rocblas_complex_numIdES1_PKS1_PS1_EviT_T9_T10_S5_lS7_S5_lS6_T11_S5_li,"axG",@progbits,_ZL29rocblas_internal_gemmt_kernelIlLi16ELi32ELi8ELc78ELc84ELc76ELb0ELb0E19rocblas_complex_numIdES1_PKS1_PS1_EviT_T9_T10_S5_lS7_S5_lS6_T11_S5_li,comdat
	.globl	_ZL29rocblas_internal_gemmt_kernelIlLi16ELi32ELi8ELc78ELc84ELc76ELb0ELb0E19rocblas_complex_numIdES1_PKS1_PS1_EviT_T9_T10_S5_lS7_S5_lS6_T11_S5_li ; -- Begin function _ZL29rocblas_internal_gemmt_kernelIlLi16ELi32ELi8ELc78ELc84ELc76ELb0ELb0E19rocblas_complex_numIdES1_PKS1_PS1_EviT_T9_T10_S5_lS7_S5_lS6_T11_S5_li
	.p2align	8
	.type	_ZL29rocblas_internal_gemmt_kernelIlLi16ELi32ELi8ELc78ELc84ELc76ELb0ELb0E19rocblas_complex_numIdES1_PKS1_PS1_EviT_T9_T10_S5_lS7_S5_lS6_T11_S5_li,@function
_ZL29rocblas_internal_gemmt_kernelIlLi16ELi32ELi8ELc78ELc84ELc76ELb0ELb0E19rocblas_complex_numIdES1_PKS1_PS1_EviT_T9_T10_S5_lS7_S5_lS6_T11_S5_li: ; @_ZL29rocblas_internal_gemmt_kernelIlLi16ELi32ELi8ELc78ELc84ELc76ELb0ELb0E19rocblas_complex_numIdES1_PKS1_PS1_EviT_T9_T10_S5_lS7_S5_lS6_T11_S5_li
; %bb.0:
	s_load_dwordx8 s[24:31], s[0:1], 0x48
	s_load_dwordx16 s[8:23], s[0:1], 0x8
	s_mov_b64 s[34:35], 0
	s_waitcnt lgkmcnt(0)
	v_cmp_eq_f64_e64 s[36:37], s[26:27], 1.0
	v_cmp_eq_f64_e64 s[6:7], s[28:29], 0
	s_and_b64 s[36:37], s[36:37], s[6:7]
	s_andn2_b64 vcc, exec, s[36:37]
	s_mov_b64 s[36:37], -1
	s_cbranch_vccnz .LBB280_4
; %bb.1:
	s_cmp_lg_u64 s[8:9], 0
	s_cbranch_scc0 .LBB280_3
; %bb.2:
	v_cmp_neq_f64_e64 s[34:35], s[10:11], 0
	v_cmp_neq_f64_e64 s[36:37], s[12:13], 0
	s_or_b64 s[34:35], s[34:35], s[36:37]
.LBB280_3:
	s_mov_b64 s[36:37], s[34:35]
.LBB280_4:
	s_and_b64 vcc, exec, s[36:37]
	s_cbranch_vccz .LBB280_34
; %bb.5:
	s_load_dwordx4 s[36:39], s[0:1], 0x68
	s_load_dword s33, s[0:1], 0x0
	s_lshl_b32 s5, s2, 5
	s_lshl_b32 s40, s3, 5
	v_cmp_eq_f64_e64 s[0:1], s[10:11], 0
	v_cmp_eq_f64_e64 s[2:3], s[12:13], 0
	s_and_b64 s[0:1], s[0:1], s[2:3]
	v_cmp_lt_i64_e64 s[2:3], s[8:9], 1
	s_or_b64 s[0:1], s[0:1], s[2:3]
	v_and_b32_e32 v1, 0x3ff, v0
	v_bfe_u32 v3, v0, 10, 10
	v_mov_b64_e32 v[24:25], 0
	s_and_b64 vcc, exec, s[0:1]
	v_mov_b64_e32 v[26:27], 0
	v_mov_b64_e32 v[16:17], 0
	;; [unrolled: 1-line block ×7, first 2 shown]
	s_cbranch_vccnz .LBB280_18
; %bb.6:
	s_mul_i32 s0, s25, s4
	s_mul_hi_u32 s1, s24, s4
	s_add_i32 s1, s1, s0
	s_mul_i32 s0, s24, s4
	s_lshl_b64 s[0:1], s[0:1], 4
	s_add_u32 s20, s20, s0
	s_addc_u32 s21, s21, s1
	s_mul_i32 s0, s19, s4
	s_mul_hi_u32 s1, s18, s4
	v_lshl_add_u32 v4, v3, 4, v1
	v_and_b32_e32 v0, 7, v1
	s_add_i32 s1, s1, s0
	s_mul_i32 s0, s18, s4
	v_lshrrev_b32_e32 v7, 3, v4
	v_and_b32_e32 v5, 31, v4
	s_lshl_b64 s[0:1], s[0:1], 4
	v_lshlrev_b32_e32 v8, 4, v0
	v_lshrrev_b32_e32 v2, 5, v4
	v_add_u32_e32 v6, s40, v7
	v_or_b32_e32 v4, s5, v5
	s_add_u32 s14, s14, s0
	v_lshlrev_b32_e32 v5, 4, v5
	v_lshl_or_b32 v7, v7, 7, v8
	s_addc_u32 s15, s15, s1
	v_lshl_or_b32 v28, v2, 9, v5
	v_ashrrev_i32_e32 v5, 31, v4
	s_waitcnt lgkmcnt(0)
	v_cmp_gt_i32_e32 vcc, s33, v6
	v_add_u32_e32 v29, 0x1000, v7
	v_ashrrev_i32_e32 v7, 31, v6
	v_mov_b32_e32 v8, 0x1000
	v_mov_b32_e32 v9, 0
	v_cmp_gt_i32_e64 s[0:1], s33, v4
	v_cmp_le_i32_e64 s[2:3], s33, v4
	v_lshl_add_u64 v[4:5], v[4:5], 4, s[14:15]
	v_lshl_add_u64 v[6:7], v[6:7], 4, s[20:21]
	v_lshlrev_b32_e32 v30, 4, v1
	v_lshl_add_u32 v31, v3, 7, v8
	v_mov_b64_e32 v[12:13], 0
	s_mov_b64 s[14:15], 0
	s_xor_b64 s[18:19], vcc, -1
	v_mov_b32_e32 v32, v9
	v_mov_b32_e32 v33, v9
	;; [unrolled: 1-line block ×4, first 2 shown]
	v_mov_b64_e32 v[14:15], 0
	v_mov_b64_e32 v[22:23], 0
	;; [unrolled: 1-line block ×7, first 2 shown]
                                        ; implicit-def: $vgpr10_vgpr11
	s_branch .LBB280_8
.LBB280_7:                              ;   in Loop: Header=BB280_8 Depth=1
	s_or_b64 exec, exec, s[20:21]
	s_waitcnt lgkmcnt(0)
	s_barrier
	ds_read_b128 v[36:39], v31
	ds_read_b128 v[40:43], v31 offset:16
	ds_read_b128 v[44:47], v31 offset:32
	;; [unrolled: 1-line block ×3, first 2 shown]
	ds_read_b128 v[52:55], v30
	s_add_u32 s14, s14, 8
	s_addc_u32 s15, s15, 0
	s_waitcnt lgkmcnt(0)
	v_mul_f64 v[56:57], v[38:39], v[54:55]
	v_mul_f64 v[58:59], v[36:37], v[54:55]
	v_fma_f64 v[56:57], v[36:37], v[52:53], -v[56:57]
	v_fmac_f64_e32 v[58:59], v[38:39], v[52:53]
	v_add_f64 v[56:57], v[24:25], v[56:57]
	v_add_f64 v[58:59], v[58:59], v[26:27]
	ds_read_b128 v[24:27], v30 offset:256
	s_waitcnt lgkmcnt(0)
	v_mul_f64 v[60:61], v[38:39], v[26:27]
	v_fma_f64 v[60:61], v[36:37], v[24:25], -v[60:61]
	v_mul_f64 v[36:37], v[36:37], v[26:27]
	v_fmac_f64_e32 v[36:37], v[38:39], v[24:25]
	v_add_f64 v[38:39], v[16:17], v[60:61]
	v_add_f64 v[36:37], v[36:37], v[18:19]
	ds_read_b128 v[16:19], v31 offset:2048
	s_waitcnt lgkmcnt(0)
	v_mul_f64 v[60:61], v[18:19], v[54:55]
	v_fma_f64 v[60:61], v[16:17], v[52:53], -v[60:61]
	v_mul_f64 v[54:55], v[16:17], v[54:55]
	v_fmac_f64_e32 v[54:55], v[18:19], v[52:53]
	v_add_f64 v[52:53], v[20:21], v[60:61]
	v_mul_f64 v[20:21], v[18:19], v[26:27]
	v_fma_f64 v[20:21], v[16:17], v[24:25], -v[20:21]
	v_mul_f64 v[16:17], v[16:17], v[26:27]
	v_fmac_f64_e32 v[16:17], v[18:19], v[24:25]
	v_add_f64 v[24:25], v[14:15], v[20:21]
	v_add_f64 v[26:27], v[16:17], v[12:13]
	ds_read_b128 v[12:15], v30 offset:512
	v_add_f64 v[54:55], v[54:55], v[22:23]
	s_waitcnt lgkmcnt(0)
	v_mul_f64 v[16:17], v[42:43], v[14:15]
	v_mul_f64 v[18:19], v[40:41], v[14:15]
	v_fma_f64 v[16:17], v[40:41], v[12:13], -v[16:17]
	v_fmac_f64_e32 v[18:19], v[42:43], v[12:13]
	v_add_f64 v[56:57], v[56:57], v[16:17]
	v_add_f64 v[58:59], v[18:19], v[58:59]
	ds_read_b128 v[16:19], v30 offset:768
	s_waitcnt lgkmcnt(0)
	v_mul_f64 v[20:21], v[42:43], v[18:19]
	v_mul_f64 v[22:23], v[40:41], v[18:19]
	v_fma_f64 v[20:21], v[40:41], v[16:17], -v[20:21]
	v_fmac_f64_e32 v[22:23], v[42:43], v[16:17]
	v_add_f64 v[38:39], v[38:39], v[20:21]
	v_add_f64 v[36:37], v[22:23], v[36:37]
	ds_read_b128 v[20:23], v31 offset:2064
	s_waitcnt lgkmcnt(0)
	v_mul_f64 v[40:41], v[22:23], v[14:15]
	v_mul_f64 v[14:15], v[20:21], v[14:15]
	v_fmac_f64_e32 v[14:15], v[22:23], v[12:13]
	v_fma_f64 v[40:41], v[20:21], v[12:13], -v[40:41]
	v_add_f64 v[42:43], v[14:15], v[54:55]
	v_mul_f64 v[12:13], v[22:23], v[18:19]
	v_mul_f64 v[14:15], v[20:21], v[18:19]
	v_fma_f64 v[12:13], v[20:21], v[16:17], -v[12:13]
	v_fmac_f64_e32 v[14:15], v[22:23], v[16:17]
	v_add_f64 v[24:25], v[24:25], v[12:13]
	v_add_f64 v[26:27], v[14:15], v[26:27]
	ds_read_b128 v[12:15], v30 offset:1024
	v_add_f64 v[40:41], v[52:53], v[40:41]
	s_waitcnt lgkmcnt(0)
	v_mul_f64 v[16:17], v[46:47], v[14:15]
	v_mul_f64 v[18:19], v[44:45], v[14:15]
	v_fma_f64 v[16:17], v[44:45], v[12:13], -v[16:17]
	v_fmac_f64_e32 v[18:19], v[46:47], v[12:13]
	v_add_f64 v[52:53], v[56:57], v[16:17]
	v_add_f64 v[54:55], v[18:19], v[58:59]
	ds_read_b128 v[16:19], v30 offset:1280
	s_waitcnt lgkmcnt(0)
	v_mul_f64 v[20:21], v[46:47], v[18:19]
	v_mul_f64 v[22:23], v[44:45], v[18:19]
	v_fma_f64 v[20:21], v[44:45], v[16:17], -v[20:21]
	v_fmac_f64_e32 v[22:23], v[46:47], v[16:17]
	v_add_f64 v[38:39], v[38:39], v[20:21]
	v_add_f64 v[36:37], v[22:23], v[36:37]
	ds_read_b128 v[20:23], v31 offset:2080
	s_waitcnt lgkmcnt(0)
	v_mul_f64 v[44:45], v[22:23], v[14:15]
	v_mul_f64 v[14:15], v[20:21], v[14:15]
	v_fmac_f64_e32 v[14:15], v[22:23], v[12:13]
	v_fma_f64 v[44:45], v[20:21], v[12:13], -v[44:45]
	v_add_f64 v[42:43], v[14:15], v[42:43]
	v_mul_f64 v[12:13], v[22:23], v[18:19]
	v_mul_f64 v[14:15], v[20:21], v[18:19]
	v_fma_f64 v[12:13], v[20:21], v[16:17], -v[12:13]
	;; [unrolled: 30-line block ×3, first 2 shown]
	v_fmac_f64_e32 v[14:15], v[22:23], v[16:17]
	v_add_f64 v[24:25], v[24:25], v[12:13]
	v_add_f64 v[26:27], v[14:15], v[26:27]
	ds_read_b128 v[12:15], v31 offset:64
	ds_read_b128 v[16:19], v30 offset:2048
	v_add_f64 v[40:41], v[40:41], v[48:49]
	s_waitcnt lgkmcnt(0)
	v_mul_f64 v[20:21], v[14:15], v[18:19]
	v_mul_f64 v[22:23], v[12:13], v[18:19]
	v_fma_f64 v[20:21], v[12:13], v[16:17], -v[20:21]
	v_fmac_f64_e32 v[22:23], v[14:15], v[16:17]
	v_add_f64 v[44:45], v[44:45], v[20:21]
	v_add_f64 v[46:47], v[22:23], v[46:47]
	ds_read_b128 v[20:23], v30 offset:2304
	s_waitcnt lgkmcnt(0)
	v_mul_f64 v[48:49], v[14:15], v[22:23]
	v_fma_f64 v[48:49], v[12:13], v[20:21], -v[48:49]
	v_mul_f64 v[12:13], v[12:13], v[22:23]
	v_fmac_f64_e32 v[12:13], v[14:15], v[20:21]
	v_add_f64 v[36:37], v[12:13], v[36:37]
	ds_read_b128 v[12:15], v31 offset:2112
	v_add_f64 v[38:39], v[38:39], v[48:49]
	s_waitcnt lgkmcnt(0)
	v_mul_f64 v[48:49], v[14:15], v[18:19]
	v_mul_f64 v[18:19], v[12:13], v[18:19]
	v_fma_f64 v[48:49], v[12:13], v[16:17], -v[48:49]
	v_fmac_f64_e32 v[18:19], v[14:15], v[16:17]
	v_mul_f64 v[16:17], v[14:15], v[22:23]
	v_fma_f64 v[16:17], v[12:13], v[20:21], -v[16:17]
	v_mul_f64 v[12:13], v[12:13], v[22:23]
	v_fmac_f64_e32 v[12:13], v[14:15], v[20:21]
	v_add_f64 v[42:43], v[18:19], v[42:43]
	v_add_f64 v[24:25], v[24:25], v[16:17]
	v_add_f64 v[26:27], v[12:13], v[26:27]
	ds_read_b128 v[12:15], v31 offset:80
	ds_read_b128 v[16:19], v30 offset:2560
	v_add_f64 v[40:41], v[40:41], v[48:49]
	s_waitcnt lgkmcnt(0)
	v_mul_f64 v[20:21], v[14:15], v[18:19]
	v_mul_f64 v[22:23], v[12:13], v[18:19]
	v_fma_f64 v[20:21], v[12:13], v[16:17], -v[20:21]
	v_fmac_f64_e32 v[22:23], v[14:15], v[16:17]
	v_add_f64 v[44:45], v[44:45], v[20:21]
	v_add_f64 v[46:47], v[22:23], v[46:47]
	ds_read_b128 v[20:23], v30 offset:2816
	s_waitcnt lgkmcnt(0)
	v_mul_f64 v[48:49], v[14:15], v[22:23]
	v_fma_f64 v[48:49], v[12:13], v[20:21], -v[48:49]
	v_mul_f64 v[12:13], v[12:13], v[22:23]
	v_fmac_f64_e32 v[12:13], v[14:15], v[20:21]
	v_add_f64 v[36:37], v[12:13], v[36:37]
	ds_read_b128 v[12:15], v31 offset:2128
	v_add_f64 v[38:39], v[38:39], v[48:49]
	s_waitcnt lgkmcnt(0)
	v_mul_f64 v[48:49], v[14:15], v[18:19]
	v_mul_f64 v[18:19], v[12:13], v[18:19]
	v_fma_f64 v[48:49], v[12:13], v[16:17], -v[48:49]
	v_fmac_f64_e32 v[18:19], v[14:15], v[16:17]
	v_mul_f64 v[16:17], v[14:15], v[22:23]
	v_fma_f64 v[16:17], v[12:13], v[20:21], -v[16:17]
	v_mul_f64 v[12:13], v[12:13], v[22:23]
	v_fmac_f64_e32 v[12:13], v[14:15], v[20:21]
	v_add_f64 v[42:43], v[18:19], v[42:43]
	;; [unrolled: 31-line block ×3, first 2 shown]
	ds_read_b128 v[12:15], v31 offset:112
	ds_read_b128 v[20:23], v30 offset:3584
	v_add_f64 v[40:41], v[40:41], v[36:37]
	ds_read_b128 v[36:39], v30 offset:3840
	v_add_f64 v[52:53], v[24:25], v[16:17]
	v_add_f64 v[42:43], v[18:19], v[42:43]
	s_waitcnt lgkmcnt(1)
	v_mul_f64 v[16:17], v[14:15], v[22:23]
	v_fma_f64 v[16:17], v[12:13], v[20:21], -v[16:17]
	v_add_f64 v[24:25], v[44:45], v[16:17]
	s_waitcnt lgkmcnt(0)
	v_mul_f64 v[16:17], v[14:15], v[38:39]
	v_mul_f64 v[18:19], v[12:13], v[22:23]
	v_fma_f64 v[16:17], v[12:13], v[36:37], -v[16:17]
	v_mul_f64 v[12:13], v[12:13], v[38:39]
	v_fmac_f64_e32 v[18:19], v[14:15], v[20:21]
	v_fmac_f64_e32 v[12:13], v[14:15], v[36:37]
	v_add_f64 v[26:27], v[18:19], v[46:47]
	v_add_f64 v[18:19], v[12:13], v[50:51]
	ds_read_b128 v[12:15], v31 offset:2160
	v_add_f64 v[16:17], v[48:49], v[16:17]
	s_waitcnt lgkmcnt(0)
	s_barrier
	v_mul_f64 v[44:45], v[14:15], v[22:23]
	v_fma_f64 v[44:45], v[12:13], v[20:21], -v[44:45]
	v_mul_f64 v[22:23], v[12:13], v[22:23]
	v_fmac_f64_e32 v[22:23], v[14:15], v[20:21]
	v_add_f64 v[20:21], v[40:41], v[44:45]
	v_mul_f64 v[40:41], v[14:15], v[38:39]
	v_fma_f64 v[40:41], v[12:13], v[36:37], -v[40:41]
	v_mul_f64 v[12:13], v[12:13], v[38:39]
	v_fmac_f64_e32 v[12:13], v[14:15], v[36:37]
	v_mov_b64_e32 v[36:37], s[14:15]
	v_cmp_gt_i64_e32 vcc, s[8:9], v[36:37]
	v_add_f64 v[22:23], v[22:23], v[42:43]
	v_add_f64 v[14:15], v[52:53], v[40:41]
	;; [unrolled: 1-line block ×3, first 2 shown]
	s_cbranch_vccz .LBB280_18
.LBB280_8:                              ; =>This Inner Loop Header: Depth=1
	s_mov_b64 s[34:35], s[2:3]
	s_mov_b64 s[20:21], 0
	s_and_saveexec_b64 s[24:25], s[0:1]
	s_cbranch_execnz .LBB280_16
; %bb.9:                                ;   in Loop: Header=BB280_8 Depth=1
	s_or_b64 exec, exec, s[24:25]
	s_and_saveexec_b64 s[24:25], s[34:35]
	s_xor_b64 s[24:25], exec, s[24:25]
	s_cbranch_execnz .LBB280_17
.LBB280_10:                             ;   in Loop: Header=BB280_8 Depth=1
	s_or_b64 exec, exec, s[24:25]
	s_and_saveexec_b64 s[24:25], s[20:21]
	s_cbranch_execz .LBB280_12
.LBB280_11:                             ;   in Loop: Header=BB280_8 Depth=1
	v_mul_lo_u32 v8, s17, v10
	v_mul_lo_u32 v38, s16, v11
	v_mad_u64_u32 v[36:37], s[20:21], s16, v10, 0
	v_add3_u32 v37, v37, v38, v8
	v_lshl_add_u64 v[36:37], v[36:37], 4, v[4:5]
	global_load_dwordx4 v[36:39], v[36:37], off
	s_waitcnt vmcnt(0)
	ds_write2_b64 v28, v[36:37], v[38:39] offset1:1
.LBB280_12:                             ;   in Loop: Header=BB280_8 Depth=1
	s_or_b64 exec, exec, s[24:25]
	v_add_u32_e32 v8, s14, v0
	v_cmp_le_u64_e32 vcc, s[8:9], v[8:9]
	s_or_b64 s[20:21], vcc, s[18:19]
	s_and_saveexec_b64 s[24:25], s[20:21]
	s_xor_b64 s[20:21], exec, s[24:25]
; %bb.13:                               ;   in Loop: Header=BB280_8 Depth=1
	ds_write_b128 v29, v[32:35]
; %bb.14:                               ;   in Loop: Header=BB280_8 Depth=1
	s_andn2_saveexec_b64 s[20:21], s[20:21]
	s_cbranch_execz .LBB280_7
; %bb.15:                               ;   in Loop: Header=BB280_8 Depth=1
	v_mad_u64_u32 v[36:37], s[24:25], s22, v8, 0
	v_mov_b32_e32 v38, v37
	v_mad_u64_u32 v[38:39], s[24:25], s23, v8, v[38:39]
	v_mov_b32_e32 v37, v38
	v_lshl_add_u64 v[36:37], v[36:37], 4, v[6:7]
	global_load_dwordx4 v[36:39], v[36:37], off
	s_waitcnt vmcnt(0)
	ds_write2_b64 v29, v[36:37], v[38:39] offset1:1
	s_branch .LBB280_7
.LBB280_16:                             ;   in Loop: Header=BB280_8 Depth=1
	v_add_u32_e32 v8, s14, v2
	v_cmp_le_u64_e32 vcc, s[8:9], v[8:9]
	s_andn2_b64 s[34:35], s[2:3], exec
	s_and_b64 s[42:43], vcc, exec
	s_mov_b64 s[20:21], exec
	s_or_b64 s[34:35], s[34:35], s[42:43]
	v_mov_b64_e32 v[10:11], v[8:9]
	s_or_b64 exec, exec, s[24:25]
	s_and_saveexec_b64 s[24:25], s[34:35]
	s_xor_b64 s[24:25], exec, s[24:25]
	s_cbranch_execz .LBB280_10
.LBB280_17:                             ;   in Loop: Header=BB280_8 Depth=1
	ds_write_b128 v28, v[32:35]
	s_andn2_b64 s[20:21], s[20:21], exec
	s_or_b64 exec, exec, s[24:25]
	s_and_saveexec_b64 s[24:25], s[20:21]
	s_cbranch_execnz .LBB280_11
	s_branch .LBB280_12
.LBB280_18:
	s_waitcnt lgkmcnt(0)
	s_mul_i32 s0, s39, s4
	s_mul_hi_u32 s1, s38, s4
	s_add_i32 s1, s1, s0
	s_mul_i32 s0, s38, s4
	s_lshl_b64 s[0:1], s[0:1], 4
	v_add_u32_e32 v10, s40, v3
	s_add_u32 s8, s30, s0
	v_ashrrev_i32_e32 v0, 31, v10
	s_addc_u32 s9, s31, s1
	v_add_u32_e32 v4, s5, v1
	v_cmp_neq_f64_e64 s[0:1], s[26:27], 0
	s_xor_b64 s[4:5], s[6:7], -1
	v_mul_lo_u32 v2, s36, v0
	v_mul_lo_u32 v3, s37, v10
	v_mad_u64_u32 v[0:1], s[2:3], s36, v10, 0
	v_add3_u32 v1, v1, v2, v3
	s_or_b64 s[0:1], s[0:1], s[4:5]
	v_lshl_add_u64 v[8:9], v[0:1], 4, s[8:9]
	v_cmp_le_i32_e32 vcc, v10, v4
	v_cmp_gt_i32_e64 s[2:3], s33, v4
	v_cndmask_b32_e64 v0, 0, 1, s[0:1]
	s_and_b64 s[6:7], vcc, s[2:3]
	v_ashrrev_i32_e32 v5, 31, v4
	v_cmp_ne_u32_e64 s[0:1], 1, v0
	s_and_saveexec_b64 s[4:5], s[6:7]
	s_cbranch_execz .LBB280_22
; %bb.19:
	v_mul_f64 v[0:1], s[12:13], v[26:27]
	v_mul_f64 v[2:3], s[10:11], v[26:27]
	v_fma_f64 v[0:1], s[10:11], v[24:25], -v[0:1]
	v_fmac_f64_e32 v[2:3], s[12:13], v[24:25]
	s_and_b64 vcc, exec, s[0:1]
	v_lshl_add_u64 v[6:7], v[4:5], 4, v[8:9]
	s_cbranch_vccnz .LBB280_21
; %bb.20:
	global_load_dwordx4 v[24:27], v[6:7], off
	s_waitcnt vmcnt(0)
	v_mul_f64 v[28:29], s[28:29], v[26:27]
	v_mul_f64 v[26:27], s[26:27], v[26:27]
	v_fma_f64 v[28:29], s[26:27], v[24:25], -v[28:29]
	v_fmac_f64_e32 v[26:27], s[28:29], v[24:25]
	v_add_f64 v[0:1], v[0:1], v[28:29]
	v_add_f64 v[2:3], v[2:3], v[26:27]
.LBB280_21:
	global_store_dwordx4 v[6:7], v[0:3], off
.LBB280_22:
	s_or_b64 exec, exec, s[4:5]
	v_add_u32_e32 v6, 16, v4
	v_cmp_le_i32_e32 vcc, v10, v6
	v_cmp_gt_i32_e64 s[4:5], s33, v6
	s_and_b64 s[14:15], vcc, s[4:5]
	v_ashrrev_i32_e32 v7, 31, v6
	s_and_saveexec_b64 s[6:7], s[14:15]
	s_cbranch_execz .LBB280_26
; %bb.23:
	v_mul_f64 v[0:1], s[12:13], v[18:19]
	v_mul_f64 v[2:3], s[10:11], v[18:19]
	v_fma_f64 v[0:1], s[10:11], v[16:17], -v[0:1]
	v_fmac_f64_e32 v[2:3], s[12:13], v[16:17]
	s_and_b64 vcc, exec, s[0:1]
	v_lshl_add_u64 v[8:9], v[6:7], 4, v[8:9]
	s_cbranch_vccnz .LBB280_25
; %bb.24:
	global_load_dwordx4 v[16:19], v[8:9], off
	s_waitcnt vmcnt(0)
	v_mul_f64 v[24:25], s[28:29], v[18:19]
	v_mul_f64 v[18:19], s[26:27], v[18:19]
	v_fma_f64 v[24:25], s[26:27], v[16:17], -v[24:25]
	v_fmac_f64_e32 v[18:19], s[28:29], v[16:17]
	v_add_f64 v[0:1], v[0:1], v[24:25]
	v_add_f64 v[2:3], v[2:3], v[18:19]
.LBB280_25:
	global_store_dwordx4 v[8:9], v[0:3], off
.LBB280_26:
	s_or_b64 exec, exec, s[6:7]
	v_add_u32_e32 v10, 16, v10
	v_ashrrev_i32_e32 v0, 31, v10
	v_mul_lo_u32 v2, s36, v0
	v_mul_lo_u32 v3, s37, v10
	v_mad_u64_u32 v[0:1], s[6:7], s36, v10, 0
	v_add3_u32 v1, v1, v2, v3
	v_cmp_le_i32_e32 vcc, v10, v4
	v_lshl_add_u64 v[8:9], v[0:1], 4, s[8:9]
	s_and_b64 s[6:7], vcc, s[2:3]
	s_and_saveexec_b64 s[2:3], s[6:7]
	s_cbranch_execz .LBB280_30
; %bb.27:
	v_mul_f64 v[0:1], s[12:13], v[22:23]
	v_mul_f64 v[2:3], s[10:11], v[22:23]
	v_fma_f64 v[0:1], s[10:11], v[20:21], -v[0:1]
	v_fmac_f64_e32 v[2:3], s[12:13], v[20:21]
	s_and_b64 vcc, exec, s[0:1]
	v_lshl_add_u64 v[4:5], v[4:5], 4, v[8:9]
	s_cbranch_vccnz .LBB280_29
; %bb.28:
	global_load_dwordx4 v[16:19], v[4:5], off
	s_waitcnt vmcnt(0)
	v_mul_f64 v[20:21], s[28:29], v[18:19]
	v_mul_f64 v[18:19], s[26:27], v[18:19]
	v_fma_f64 v[20:21], s[26:27], v[16:17], -v[20:21]
	v_fmac_f64_e32 v[18:19], s[28:29], v[16:17]
	v_add_f64 v[0:1], v[0:1], v[20:21]
	v_add_f64 v[2:3], v[2:3], v[18:19]
.LBB280_29:
	global_store_dwordx4 v[4:5], v[0:3], off
.LBB280_30:
	s_or_b64 exec, exec, s[2:3]
	v_cmp_le_i32_e32 vcc, v10, v6
	s_and_b64 s[2:3], vcc, s[4:5]
	s_and_saveexec_b64 s[4:5], s[2:3]
	s_cbranch_execz .LBB280_34
; %bb.31:
	v_mul_f64 v[0:1], s[12:13], v[12:13]
	v_mul_f64 v[2:3], s[10:11], v[12:13]
	v_fma_f64 v[0:1], s[10:11], v[14:15], -v[0:1]
	v_fmac_f64_e32 v[2:3], s[12:13], v[14:15]
	s_and_b64 vcc, exec, s[0:1]
	v_lshl_add_u64 v[4:5], v[6:7], 4, v[8:9]
	s_cbranch_vccnz .LBB280_33
; %bb.32:
	global_load_dwordx4 v[6:9], v[4:5], off
	s_waitcnt vmcnt(0)
	v_mul_f64 v[10:11], s[28:29], v[8:9]
	v_mul_f64 v[8:9], s[26:27], v[8:9]
	v_fma_f64 v[10:11], s[26:27], v[6:7], -v[10:11]
	v_fmac_f64_e32 v[8:9], s[28:29], v[6:7]
	v_add_f64 v[0:1], v[0:1], v[10:11]
	v_add_f64 v[2:3], v[2:3], v[8:9]
.LBB280_33:
	global_store_dwordx4 v[4:5], v[0:3], off
.LBB280_34:
	s_endpgm
	.section	.rodata,"a",@progbits
	.p2align	6, 0x0
	.amdhsa_kernel _ZL29rocblas_internal_gemmt_kernelIlLi16ELi32ELi8ELc78ELc84ELc76ELb0ELb0E19rocblas_complex_numIdES1_PKS1_PS1_EviT_T9_T10_S5_lS7_S5_lS6_T11_S5_li
		.amdhsa_group_segment_fixed_size 8192
		.amdhsa_private_segment_fixed_size 0
		.amdhsa_kernarg_size 124
		.amdhsa_user_sgpr_count 2
		.amdhsa_user_sgpr_dispatch_ptr 0
		.amdhsa_user_sgpr_queue_ptr 0
		.amdhsa_user_sgpr_kernarg_segment_ptr 1
		.amdhsa_user_sgpr_dispatch_id 0
		.amdhsa_user_sgpr_kernarg_preload_length 0
		.amdhsa_user_sgpr_kernarg_preload_offset 0
		.amdhsa_user_sgpr_private_segment_size 0
		.amdhsa_uses_dynamic_stack 0
		.amdhsa_enable_private_segment 0
		.amdhsa_system_sgpr_workgroup_id_x 1
		.amdhsa_system_sgpr_workgroup_id_y 1
		.amdhsa_system_sgpr_workgroup_id_z 1
		.amdhsa_system_sgpr_workgroup_info 0
		.amdhsa_system_vgpr_workitem_id 1
		.amdhsa_next_free_vgpr 62
		.amdhsa_next_free_sgpr 44
		.amdhsa_accum_offset 64
		.amdhsa_reserve_vcc 1
		.amdhsa_float_round_mode_32 0
		.amdhsa_float_round_mode_16_64 0
		.amdhsa_float_denorm_mode_32 3
		.amdhsa_float_denorm_mode_16_64 3
		.amdhsa_dx10_clamp 1
		.amdhsa_ieee_mode 1
		.amdhsa_fp16_overflow 0
		.amdhsa_tg_split 0
		.amdhsa_exception_fp_ieee_invalid_op 0
		.amdhsa_exception_fp_denorm_src 0
		.amdhsa_exception_fp_ieee_div_zero 0
		.amdhsa_exception_fp_ieee_overflow 0
		.amdhsa_exception_fp_ieee_underflow 0
		.amdhsa_exception_fp_ieee_inexact 0
		.amdhsa_exception_int_div_zero 0
	.end_amdhsa_kernel
	.section	.text._ZL29rocblas_internal_gemmt_kernelIlLi16ELi32ELi8ELc78ELc84ELc76ELb0ELb0E19rocblas_complex_numIdES1_PKS1_PS1_EviT_T9_T10_S5_lS7_S5_lS6_T11_S5_li,"axG",@progbits,_ZL29rocblas_internal_gemmt_kernelIlLi16ELi32ELi8ELc78ELc84ELc76ELb0ELb0E19rocblas_complex_numIdES1_PKS1_PS1_EviT_T9_T10_S5_lS7_S5_lS6_T11_S5_li,comdat
.Lfunc_end280:
	.size	_ZL29rocblas_internal_gemmt_kernelIlLi16ELi32ELi8ELc78ELc84ELc76ELb0ELb0E19rocblas_complex_numIdES1_PKS1_PS1_EviT_T9_T10_S5_lS7_S5_lS6_T11_S5_li, .Lfunc_end280-_ZL29rocblas_internal_gemmt_kernelIlLi16ELi32ELi8ELc78ELc84ELc76ELb0ELb0E19rocblas_complex_numIdES1_PKS1_PS1_EviT_T9_T10_S5_lS7_S5_lS6_T11_S5_li
                                        ; -- End function
	.set _ZL29rocblas_internal_gemmt_kernelIlLi16ELi32ELi8ELc78ELc84ELc76ELb0ELb0E19rocblas_complex_numIdES1_PKS1_PS1_EviT_T9_T10_S5_lS7_S5_lS6_T11_S5_li.num_vgpr, 62
	.set _ZL29rocblas_internal_gemmt_kernelIlLi16ELi32ELi8ELc78ELc84ELc76ELb0ELb0E19rocblas_complex_numIdES1_PKS1_PS1_EviT_T9_T10_S5_lS7_S5_lS6_T11_S5_li.num_agpr, 0
	.set _ZL29rocblas_internal_gemmt_kernelIlLi16ELi32ELi8ELc78ELc84ELc76ELb0ELb0E19rocblas_complex_numIdES1_PKS1_PS1_EviT_T9_T10_S5_lS7_S5_lS6_T11_S5_li.numbered_sgpr, 44
	.set _ZL29rocblas_internal_gemmt_kernelIlLi16ELi32ELi8ELc78ELc84ELc76ELb0ELb0E19rocblas_complex_numIdES1_PKS1_PS1_EviT_T9_T10_S5_lS7_S5_lS6_T11_S5_li.num_named_barrier, 0
	.set _ZL29rocblas_internal_gemmt_kernelIlLi16ELi32ELi8ELc78ELc84ELc76ELb0ELb0E19rocblas_complex_numIdES1_PKS1_PS1_EviT_T9_T10_S5_lS7_S5_lS6_T11_S5_li.private_seg_size, 0
	.set _ZL29rocblas_internal_gemmt_kernelIlLi16ELi32ELi8ELc78ELc84ELc76ELb0ELb0E19rocblas_complex_numIdES1_PKS1_PS1_EviT_T9_T10_S5_lS7_S5_lS6_T11_S5_li.uses_vcc, 1
	.set _ZL29rocblas_internal_gemmt_kernelIlLi16ELi32ELi8ELc78ELc84ELc76ELb0ELb0E19rocblas_complex_numIdES1_PKS1_PS1_EviT_T9_T10_S5_lS7_S5_lS6_T11_S5_li.uses_flat_scratch, 0
	.set _ZL29rocblas_internal_gemmt_kernelIlLi16ELi32ELi8ELc78ELc84ELc76ELb0ELb0E19rocblas_complex_numIdES1_PKS1_PS1_EviT_T9_T10_S5_lS7_S5_lS6_T11_S5_li.has_dyn_sized_stack, 0
	.set _ZL29rocblas_internal_gemmt_kernelIlLi16ELi32ELi8ELc78ELc84ELc76ELb0ELb0E19rocblas_complex_numIdES1_PKS1_PS1_EviT_T9_T10_S5_lS7_S5_lS6_T11_S5_li.has_recursion, 0
	.set _ZL29rocblas_internal_gemmt_kernelIlLi16ELi32ELi8ELc78ELc84ELc76ELb0ELb0E19rocblas_complex_numIdES1_PKS1_PS1_EviT_T9_T10_S5_lS7_S5_lS6_T11_S5_li.has_indirect_call, 0
	.section	.AMDGPU.csdata,"",@progbits
; Kernel info:
; codeLenInByte = 3232
; TotalNumSgprs: 50
; NumVgprs: 62
; NumAgprs: 0
; TotalNumVgprs: 62
; ScratchSize: 0
; MemoryBound: 0
; FloatMode: 240
; IeeeMode: 1
; LDSByteSize: 8192 bytes/workgroup (compile time only)
; SGPRBlocks: 6
; VGPRBlocks: 7
; NumSGPRsForWavesPerEU: 50
; NumVGPRsForWavesPerEU: 62
; AccumOffset: 64
; Occupancy: 8
; WaveLimiterHint : 0
; COMPUTE_PGM_RSRC2:SCRATCH_EN: 0
; COMPUTE_PGM_RSRC2:USER_SGPR: 2
; COMPUTE_PGM_RSRC2:TRAP_HANDLER: 0
; COMPUTE_PGM_RSRC2:TGID_X_EN: 1
; COMPUTE_PGM_RSRC2:TGID_Y_EN: 1
; COMPUTE_PGM_RSRC2:TGID_Z_EN: 1
; COMPUTE_PGM_RSRC2:TIDIG_COMP_CNT: 1
; COMPUTE_PGM_RSRC3_GFX90A:ACCUM_OFFSET: 15
; COMPUTE_PGM_RSRC3_GFX90A:TG_SPLIT: 0
	.section	.text._ZL29rocblas_internal_gemmt_kernelIlLi16ELi32ELi8ELc78ELc67ELc76ELb0ELb1E19rocblas_complex_numIdES1_PKS1_PS1_EviT_T9_T10_S5_lS7_S5_lS6_T11_S5_li,"axG",@progbits,_ZL29rocblas_internal_gemmt_kernelIlLi16ELi32ELi8ELc78ELc67ELc76ELb0ELb1E19rocblas_complex_numIdES1_PKS1_PS1_EviT_T9_T10_S5_lS7_S5_lS6_T11_S5_li,comdat
	.globl	_ZL29rocblas_internal_gemmt_kernelIlLi16ELi32ELi8ELc78ELc67ELc76ELb0ELb1E19rocblas_complex_numIdES1_PKS1_PS1_EviT_T9_T10_S5_lS7_S5_lS6_T11_S5_li ; -- Begin function _ZL29rocblas_internal_gemmt_kernelIlLi16ELi32ELi8ELc78ELc67ELc76ELb0ELb1E19rocblas_complex_numIdES1_PKS1_PS1_EviT_T9_T10_S5_lS7_S5_lS6_T11_S5_li
	.p2align	8
	.type	_ZL29rocblas_internal_gemmt_kernelIlLi16ELi32ELi8ELc78ELc67ELc76ELb0ELb1E19rocblas_complex_numIdES1_PKS1_PS1_EviT_T9_T10_S5_lS7_S5_lS6_T11_S5_li,@function
_ZL29rocblas_internal_gemmt_kernelIlLi16ELi32ELi8ELc78ELc67ELc76ELb0ELb1E19rocblas_complex_numIdES1_PKS1_PS1_EviT_T9_T10_S5_lS7_S5_lS6_T11_S5_li: ; @_ZL29rocblas_internal_gemmt_kernelIlLi16ELi32ELi8ELc78ELc67ELc76ELb0ELb1E19rocblas_complex_numIdES1_PKS1_PS1_EviT_T9_T10_S5_lS7_S5_lS6_T11_S5_li
; %bb.0:
	s_load_dwordx8 s[24:31], s[0:1], 0x48
	s_load_dwordx16 s[8:23], s[0:1], 0x8
	s_mov_b64 s[34:35], 0
	s_waitcnt lgkmcnt(0)
	v_cmp_eq_f64_e64 s[36:37], s[26:27], 1.0
	v_cmp_eq_f64_e64 s[6:7], s[28:29], 0
	s_and_b64 s[36:37], s[36:37], s[6:7]
	s_andn2_b64 vcc, exec, s[36:37]
	s_mov_b64 s[36:37], -1
	s_cbranch_vccnz .LBB281_4
; %bb.1:
	s_cmp_lg_u64 s[8:9], 0
	s_cbranch_scc0 .LBB281_3
; %bb.2:
	v_cmp_neq_f64_e64 s[34:35], s[10:11], 0
	v_cmp_neq_f64_e64 s[36:37], s[12:13], 0
	s_or_b64 s[34:35], s[34:35], s[36:37]
.LBB281_3:
	s_mov_b64 s[36:37], s[34:35]
.LBB281_4:
	s_and_b64 vcc, exec, s[36:37]
	s_cbranch_vccz .LBB281_32
; %bb.5:
	s_load_dwordx4 s[36:39], s[0:1], 0x68
	s_load_dword s33, s[0:1], 0x0
	s_lshl_b32 s5, s2, 5
	s_lshl_b32 s40, s3, 5
	v_cmp_eq_f64_e64 s[0:1], s[10:11], 0
	v_cmp_eq_f64_e64 s[2:3], s[12:13], 0
	s_and_b64 s[0:1], s[0:1], s[2:3]
	v_cmp_lt_i64_e64 s[2:3], s[8:9], 1
	s_or_b64 s[0:1], s[0:1], s[2:3]
	v_and_b32_e32 v5, 0x3ff, v0
	v_bfe_u32 v7, v0, 10, 10
	v_mov_b64_e32 v[28:29], 0
	s_and_b64 vcc, exec, s[0:1]
	v_mov_b64_e32 v[30:31], 0
	v_mov_b64_e32 v[24:25], 0
	;; [unrolled: 1-line block ×7, first 2 shown]
	s_cbranch_vccnz .LBB281_16
; %bb.6:
	s_mul_i32 s0, s25, s4
	s_mul_hi_u32 s1, s24, s4
	s_add_i32 s1, s1, s0
	s_mul_i32 s0, s24, s4
	s_lshl_b64 s[0:1], s[0:1], 4
	v_lshl_add_u32 v1, v7, 4, v5
	s_add_u32 s20, s20, s0
	v_lshrrev_b32_e32 v6, 5, v1
	v_lshrrev_b32_e32 v10, 3, v1
	v_and_b32_e32 v1, 31, v1
	s_addc_u32 s21, s21, s1
	s_mul_i32 s0, s19, s4
	s_mul_hi_u32 s1, s18, s4
	v_and_b32_e32 v4, 7, v5
	v_or_b32_e32 v2, s5, v1
	s_add_i32 s1, s1, s0
	s_mul_i32 s0, s18, s4
	v_lshlrev_b32_e32 v1, 4, v1
	s_lshl_b64 s[0:1], s[0:1], 4
	v_lshl_or_b32 v32, v6, 9, v1
	v_lshlrev_b32_e32 v1, 4, v4
	v_add_u32_e32 v0, s40, v10
	s_add_u32 s2, s14, s0
	v_lshl_or_b32 v1, v10, 7, v1
	s_addc_u32 s3, s15, s1
	v_ashrrev_i32_e32 v3, 31, v2
	v_add_u32_e32 v33, 0x1000, v1
	v_ashrrev_i32_e32 v1, 31, v0
	v_lshl_add_u64 v[8:9], v[2:3], 4, s[2:3]
	s_waitcnt lgkmcnt(0)
	v_cmp_gt_i32_e64 s[2:3], s33, v0
	v_lshl_add_u64 v[10:11], v[0:1], 4, s[20:21]
	v_mov_b32_e32 v0, 0x1000
	v_mov_b32_e32 v13, 0
	v_cmp_gt_i32_e64 s[0:1], s33, v2
	v_cmp_le_i32_e64 s[14:15], s33, v2
	v_lshlrev_b32_e32 v34, 4, v5
	v_lshl_add_u32 v35, v7, 7, v0
	v_mov_b64_e32 v[16:17], 0
	s_mov_b64 s[18:19], 0
	v_mov_b32_e32 v36, v13
	v_mov_b32_e32 v37, v13
	;; [unrolled: 1-line block ×4, first 2 shown]
	v_mov_b64_e32 v[18:19], 0
	v_mov_b64_e32 v[22:23], 0
	;; [unrolled: 1-line block ×7, first 2 shown]
                                        ; implicit-def: $vgpr14_vgpr15
	s_branch .LBB281_8
.LBB281_7:                              ;   in Loop: Header=BB281_8 Depth=1
	s_or_b64 exec, exec, s[20:21]
	ds_write_b128 v33, v[0:3]
	s_waitcnt lgkmcnt(0)
	s_barrier
	ds_read_b128 v[0:3], v34
	ds_read_b128 v[40:43], v35
	ds_read_b128 v[44:47], v35 offset:16
	ds_read_b128 v[48:51], v35 offset:32
	;; [unrolled: 1-line block ×4, first 2 shown]
	s_waitcnt lgkmcnt(4)
	v_mul_f64 v[60:61], v[42:43], v[2:3]
	v_fma_f64 v[60:61], v[40:41], v[0:1], -v[60:61]
	v_mul_f64 v[62:63], v[40:41], v[2:3]
	v_fmac_f64_e32 v[62:63], v[42:43], v[0:1]
	v_add_f64 v[60:61], v[28:29], v[60:61]
	s_waitcnt lgkmcnt(0)
	v_mul_f64 v[28:29], v[42:43], v[58:59]
	v_add_f64 v[62:63], v[62:63], v[30:31]
	v_fma_f64 v[64:65], v[40:41], v[56:57], -v[28:29]
	ds_read_b128 v[28:31], v35 offset:2048
	v_mul_f64 v[40:41], v[40:41], v[58:59]
	v_fmac_f64_e32 v[40:41], v[42:43], v[56:57]
	v_add_f64 v[42:43], v[24:25], v[64:65]
	v_add_f64 v[40:41], v[40:41], v[26:27]
	ds_read_b128 v[24:27], v35 offset:2064
	s_waitcnt lgkmcnt(1)
	v_mul_f64 v[64:65], v[30:31], v[2:3]
	v_mul_f64 v[2:3], v[28:29], v[2:3]
	v_fma_f64 v[64:65], v[28:29], v[0:1], -v[64:65]
	v_fmac_f64_e32 v[2:3], v[30:31], v[0:1]
	v_mul_f64 v[0:1], v[30:31], v[58:59]
	v_add_f64 v[20:21], v[20:21], v[64:65]
	v_add_f64 v[22:23], v[2:3], v[22:23]
	v_fma_f64 v[64:65], v[28:29], v[56:57], -v[0:1]
	v_mul_f64 v[28:29], v[28:29], v[58:59]
	ds_read_b128 v[0:3], v34 offset:512
	v_fmac_f64_e32 v[28:29], v[30:31], v[56:57]
	v_add_f64 v[30:31], v[18:19], v[64:65]
	v_add_f64 v[28:29], v[28:29], v[16:17]
	ds_read_b128 v[16:19], v34 offset:768
	s_waitcnt lgkmcnt(1)
	v_mul_f64 v[56:57], v[46:47], v[2:3]
	v_fma_f64 v[56:57], v[44:45], v[0:1], -v[56:57]
	v_add_f64 v[56:57], v[60:61], v[56:57]
	v_mul_f64 v[58:59], v[44:45], v[2:3]
	s_waitcnt lgkmcnt(0)
	v_mul_f64 v[60:61], v[46:47], v[18:19]
	v_fma_f64 v[60:61], v[44:45], v[16:17], -v[60:61]
	v_mul_f64 v[44:45], v[44:45], v[18:19]
	v_fmac_f64_e32 v[44:45], v[46:47], v[16:17]
	v_add_f64 v[40:41], v[44:45], v[40:41]
	v_mul_f64 v[44:45], v[26:27], v[2:3]
	v_mul_f64 v[2:3], v[24:25], v[2:3]
	v_fmac_f64_e32 v[58:59], v[46:47], v[0:1]
	v_fma_f64 v[44:45], v[24:25], v[0:1], -v[44:45]
	v_fmac_f64_e32 v[2:3], v[26:27], v[0:1]
	v_mul_f64 v[0:1], v[26:27], v[18:19]
	v_add_f64 v[44:45], v[20:21], v[44:45]
	v_add_f64 v[46:47], v[2:3], v[22:23]
	v_fma_f64 v[20:21], v[24:25], v[16:17], -v[0:1]
	v_mul_f64 v[18:19], v[24:25], v[18:19]
	ds_read_b128 v[0:3], v34 offset:1024
	v_fmac_f64_e32 v[18:19], v[26:27], v[16:17]
	v_add_f64 v[28:29], v[18:19], v[28:29]
	ds_read_b128 v[16:19], v34 offset:1280
	v_add_f64 v[30:31], v[30:31], v[20:21]
	s_waitcnt lgkmcnt(1)
	v_mul_f64 v[20:21], v[50:51], v[2:3]
	v_fma_f64 v[20:21], v[48:49], v[0:1], -v[20:21]
	v_mul_f64 v[22:23], v[48:49], v[2:3]
	v_add_f64 v[58:59], v[58:59], v[62:63]
	v_fmac_f64_e32 v[22:23], v[50:51], v[0:1]
	v_add_f64 v[56:57], v[56:57], v[20:21]
	s_waitcnt lgkmcnt(0)
	v_mul_f64 v[20:21], v[50:51], v[18:19]
	v_add_f64 v[58:59], v[22:23], v[58:59]
	v_fma_f64 v[24:25], v[48:49], v[16:17], -v[20:21]
	ds_read_b128 v[20:23], v35 offset:2080
	v_mul_f64 v[26:27], v[48:49], v[18:19]
	v_add_f64 v[42:43], v[42:43], v[60:61]
	v_fmac_f64_e32 v[26:27], v[50:51], v[16:17]
	v_add_f64 v[42:43], v[42:43], v[24:25]
	v_add_f64 v[40:41], v[26:27], v[40:41]
	ds_read_b128 v[24:27], v35 offset:2096
	s_waitcnt lgkmcnt(1)
	v_mul_f64 v[48:49], v[22:23], v[2:3]
	v_mul_f64 v[2:3], v[20:21], v[2:3]
	v_fma_f64 v[48:49], v[20:21], v[0:1], -v[48:49]
	v_fmac_f64_e32 v[2:3], v[22:23], v[0:1]
	v_mul_f64 v[0:1], v[22:23], v[18:19]
	v_mul_f64 v[18:19], v[20:21], v[18:19]
	v_fmac_f64_e32 v[18:19], v[22:23], v[16:17]
	v_add_f64 v[44:45], v[44:45], v[48:49]
	v_add_f64 v[46:47], v[2:3], v[46:47]
	v_fma_f64 v[48:49], v[20:21], v[16:17], -v[0:1]
	ds_read_b128 v[0:3], v34 offset:1536
	v_add_f64 v[22:23], v[18:19], v[28:29]
	ds_read_b128 v[16:19], v34 offset:1792
	v_add_f64 v[20:21], v[30:31], v[48:49]
	s_add_u32 s18, s18, 8
	s_waitcnt lgkmcnt(1)
	v_mul_f64 v[28:29], v[54:55], v[2:3]
	v_mul_f64 v[30:31], v[52:53], v[2:3]
	s_waitcnt lgkmcnt(0)
	v_mul_f64 v[48:49], v[54:55], v[18:19]
	v_fma_f64 v[48:49], v[52:53], v[16:17], -v[48:49]
	v_add_f64 v[42:43], v[42:43], v[48:49]
	v_mul_f64 v[48:49], v[26:27], v[2:3]
	v_mul_f64 v[2:3], v[24:25], v[2:3]
	v_fma_f64 v[28:29], v[52:53], v[0:1], -v[28:29]
	v_fmac_f64_e32 v[30:31], v[54:55], v[0:1]
	v_fma_f64 v[48:49], v[24:25], v[0:1], -v[48:49]
	v_fmac_f64_e32 v[2:3], v[26:27], v[0:1]
	v_mul_f64 v[0:1], v[26:27], v[18:19]
	v_mul_f64 v[50:51], v[52:53], v[18:19]
	v_add_f64 v[44:45], v[44:45], v[48:49]
	v_fma_f64 v[48:49], v[24:25], v[16:17], -v[0:1]
	v_mul_f64 v[24:25], v[24:25], v[18:19]
	v_fmac_f64_e32 v[50:51], v[54:55], v[16:17]
	v_add_f64 v[46:47], v[2:3], v[46:47]
	v_fmac_f64_e32 v[24:25], v[26:27], v[16:17]
	ds_read_b128 v[0:3], v35 offset:64
	ds_read_b128 v[16:19], v34 offset:2048
	v_add_f64 v[40:41], v[50:51], v[40:41]
	v_add_f64 v[48:49], v[20:21], v[48:49]
	;; [unrolled: 1-line block ×3, first 2 shown]
	ds_read_b128 v[20:23], v34 offset:2304
	ds_read_b128 v[24:27], v35 offset:80
	s_waitcnt lgkmcnt(2)
	v_mul_f64 v[52:53], v[2:3], v[18:19]
	v_add_f64 v[28:29], v[56:57], v[28:29]
	v_fma_f64 v[52:53], v[0:1], v[16:17], -v[52:53]
	v_mul_f64 v[54:55], v[0:1], v[18:19]
	v_add_f64 v[30:31], v[30:31], v[58:59]
	v_fmac_f64_e32 v[54:55], v[2:3], v[16:17]
	v_add_f64 v[52:53], v[28:29], v[52:53]
	s_waitcnt lgkmcnt(1)
	v_mul_f64 v[28:29], v[2:3], v[22:23]
	v_add_f64 v[54:55], v[54:55], v[30:31]
	v_fma_f64 v[56:57], v[0:1], v[20:21], -v[28:29]
	ds_read_b128 v[28:31], v35 offset:2112
	v_mul_f64 v[0:1], v[0:1], v[22:23]
	v_fmac_f64_e32 v[0:1], v[2:3], v[20:21]
	v_add_f64 v[42:43], v[42:43], v[56:57]
	v_add_f64 v[40:41], v[0:1], v[40:41]
	ds_read_b128 v[0:3], v35 offset:2128
	s_waitcnt lgkmcnt(1)
	v_mul_f64 v[56:57], v[30:31], v[18:19]
	v_mul_f64 v[18:19], v[28:29], v[18:19]
	v_fma_f64 v[56:57], v[28:29], v[16:17], -v[56:57]
	v_fmac_f64_e32 v[18:19], v[30:31], v[16:17]
	v_mul_f64 v[16:17], v[30:31], v[22:23]
	v_add_f64 v[44:45], v[44:45], v[56:57]
	v_add_f64 v[46:47], v[18:19], v[46:47]
	v_fma_f64 v[56:57], v[28:29], v[20:21], -v[16:17]
	v_mul_f64 v[22:23], v[28:29], v[22:23]
	ds_read_b128 v[16:19], v34 offset:2560
	v_fmac_f64_e32 v[22:23], v[30:31], v[20:21]
	v_add_f64 v[30:31], v[22:23], v[50:51]
	ds_read_b128 v[20:23], v34 offset:2816
	v_add_f64 v[28:29], v[48:49], v[56:57]
	s_waitcnt lgkmcnt(1)
	v_mul_f64 v[48:49], v[26:27], v[18:19]
	v_fma_f64 v[48:49], v[24:25], v[16:17], -v[48:49]
	v_add_f64 v[48:49], v[52:53], v[48:49]
	s_waitcnt lgkmcnt(0)
	v_mul_f64 v[52:53], v[26:27], v[22:23]
	v_mul_f64 v[50:51], v[24:25], v[18:19]
	v_fma_f64 v[52:53], v[24:25], v[20:21], -v[52:53]
	v_mul_f64 v[24:25], v[24:25], v[22:23]
	v_fmac_f64_e32 v[24:25], v[26:27], v[20:21]
	v_add_f64 v[40:41], v[24:25], v[40:41]
	v_mul_f64 v[24:25], v[2:3], v[18:19]
	v_mul_f64 v[18:19], v[0:1], v[18:19]
	v_fmac_f64_e32 v[50:51], v[26:27], v[16:17]
	v_fma_f64 v[24:25], v[0:1], v[16:17], -v[24:25]
	v_fmac_f64_e32 v[18:19], v[2:3], v[16:17]
	v_mul_f64 v[16:17], v[2:3], v[22:23]
	v_mul_f64 v[22:23], v[0:1], v[22:23]
	v_add_f64 v[44:45], v[44:45], v[24:25]
	v_add_f64 v[46:47], v[18:19], v[46:47]
	v_fma_f64 v[24:25], v[0:1], v[20:21], -v[16:17]
	v_fmac_f64_e32 v[22:23], v[2:3], v[20:21]
	ds_read_b128 v[0:3], v35 offset:96
	ds_read_b128 v[16:19], v34 offset:3072
	v_add_f64 v[50:51], v[50:51], v[54:55]
	v_add_f64 v[42:43], v[42:43], v[52:53]
	;; [unrolled: 1-line block ×4, first 2 shown]
	ds_read_b128 v[20:23], v34 offset:3328
	ds_read_b128 v[24:27], v35 offset:112
	s_waitcnt lgkmcnt(2)
	v_mul_f64 v[28:29], v[2:3], v[18:19]
	v_fma_f64 v[28:29], v[0:1], v[16:17], -v[28:29]
	v_mul_f64 v[30:31], v[0:1], v[18:19]
	v_fmac_f64_e32 v[30:31], v[2:3], v[16:17]
	v_add_f64 v[48:49], v[48:49], v[28:29]
	s_waitcnt lgkmcnt(1)
	v_mul_f64 v[28:29], v[2:3], v[22:23]
	v_add_f64 v[50:51], v[30:31], v[50:51]
	v_fma_f64 v[56:57], v[0:1], v[20:21], -v[28:29]
	ds_read_b128 v[28:31], v35 offset:2144
	v_mul_f64 v[0:1], v[0:1], v[22:23]
	v_fmac_f64_e32 v[0:1], v[2:3], v[20:21]
	v_add_f64 v[58:59], v[0:1], v[40:41]
	ds_read_b128 v[0:3], v35 offset:2160
	s_waitcnt lgkmcnt(1)
	v_mul_f64 v[40:41], v[30:31], v[18:19]
	v_mul_f64 v[18:19], v[28:29], v[18:19]
	v_fma_f64 v[40:41], v[28:29], v[16:17], -v[40:41]
	v_fmac_f64_e32 v[18:19], v[30:31], v[16:17]
	v_mul_f64 v[16:17], v[30:31], v[22:23]
	v_add_f64 v[44:45], v[44:45], v[40:41]
	v_add_f64 v[46:47], v[18:19], v[46:47]
	v_fma_f64 v[40:41], v[28:29], v[20:21], -v[16:17]
	ds_read_b128 v[16:19], v34 offset:3584
	v_add_f64 v[56:57], v[42:43], v[56:57]
	v_add_f64 v[52:53], v[52:53], v[40:41]
	ds_read_b128 v[40:43], v34 offset:3840
	v_mul_f64 v[22:23], v[28:29], v[22:23]
	v_fmac_f64_e32 v[22:23], v[30:31], v[20:21]
	s_waitcnt lgkmcnt(1)
	v_mul_f64 v[20:21], v[26:27], v[18:19]
	v_fma_f64 v[20:21], v[24:25], v[16:17], -v[20:21]
	v_add_f64 v[54:55], v[22:23], v[54:55]
	v_mul_f64 v[22:23], v[24:25], v[18:19]
	v_add_f64 v[28:29], v[48:49], v[20:21]
	s_waitcnt lgkmcnt(0)
	v_mul_f64 v[20:21], v[26:27], v[42:43]
	v_fmac_f64_e32 v[22:23], v[26:27], v[16:17]
	v_fma_f64 v[20:21], v[24:25], v[40:41], -v[20:21]
	v_add_f64 v[30:31], v[22:23], v[50:51]
	v_mul_f64 v[22:23], v[24:25], v[42:43]
	v_add_f64 v[24:25], v[56:57], v[20:21]
	v_mul_f64 v[20:21], v[2:3], v[18:19]
	v_mul_f64 v[18:19], v[0:1], v[18:19]
	v_fma_f64 v[20:21], v[0:1], v[16:17], -v[20:21]
	v_fmac_f64_e32 v[18:19], v[2:3], v[16:17]
	v_mul_f64 v[16:17], v[2:3], v[42:43]
	v_fma_f64 v[16:17], v[0:1], v[40:41], -v[16:17]
	v_mul_f64 v[0:1], v[0:1], v[42:43]
	v_fmac_f64_e32 v[22:23], v[26:27], v[40:41]
	v_fmac_f64_e32 v[0:1], v[2:3], v[40:41]
	s_addc_u32 s19, s19, 0
	v_add_f64 v[26:27], v[22:23], v[58:59]
	v_add_f64 v[22:23], v[18:19], v[46:47]
	;; [unrolled: 1-line block ×4, first 2 shown]
	v_mov_b64_e32 v[0:1], s[18:19]
	v_cmp_gt_i64_e32 vcc, s[8:9], v[0:1]
	v_add_f64 v[20:21], v[44:45], v[20:21]
	s_barrier
	s_cbranch_vccz .LBB281_16
.LBB281_8:                              ; =>This Inner Loop Header: Depth=1
	s_mov_b64 s[34:35], s[14:15]
	s_mov_b64 s[20:21], 0
	s_and_saveexec_b64 s[24:25], s[0:1]
	s_cbranch_execnz .LBB281_14
; %bb.9:                                ;   in Loop: Header=BB281_8 Depth=1
	s_or_b64 exec, exec, s[24:25]
	s_and_saveexec_b64 s[24:25], s[34:35]
	s_xor_b64 s[24:25], exec, s[24:25]
	s_cbranch_execnz .LBB281_15
.LBB281_10:                             ;   in Loop: Header=BB281_8 Depth=1
	s_or_b64 exec, exec, s[24:25]
	s_and_saveexec_b64 s[24:25], s[20:21]
	s_cbranch_execz .LBB281_12
.LBB281_11:                             ;   in Loop: Header=BB281_8 Depth=1
	v_mul_lo_u32 v2, s17, v14
	v_mul_lo_u32 v3, s16, v15
	v_mad_u64_u32 v[0:1], s[20:21], s16, v14, 0
	v_add3_u32 v1, v1, v3, v2
	v_lshl_add_u64 v[0:1], v[0:1], 4, v[8:9]
	global_load_dwordx4 v[0:3], v[0:1], off
	s_waitcnt vmcnt(0)
	ds_write2_b64 v32, v[0:1], v[2:3] offset1:1
.LBB281_12:                             ;   in Loop: Header=BB281_8 Depth=1
	s_or_b64 exec, exec, s[24:25]
	v_add_u32_e32 v12, s18, v4
	v_cmp_gt_u64_e32 vcc, s[8:9], v[12:13]
	s_and_b64 s[24:25], vcc, s[2:3]
	v_mov_b64_e32 v[0:1], 0
	v_mov_b64_e32 v[2:3], 0
	s_and_saveexec_b64 s[20:21], s[24:25]
	s_cbranch_execz .LBB281_7
; %bb.13:                               ;   in Loop: Header=BB281_8 Depth=1
	v_mad_u64_u32 v[0:1], s[24:25], s22, v12, 0
	v_mov_b32_e32 v2, v1
	v_mad_u64_u32 v[2:3], s[24:25], s23, v12, v[2:3]
	v_mov_b32_e32 v1, v2
	v_lshl_add_u64 v[0:1], v[0:1], 4, v[10:11]
	global_load_dwordx4 v[0:3], v[0:1], off
	s_waitcnt vmcnt(0)
	v_xor_b32_e32 v3, 0x80000000, v3
	s_branch .LBB281_7
.LBB281_14:                             ;   in Loop: Header=BB281_8 Depth=1
	v_add_u32_e32 v12, s18, v6
	v_cmp_le_u64_e32 vcc, s[8:9], v[12:13]
	s_andn2_b64 s[34:35], s[14:15], exec
	s_and_b64 s[42:43], vcc, exec
	s_mov_b64 s[20:21], exec
	s_or_b64 s[34:35], s[34:35], s[42:43]
	v_mov_b64_e32 v[14:15], v[12:13]
	s_or_b64 exec, exec, s[24:25]
	s_and_saveexec_b64 s[24:25], s[34:35]
	s_xor_b64 s[24:25], exec, s[24:25]
	s_cbranch_execz .LBB281_10
.LBB281_15:                             ;   in Loop: Header=BB281_8 Depth=1
	ds_write_b128 v32, v[36:39]
	s_andn2_b64 s[20:21], s[20:21], exec
	s_or_b64 exec, exec, s[24:25]
	s_and_saveexec_b64 s[24:25], s[20:21]
	s_cbranch_execnz .LBB281_11
	s_branch .LBB281_12
.LBB281_16:
	s_waitcnt lgkmcnt(0)
	s_mul_i32 s0, s39, s4
	s_mul_hi_u32 s1, s38, s4
	s_add_i32 s1, s1, s0
	s_mul_i32 s0, s38, s4
	s_lshl_b64 s[0:1], s[0:1], 4
	v_add_u32_e32 v10, s40, v7
	s_add_u32 s8, s30, s0
	v_ashrrev_i32_e32 v0, 31, v10
	s_addc_u32 s9, s31, s1
	v_add_u32_e32 v4, s5, v5
	v_cmp_neq_f64_e64 s[0:1], s[26:27], 0
	s_xor_b64 s[4:5], s[6:7], -1
	v_mul_lo_u32 v2, s36, v0
	v_mul_lo_u32 v3, s37, v10
	v_mad_u64_u32 v[0:1], s[2:3], s36, v10, 0
	v_add3_u32 v1, v1, v2, v3
	s_or_b64 s[0:1], s[0:1], s[4:5]
	v_lshl_add_u64 v[8:9], v[0:1], 4, s[8:9]
	v_cmp_le_i32_e32 vcc, v10, v4
	v_cmp_gt_i32_e64 s[2:3], s33, v4
	v_cndmask_b32_e64 v0, 0, 1, s[0:1]
	s_and_b64 s[6:7], vcc, s[2:3]
	v_ashrrev_i32_e32 v5, 31, v4
	v_cmp_ne_u32_e64 s[0:1], 1, v0
	s_and_saveexec_b64 s[4:5], s[6:7]
	s_cbranch_execz .LBB281_20
; %bb.17:
	v_mul_f64 v[0:1], s[12:13], v[30:31]
	v_mul_f64 v[2:3], s[10:11], v[30:31]
	v_fma_f64 v[0:1], s[10:11], v[28:29], -v[0:1]
	v_fmac_f64_e32 v[2:3], s[12:13], v[28:29]
	s_and_b64 vcc, exec, s[0:1]
	v_lshl_add_u64 v[6:7], v[4:5], 4, v[8:9]
	s_cbranch_vccnz .LBB281_19
; %bb.18:
	global_load_dwordx4 v[12:15], v[6:7], off
	s_waitcnt vmcnt(0)
	v_mul_f64 v[28:29], s[28:29], v[14:15]
	v_mul_f64 v[14:15], s[26:27], v[14:15]
	v_fma_f64 v[28:29], s[26:27], v[12:13], -v[28:29]
	v_fmac_f64_e32 v[14:15], s[28:29], v[12:13]
	v_add_f64 v[0:1], v[0:1], v[28:29]
	v_add_f64 v[2:3], v[2:3], v[14:15]
.LBB281_19:
	global_store_dwordx4 v[6:7], v[0:3], off
.LBB281_20:
	s_or_b64 exec, exec, s[4:5]
	v_add_u32_e32 v6, 16, v4
	v_cmp_le_i32_e32 vcc, v10, v6
	v_cmp_gt_i32_e64 s[4:5], s33, v6
	s_and_b64 s[14:15], vcc, s[4:5]
	v_ashrrev_i32_e32 v7, 31, v6
	s_and_saveexec_b64 s[6:7], s[14:15]
	s_cbranch_execz .LBB281_24
; %bb.21:
	v_mul_f64 v[0:1], s[12:13], v[26:27]
	v_mul_f64 v[2:3], s[10:11], v[26:27]
	v_fma_f64 v[0:1], s[10:11], v[24:25], -v[0:1]
	v_fmac_f64_e32 v[2:3], s[12:13], v[24:25]
	s_and_b64 vcc, exec, s[0:1]
	v_lshl_add_u64 v[8:9], v[6:7], 4, v[8:9]
	s_cbranch_vccnz .LBB281_23
; %bb.22:
	global_load_dwordx4 v[12:15], v[8:9], off
	s_waitcnt vmcnt(0)
	v_mul_f64 v[24:25], s[28:29], v[14:15]
	v_mul_f64 v[14:15], s[26:27], v[14:15]
	v_fma_f64 v[24:25], s[26:27], v[12:13], -v[24:25]
	v_fmac_f64_e32 v[14:15], s[28:29], v[12:13]
	v_add_f64 v[0:1], v[0:1], v[24:25]
	v_add_f64 v[2:3], v[2:3], v[14:15]
.LBB281_23:
	global_store_dwordx4 v[8:9], v[0:3], off
.LBB281_24:
	s_or_b64 exec, exec, s[6:7]
	v_add_u32_e32 v10, 16, v10
	v_ashrrev_i32_e32 v0, 31, v10
	v_mul_lo_u32 v2, s36, v0
	v_mul_lo_u32 v3, s37, v10
	v_mad_u64_u32 v[0:1], s[6:7], s36, v10, 0
	v_add3_u32 v1, v1, v2, v3
	v_cmp_le_i32_e32 vcc, v10, v4
	v_lshl_add_u64 v[8:9], v[0:1], 4, s[8:9]
	s_and_b64 s[6:7], vcc, s[2:3]
	s_and_saveexec_b64 s[2:3], s[6:7]
	s_cbranch_execz .LBB281_28
; %bb.25:
	v_mul_f64 v[0:1], s[12:13], v[22:23]
	v_mul_f64 v[2:3], s[10:11], v[22:23]
	v_fma_f64 v[0:1], s[10:11], v[20:21], -v[0:1]
	v_fmac_f64_e32 v[2:3], s[12:13], v[20:21]
	s_and_b64 vcc, exec, s[0:1]
	v_lshl_add_u64 v[4:5], v[4:5], 4, v[8:9]
	s_cbranch_vccnz .LBB281_27
; %bb.26:
	global_load_dwordx4 v[12:15], v[4:5], off
	s_waitcnt vmcnt(0)
	v_mul_f64 v[20:21], s[28:29], v[14:15]
	v_mul_f64 v[14:15], s[26:27], v[14:15]
	v_fma_f64 v[20:21], s[26:27], v[12:13], -v[20:21]
	v_fmac_f64_e32 v[14:15], s[28:29], v[12:13]
	v_add_f64 v[0:1], v[0:1], v[20:21]
	v_add_f64 v[2:3], v[2:3], v[14:15]
.LBB281_27:
	global_store_dwordx4 v[4:5], v[0:3], off
.LBB281_28:
	s_or_b64 exec, exec, s[2:3]
	v_cmp_le_i32_e32 vcc, v10, v6
	s_and_b64 s[2:3], vcc, s[4:5]
	s_and_saveexec_b64 s[4:5], s[2:3]
	s_cbranch_execz .LBB281_32
; %bb.29:
	v_mul_f64 v[0:1], s[12:13], v[16:17]
	v_mul_f64 v[2:3], s[10:11], v[16:17]
	v_fma_f64 v[0:1], s[10:11], v[18:19], -v[0:1]
	v_fmac_f64_e32 v[2:3], s[12:13], v[18:19]
	s_and_b64 vcc, exec, s[0:1]
	v_lshl_add_u64 v[4:5], v[6:7], 4, v[8:9]
	s_cbranch_vccnz .LBB281_31
; %bb.30:
	global_load_dwordx4 v[6:9], v[4:5], off
	s_waitcnt vmcnt(0)
	v_mul_f64 v[10:11], s[28:29], v[8:9]
	v_mul_f64 v[8:9], s[26:27], v[8:9]
	v_fma_f64 v[10:11], s[26:27], v[6:7], -v[10:11]
	v_fmac_f64_e32 v[8:9], s[28:29], v[6:7]
	v_add_f64 v[0:1], v[0:1], v[10:11]
	v_add_f64 v[2:3], v[2:3], v[8:9]
.LBB281_31:
	global_store_dwordx4 v[4:5], v[0:3], off
.LBB281_32:
	s_endpgm
	.section	.rodata,"a",@progbits
	.p2align	6, 0x0
	.amdhsa_kernel _ZL29rocblas_internal_gemmt_kernelIlLi16ELi32ELi8ELc78ELc67ELc76ELb0ELb1E19rocblas_complex_numIdES1_PKS1_PS1_EviT_T9_T10_S5_lS7_S5_lS6_T11_S5_li
		.amdhsa_group_segment_fixed_size 8192
		.amdhsa_private_segment_fixed_size 0
		.amdhsa_kernarg_size 124
		.amdhsa_user_sgpr_count 2
		.amdhsa_user_sgpr_dispatch_ptr 0
		.amdhsa_user_sgpr_queue_ptr 0
		.amdhsa_user_sgpr_kernarg_segment_ptr 1
		.amdhsa_user_sgpr_dispatch_id 0
		.amdhsa_user_sgpr_kernarg_preload_length 0
		.amdhsa_user_sgpr_kernarg_preload_offset 0
		.amdhsa_user_sgpr_private_segment_size 0
		.amdhsa_uses_dynamic_stack 0
		.amdhsa_enable_private_segment 0
		.amdhsa_system_sgpr_workgroup_id_x 1
		.amdhsa_system_sgpr_workgroup_id_y 1
		.amdhsa_system_sgpr_workgroup_id_z 1
		.amdhsa_system_sgpr_workgroup_info 0
		.amdhsa_system_vgpr_workitem_id 1
		.amdhsa_next_free_vgpr 66
		.amdhsa_next_free_sgpr 44
		.amdhsa_accum_offset 68
		.amdhsa_reserve_vcc 1
		.amdhsa_float_round_mode_32 0
		.amdhsa_float_round_mode_16_64 0
		.amdhsa_float_denorm_mode_32 3
		.amdhsa_float_denorm_mode_16_64 3
		.amdhsa_dx10_clamp 1
		.amdhsa_ieee_mode 1
		.amdhsa_fp16_overflow 0
		.amdhsa_tg_split 0
		.amdhsa_exception_fp_ieee_invalid_op 0
		.amdhsa_exception_fp_denorm_src 0
		.amdhsa_exception_fp_ieee_div_zero 0
		.amdhsa_exception_fp_ieee_overflow 0
		.amdhsa_exception_fp_ieee_underflow 0
		.amdhsa_exception_fp_ieee_inexact 0
		.amdhsa_exception_int_div_zero 0
	.end_amdhsa_kernel
	.section	.text._ZL29rocblas_internal_gemmt_kernelIlLi16ELi32ELi8ELc78ELc67ELc76ELb0ELb1E19rocblas_complex_numIdES1_PKS1_PS1_EviT_T9_T10_S5_lS7_S5_lS6_T11_S5_li,"axG",@progbits,_ZL29rocblas_internal_gemmt_kernelIlLi16ELi32ELi8ELc78ELc67ELc76ELb0ELb1E19rocblas_complex_numIdES1_PKS1_PS1_EviT_T9_T10_S5_lS7_S5_lS6_T11_S5_li,comdat
.Lfunc_end281:
	.size	_ZL29rocblas_internal_gemmt_kernelIlLi16ELi32ELi8ELc78ELc67ELc76ELb0ELb1E19rocblas_complex_numIdES1_PKS1_PS1_EviT_T9_T10_S5_lS7_S5_lS6_T11_S5_li, .Lfunc_end281-_ZL29rocblas_internal_gemmt_kernelIlLi16ELi32ELi8ELc78ELc67ELc76ELb0ELb1E19rocblas_complex_numIdES1_PKS1_PS1_EviT_T9_T10_S5_lS7_S5_lS6_T11_S5_li
                                        ; -- End function
	.set _ZL29rocblas_internal_gemmt_kernelIlLi16ELi32ELi8ELc78ELc67ELc76ELb0ELb1E19rocblas_complex_numIdES1_PKS1_PS1_EviT_T9_T10_S5_lS7_S5_lS6_T11_S5_li.num_vgpr, 66
	.set _ZL29rocblas_internal_gemmt_kernelIlLi16ELi32ELi8ELc78ELc67ELc76ELb0ELb1E19rocblas_complex_numIdES1_PKS1_PS1_EviT_T9_T10_S5_lS7_S5_lS6_T11_S5_li.num_agpr, 0
	.set _ZL29rocblas_internal_gemmt_kernelIlLi16ELi32ELi8ELc78ELc67ELc76ELb0ELb1E19rocblas_complex_numIdES1_PKS1_PS1_EviT_T9_T10_S5_lS7_S5_lS6_T11_S5_li.numbered_sgpr, 44
	.set _ZL29rocblas_internal_gemmt_kernelIlLi16ELi32ELi8ELc78ELc67ELc76ELb0ELb1E19rocblas_complex_numIdES1_PKS1_PS1_EviT_T9_T10_S5_lS7_S5_lS6_T11_S5_li.num_named_barrier, 0
	.set _ZL29rocblas_internal_gemmt_kernelIlLi16ELi32ELi8ELc78ELc67ELc76ELb0ELb1E19rocblas_complex_numIdES1_PKS1_PS1_EviT_T9_T10_S5_lS7_S5_lS6_T11_S5_li.private_seg_size, 0
	.set _ZL29rocblas_internal_gemmt_kernelIlLi16ELi32ELi8ELc78ELc67ELc76ELb0ELb1E19rocblas_complex_numIdES1_PKS1_PS1_EviT_T9_T10_S5_lS7_S5_lS6_T11_S5_li.uses_vcc, 1
	.set _ZL29rocblas_internal_gemmt_kernelIlLi16ELi32ELi8ELc78ELc67ELc76ELb0ELb1E19rocblas_complex_numIdES1_PKS1_PS1_EviT_T9_T10_S5_lS7_S5_lS6_T11_S5_li.uses_flat_scratch, 0
	.set _ZL29rocblas_internal_gemmt_kernelIlLi16ELi32ELi8ELc78ELc67ELc76ELb0ELb1E19rocblas_complex_numIdES1_PKS1_PS1_EviT_T9_T10_S5_lS7_S5_lS6_T11_S5_li.has_dyn_sized_stack, 0
	.set _ZL29rocblas_internal_gemmt_kernelIlLi16ELi32ELi8ELc78ELc67ELc76ELb0ELb1E19rocblas_complex_numIdES1_PKS1_PS1_EviT_T9_T10_S5_lS7_S5_lS6_T11_S5_li.has_recursion, 0
	.set _ZL29rocblas_internal_gemmt_kernelIlLi16ELi32ELi8ELc78ELc67ELc76ELb0ELb1E19rocblas_complex_numIdES1_PKS1_PS1_EviT_T9_T10_S5_lS7_S5_lS6_T11_S5_li.has_indirect_call, 0
	.section	.AMDGPU.csdata,"",@progbits
; Kernel info:
; codeLenInByte = 3216
; TotalNumSgprs: 50
; NumVgprs: 66
; NumAgprs: 0
; TotalNumVgprs: 66
; ScratchSize: 0
; MemoryBound: 1
; FloatMode: 240
; IeeeMode: 1
; LDSByteSize: 8192 bytes/workgroup (compile time only)
; SGPRBlocks: 6
; VGPRBlocks: 8
; NumSGPRsForWavesPerEU: 50
; NumVGPRsForWavesPerEU: 66
; AccumOffset: 68
; Occupancy: 7
; WaveLimiterHint : 0
; COMPUTE_PGM_RSRC2:SCRATCH_EN: 0
; COMPUTE_PGM_RSRC2:USER_SGPR: 2
; COMPUTE_PGM_RSRC2:TRAP_HANDLER: 0
; COMPUTE_PGM_RSRC2:TGID_X_EN: 1
; COMPUTE_PGM_RSRC2:TGID_Y_EN: 1
; COMPUTE_PGM_RSRC2:TGID_Z_EN: 1
; COMPUTE_PGM_RSRC2:TIDIG_COMP_CNT: 1
; COMPUTE_PGM_RSRC3_GFX90A:ACCUM_OFFSET: 16
; COMPUTE_PGM_RSRC3_GFX90A:TG_SPLIT: 0
	.section	.text._ZL29rocblas_internal_gemmt_kernelIlLi16ELi32ELi8ELc84ELc78ELc76ELb0ELb0E19rocblas_complex_numIdES1_PKS1_PS1_EviT_T9_T10_S5_lS7_S5_lS6_T11_S5_li,"axG",@progbits,_ZL29rocblas_internal_gemmt_kernelIlLi16ELi32ELi8ELc84ELc78ELc76ELb0ELb0E19rocblas_complex_numIdES1_PKS1_PS1_EviT_T9_T10_S5_lS7_S5_lS6_T11_S5_li,comdat
	.globl	_ZL29rocblas_internal_gemmt_kernelIlLi16ELi32ELi8ELc84ELc78ELc76ELb0ELb0E19rocblas_complex_numIdES1_PKS1_PS1_EviT_T9_T10_S5_lS7_S5_lS6_T11_S5_li ; -- Begin function _ZL29rocblas_internal_gemmt_kernelIlLi16ELi32ELi8ELc84ELc78ELc76ELb0ELb0E19rocblas_complex_numIdES1_PKS1_PS1_EviT_T9_T10_S5_lS7_S5_lS6_T11_S5_li
	.p2align	8
	.type	_ZL29rocblas_internal_gemmt_kernelIlLi16ELi32ELi8ELc84ELc78ELc76ELb0ELb0E19rocblas_complex_numIdES1_PKS1_PS1_EviT_T9_T10_S5_lS7_S5_lS6_T11_S5_li,@function
_ZL29rocblas_internal_gemmt_kernelIlLi16ELi32ELi8ELc84ELc78ELc76ELb0ELb0E19rocblas_complex_numIdES1_PKS1_PS1_EviT_T9_T10_S5_lS7_S5_lS6_T11_S5_li: ; @_ZL29rocblas_internal_gemmt_kernelIlLi16ELi32ELi8ELc84ELc78ELc76ELb0ELb0E19rocblas_complex_numIdES1_PKS1_PS1_EviT_T9_T10_S5_lS7_S5_lS6_T11_S5_li
; %bb.0:
	s_load_dwordx8 s[24:31], s[0:1], 0x48
	s_load_dwordx16 s[8:23], s[0:1], 0x8
	s_mov_b64 s[34:35], 0
	s_waitcnt lgkmcnt(0)
	v_cmp_eq_f64_e64 s[36:37], s[26:27], 1.0
	v_cmp_eq_f64_e64 s[6:7], s[28:29], 0
	s_and_b64 s[36:37], s[36:37], s[6:7]
	s_andn2_b64 vcc, exec, s[36:37]
	s_mov_b64 s[36:37], -1
	s_cbranch_vccnz .LBB282_4
; %bb.1:
	s_cmp_lg_u64 s[8:9], 0
	s_cbranch_scc0 .LBB282_3
; %bb.2:
	v_cmp_neq_f64_e64 s[34:35], s[10:11], 0
	v_cmp_neq_f64_e64 s[36:37], s[12:13], 0
	s_or_b64 s[34:35], s[34:35], s[36:37]
.LBB282_3:
	s_mov_b64 s[36:37], s[34:35]
.LBB282_4:
	s_and_b64 vcc, exec, s[36:37]
	s_cbranch_vccz .LBB282_34
; %bb.5:
	s_load_dwordx4 s[36:39], s[0:1], 0x68
	s_load_dword s33, s[0:1], 0x0
	s_lshl_b32 s5, s2, 5
	s_lshl_b32 s34, s3, 5
	v_cmp_eq_f64_e64 s[0:1], s[10:11], 0
	v_cmp_eq_f64_e64 s[2:3], s[12:13], 0
	s_and_b64 s[0:1], s[0:1], s[2:3]
	v_cmp_lt_i64_e64 s[2:3], s[8:9], 1
	s_or_b64 s[0:1], s[0:1], s[2:3]
	v_and_b32_e32 v1, 0x3ff, v0
	v_bfe_u32 v3, v0, 10, 10
	v_mov_b64_e32 v[24:25], 0
	s_and_b64 vcc, exec, s[0:1]
	v_mov_b64_e32 v[26:27], 0
	v_mov_b64_e32 v[16:17], 0
	v_mov_b64_e32 v[18:19], 0
	v_mov_b64_e32 v[20:21], 0
	v_mov_b64_e32 v[22:23], 0
	v_mov_b64_e32 v[14:15], 0
	v_mov_b64_e32 v[12:13], 0
	s_cbranch_vccnz .LBB282_18
; %bb.6:
	s_mul_i32 s0, s25, s4
	s_mul_hi_u32 s1, s24, s4
	s_add_i32 s1, s1, s0
	s_mul_i32 s0, s24, s4
	s_lshl_b64 s[0:1], s[0:1], 4
	s_add_u32 s20, s20, s0
	s_addc_u32 s21, s21, s1
	s_mul_i32 s0, s19, s4
	s_mul_hi_u32 s1, s18, s4
	s_add_i32 s1, s1, s0
	s_mul_i32 s0, s18, s4
	v_lshl_add_u32 v4, v3, 4, v1
	s_lshl_b64 s[0:1], s[0:1], 4
	v_lshrrev_b32_e32 v2, 5, v4
	v_lshrrev_b32_e32 v6, 3, v4
	v_and_b32_e32 v4, 31, v4
	s_add_u32 s14, s14, s0
	v_or_b32_e32 v5, s5, v4
	s_addc_u32 s15, s15, s1
	v_lshlrev_b32_e32 v4, 4, v4
	s_ashr_i32 s24, s5, 31
	v_and_b32_e32 v0, 7, v1
	s_waitcnt lgkmcnt(0)
	v_cmp_gt_i32_e64 s[0:1], s33, v5
	v_cmp_le_i32_e64 s[2:3], s33, v5
	v_lshl_or_b32 v28, v2, 9, v4
	v_mul_lo_u32 v8, s17, v5
	v_mad_u64_u32 v[4:5], s[18:19], s16, v5, 0
	s_mul_i32 s16, s16, s24
	v_add3_u32 v5, v5, s16, v8
	v_lshlrev_b32_e32 v8, 4, v0
	v_add_u32_e32 v7, s34, v6
	v_lshl_or_b32 v6, v6, 7, v8
	v_add_u32_e32 v29, 0x1000, v6
	v_ashrrev_i32_e32 v6, 31, v7
	v_lshl_add_u64 v[4:5], v[4:5], 4, s[14:15]
	v_cmp_gt_i32_e32 vcc, s33, v7
	v_mul_lo_u32 v8, s22, v6
	v_mul_lo_u32 v9, s23, v7
	v_mad_u64_u32 v[6:7], s[14:15], s22, v7, 0
	v_add3_u32 v7, v7, v8, v9
	v_mov_b32_e32 v8, 0x1000
	v_mov_b32_e32 v9, 0
	v_lshl_add_u64 v[6:7], v[6:7], 4, s[20:21]
	v_lshlrev_b32_e32 v30, 4, v1
	v_lshl_add_u32 v31, v3, 7, v8
	v_mov_b64_e32 v[12:13], 0
	s_mov_b64 s[14:15], 0
	s_xor_b64 s[16:17], vcc, -1
	v_mov_b32_e32 v32, v9
	v_mov_b32_e32 v33, v9
	;; [unrolled: 1-line block ×4, first 2 shown]
	v_mov_b64_e32 v[14:15], 0
	v_mov_b64_e32 v[22:23], 0
	;; [unrolled: 1-line block ×7, first 2 shown]
                                        ; implicit-def: $vgpr10_vgpr11
	s_branch .LBB282_8
.LBB282_7:                              ;   in Loop: Header=BB282_8 Depth=1
	s_or_b64 exec, exec, s[18:19]
	s_waitcnt lgkmcnt(0)
	s_barrier
	ds_read_b128 v[36:39], v31
	ds_read_b128 v[40:43], v31 offset:16
	ds_read_b128 v[44:47], v31 offset:32
	;; [unrolled: 1-line block ×3, first 2 shown]
	ds_read_b128 v[52:55], v30
	s_add_u32 s14, s14, 8
	s_addc_u32 s15, s15, 0
	s_waitcnt lgkmcnt(0)
	v_mul_f64 v[56:57], v[38:39], v[54:55]
	v_mul_f64 v[58:59], v[36:37], v[54:55]
	v_fma_f64 v[56:57], v[36:37], v[52:53], -v[56:57]
	v_fmac_f64_e32 v[58:59], v[38:39], v[52:53]
	v_add_f64 v[56:57], v[24:25], v[56:57]
	v_add_f64 v[58:59], v[58:59], v[26:27]
	ds_read_b128 v[24:27], v30 offset:256
	s_waitcnt lgkmcnt(0)
	v_mul_f64 v[60:61], v[38:39], v[26:27]
	v_fma_f64 v[60:61], v[36:37], v[24:25], -v[60:61]
	v_mul_f64 v[36:37], v[36:37], v[26:27]
	v_fmac_f64_e32 v[36:37], v[38:39], v[24:25]
	v_add_f64 v[38:39], v[16:17], v[60:61]
	v_add_f64 v[36:37], v[36:37], v[18:19]
	ds_read_b128 v[16:19], v31 offset:2048
	s_waitcnt lgkmcnt(0)
	v_mul_f64 v[60:61], v[18:19], v[54:55]
	v_fma_f64 v[60:61], v[16:17], v[52:53], -v[60:61]
	v_mul_f64 v[54:55], v[16:17], v[54:55]
	v_fmac_f64_e32 v[54:55], v[18:19], v[52:53]
	v_add_f64 v[52:53], v[20:21], v[60:61]
	v_mul_f64 v[20:21], v[18:19], v[26:27]
	v_fma_f64 v[20:21], v[16:17], v[24:25], -v[20:21]
	v_mul_f64 v[16:17], v[16:17], v[26:27]
	v_fmac_f64_e32 v[16:17], v[18:19], v[24:25]
	v_add_f64 v[24:25], v[14:15], v[20:21]
	v_add_f64 v[26:27], v[16:17], v[12:13]
	ds_read_b128 v[12:15], v30 offset:512
	v_add_f64 v[54:55], v[54:55], v[22:23]
	s_waitcnt lgkmcnt(0)
	v_mul_f64 v[16:17], v[42:43], v[14:15]
	v_mul_f64 v[18:19], v[40:41], v[14:15]
	v_fma_f64 v[16:17], v[40:41], v[12:13], -v[16:17]
	v_fmac_f64_e32 v[18:19], v[42:43], v[12:13]
	v_add_f64 v[56:57], v[56:57], v[16:17]
	v_add_f64 v[58:59], v[18:19], v[58:59]
	ds_read_b128 v[16:19], v30 offset:768
	s_waitcnt lgkmcnt(0)
	v_mul_f64 v[20:21], v[42:43], v[18:19]
	v_mul_f64 v[22:23], v[40:41], v[18:19]
	v_fma_f64 v[20:21], v[40:41], v[16:17], -v[20:21]
	v_fmac_f64_e32 v[22:23], v[42:43], v[16:17]
	v_add_f64 v[38:39], v[38:39], v[20:21]
	v_add_f64 v[36:37], v[22:23], v[36:37]
	ds_read_b128 v[20:23], v31 offset:2064
	s_waitcnt lgkmcnt(0)
	v_mul_f64 v[40:41], v[22:23], v[14:15]
	v_mul_f64 v[14:15], v[20:21], v[14:15]
	v_fmac_f64_e32 v[14:15], v[22:23], v[12:13]
	v_fma_f64 v[40:41], v[20:21], v[12:13], -v[40:41]
	v_add_f64 v[42:43], v[14:15], v[54:55]
	v_mul_f64 v[12:13], v[22:23], v[18:19]
	v_mul_f64 v[14:15], v[20:21], v[18:19]
	v_fma_f64 v[12:13], v[20:21], v[16:17], -v[12:13]
	v_fmac_f64_e32 v[14:15], v[22:23], v[16:17]
	v_add_f64 v[24:25], v[24:25], v[12:13]
	v_add_f64 v[26:27], v[14:15], v[26:27]
	ds_read_b128 v[12:15], v30 offset:1024
	v_add_f64 v[40:41], v[52:53], v[40:41]
	s_waitcnt lgkmcnt(0)
	v_mul_f64 v[16:17], v[46:47], v[14:15]
	v_mul_f64 v[18:19], v[44:45], v[14:15]
	v_fma_f64 v[16:17], v[44:45], v[12:13], -v[16:17]
	v_fmac_f64_e32 v[18:19], v[46:47], v[12:13]
	v_add_f64 v[52:53], v[56:57], v[16:17]
	v_add_f64 v[54:55], v[18:19], v[58:59]
	ds_read_b128 v[16:19], v30 offset:1280
	s_waitcnt lgkmcnt(0)
	v_mul_f64 v[20:21], v[46:47], v[18:19]
	v_mul_f64 v[22:23], v[44:45], v[18:19]
	v_fma_f64 v[20:21], v[44:45], v[16:17], -v[20:21]
	v_fmac_f64_e32 v[22:23], v[46:47], v[16:17]
	v_add_f64 v[38:39], v[38:39], v[20:21]
	v_add_f64 v[36:37], v[22:23], v[36:37]
	ds_read_b128 v[20:23], v31 offset:2080
	s_waitcnt lgkmcnt(0)
	v_mul_f64 v[44:45], v[22:23], v[14:15]
	v_mul_f64 v[14:15], v[20:21], v[14:15]
	v_fmac_f64_e32 v[14:15], v[22:23], v[12:13]
	v_fma_f64 v[44:45], v[20:21], v[12:13], -v[44:45]
	v_add_f64 v[42:43], v[14:15], v[42:43]
	v_mul_f64 v[12:13], v[22:23], v[18:19]
	v_mul_f64 v[14:15], v[20:21], v[18:19]
	v_fma_f64 v[12:13], v[20:21], v[16:17], -v[12:13]
	v_fmac_f64_e32 v[14:15], v[22:23], v[16:17]
	v_add_f64 v[24:25], v[24:25], v[12:13]
	v_add_f64 v[26:27], v[14:15], v[26:27]
	ds_read_b128 v[12:15], v30 offset:1536
	v_add_f64 v[40:41], v[40:41], v[44:45]
	s_waitcnt lgkmcnt(0)
	v_mul_f64 v[16:17], v[50:51], v[14:15]
	v_mul_f64 v[18:19], v[48:49], v[14:15]
	v_fma_f64 v[16:17], v[48:49], v[12:13], -v[16:17]
	v_fmac_f64_e32 v[18:19], v[50:51], v[12:13]
	v_add_f64 v[44:45], v[52:53], v[16:17]
	v_add_f64 v[46:47], v[18:19], v[54:55]
	ds_read_b128 v[16:19], v30 offset:1792
	s_waitcnt lgkmcnt(0)
	v_mul_f64 v[20:21], v[50:51], v[18:19]
	v_mul_f64 v[22:23], v[48:49], v[18:19]
	v_fma_f64 v[20:21], v[48:49], v[16:17], -v[20:21]
	v_fmac_f64_e32 v[22:23], v[50:51], v[16:17]
	v_add_f64 v[38:39], v[38:39], v[20:21]
	v_add_f64 v[36:37], v[22:23], v[36:37]
	ds_read_b128 v[20:23], v31 offset:2096
	s_waitcnt lgkmcnt(0)
	v_mul_f64 v[48:49], v[22:23], v[14:15]
	v_mul_f64 v[14:15], v[20:21], v[14:15]
	v_fmac_f64_e32 v[14:15], v[22:23], v[12:13]
	v_fma_f64 v[48:49], v[20:21], v[12:13], -v[48:49]
	v_add_f64 v[42:43], v[14:15], v[42:43]
	v_mul_f64 v[12:13], v[22:23], v[18:19]
	v_mul_f64 v[14:15], v[20:21], v[18:19]
	v_fma_f64 v[12:13], v[20:21], v[16:17], -v[12:13]
	v_fmac_f64_e32 v[14:15], v[22:23], v[16:17]
	v_add_f64 v[24:25], v[24:25], v[12:13]
	v_add_f64 v[26:27], v[14:15], v[26:27]
	ds_read_b128 v[12:15], v31 offset:64
	ds_read_b128 v[16:19], v30 offset:2048
	v_add_f64 v[40:41], v[40:41], v[48:49]
	s_waitcnt lgkmcnt(0)
	v_mul_f64 v[20:21], v[14:15], v[18:19]
	v_mul_f64 v[22:23], v[12:13], v[18:19]
	v_fma_f64 v[20:21], v[12:13], v[16:17], -v[20:21]
	v_fmac_f64_e32 v[22:23], v[14:15], v[16:17]
	v_add_f64 v[44:45], v[44:45], v[20:21]
	v_add_f64 v[46:47], v[22:23], v[46:47]
	ds_read_b128 v[20:23], v30 offset:2304
	s_waitcnt lgkmcnt(0)
	v_mul_f64 v[48:49], v[14:15], v[22:23]
	v_fma_f64 v[48:49], v[12:13], v[20:21], -v[48:49]
	v_mul_f64 v[12:13], v[12:13], v[22:23]
	v_fmac_f64_e32 v[12:13], v[14:15], v[20:21]
	v_add_f64 v[36:37], v[12:13], v[36:37]
	ds_read_b128 v[12:15], v31 offset:2112
	v_add_f64 v[38:39], v[38:39], v[48:49]
	s_waitcnt lgkmcnt(0)
	v_mul_f64 v[48:49], v[14:15], v[18:19]
	v_mul_f64 v[18:19], v[12:13], v[18:19]
	v_fma_f64 v[48:49], v[12:13], v[16:17], -v[48:49]
	v_fmac_f64_e32 v[18:19], v[14:15], v[16:17]
	v_mul_f64 v[16:17], v[14:15], v[22:23]
	v_fma_f64 v[16:17], v[12:13], v[20:21], -v[16:17]
	v_mul_f64 v[12:13], v[12:13], v[22:23]
	v_fmac_f64_e32 v[12:13], v[14:15], v[20:21]
	v_add_f64 v[42:43], v[18:19], v[42:43]
	v_add_f64 v[24:25], v[24:25], v[16:17]
	v_add_f64 v[26:27], v[12:13], v[26:27]
	ds_read_b128 v[12:15], v31 offset:80
	ds_read_b128 v[16:19], v30 offset:2560
	v_add_f64 v[40:41], v[40:41], v[48:49]
	s_waitcnt lgkmcnt(0)
	v_mul_f64 v[20:21], v[14:15], v[18:19]
	v_mul_f64 v[22:23], v[12:13], v[18:19]
	v_fma_f64 v[20:21], v[12:13], v[16:17], -v[20:21]
	v_fmac_f64_e32 v[22:23], v[14:15], v[16:17]
	v_add_f64 v[44:45], v[44:45], v[20:21]
	v_add_f64 v[46:47], v[22:23], v[46:47]
	ds_read_b128 v[20:23], v30 offset:2816
	s_waitcnt lgkmcnt(0)
	v_mul_f64 v[48:49], v[14:15], v[22:23]
	v_fma_f64 v[48:49], v[12:13], v[20:21], -v[48:49]
	v_mul_f64 v[12:13], v[12:13], v[22:23]
	v_fmac_f64_e32 v[12:13], v[14:15], v[20:21]
	v_add_f64 v[36:37], v[12:13], v[36:37]
	ds_read_b128 v[12:15], v31 offset:2128
	v_add_f64 v[38:39], v[38:39], v[48:49]
	s_waitcnt lgkmcnt(0)
	v_mul_f64 v[48:49], v[14:15], v[18:19]
	v_mul_f64 v[18:19], v[12:13], v[18:19]
	v_fma_f64 v[48:49], v[12:13], v[16:17], -v[48:49]
	v_fmac_f64_e32 v[18:19], v[14:15], v[16:17]
	v_mul_f64 v[16:17], v[14:15], v[22:23]
	v_fma_f64 v[16:17], v[12:13], v[20:21], -v[16:17]
	v_mul_f64 v[12:13], v[12:13], v[22:23]
	v_fmac_f64_e32 v[12:13], v[14:15], v[20:21]
	v_add_f64 v[42:43], v[18:19], v[42:43]
	;; [unrolled: 31-line block ×3, first 2 shown]
	ds_read_b128 v[12:15], v31 offset:112
	ds_read_b128 v[20:23], v30 offset:3584
	v_add_f64 v[40:41], v[40:41], v[36:37]
	ds_read_b128 v[36:39], v30 offset:3840
	v_add_f64 v[52:53], v[24:25], v[16:17]
	v_add_f64 v[42:43], v[18:19], v[42:43]
	s_waitcnt lgkmcnt(1)
	v_mul_f64 v[16:17], v[14:15], v[22:23]
	v_fma_f64 v[16:17], v[12:13], v[20:21], -v[16:17]
	v_add_f64 v[24:25], v[44:45], v[16:17]
	s_waitcnt lgkmcnt(0)
	v_mul_f64 v[16:17], v[14:15], v[38:39]
	v_mul_f64 v[18:19], v[12:13], v[22:23]
	v_fma_f64 v[16:17], v[12:13], v[36:37], -v[16:17]
	v_mul_f64 v[12:13], v[12:13], v[38:39]
	v_fmac_f64_e32 v[18:19], v[14:15], v[20:21]
	v_fmac_f64_e32 v[12:13], v[14:15], v[36:37]
	v_add_f64 v[26:27], v[18:19], v[46:47]
	v_add_f64 v[18:19], v[12:13], v[50:51]
	ds_read_b128 v[12:15], v31 offset:2160
	v_add_f64 v[16:17], v[48:49], v[16:17]
	s_waitcnt lgkmcnt(0)
	s_barrier
	v_mul_f64 v[44:45], v[14:15], v[22:23]
	v_fma_f64 v[44:45], v[12:13], v[20:21], -v[44:45]
	v_mul_f64 v[22:23], v[12:13], v[22:23]
	v_fmac_f64_e32 v[22:23], v[14:15], v[20:21]
	v_add_f64 v[20:21], v[40:41], v[44:45]
	v_mul_f64 v[40:41], v[14:15], v[38:39]
	v_fma_f64 v[40:41], v[12:13], v[36:37], -v[40:41]
	v_mul_f64 v[12:13], v[12:13], v[38:39]
	v_fmac_f64_e32 v[12:13], v[14:15], v[36:37]
	v_mov_b64_e32 v[36:37], s[14:15]
	v_cmp_gt_i64_e32 vcc, s[8:9], v[36:37]
	v_add_f64 v[22:23], v[22:23], v[42:43]
	v_add_f64 v[14:15], v[52:53], v[40:41]
	;; [unrolled: 1-line block ×3, first 2 shown]
	s_cbranch_vccz .LBB282_18
.LBB282_8:                              ; =>This Inner Loop Header: Depth=1
	s_mov_b64 s[22:23], s[2:3]
	s_mov_b64 s[18:19], 0
	s_and_saveexec_b64 s[20:21], s[0:1]
	s_cbranch_execnz .LBB282_16
; %bb.9:                                ;   in Loop: Header=BB282_8 Depth=1
	s_or_b64 exec, exec, s[20:21]
	s_and_saveexec_b64 s[20:21], s[22:23]
	s_xor_b64 s[20:21], exec, s[20:21]
	s_cbranch_execnz .LBB282_17
.LBB282_10:                             ;   in Loop: Header=BB282_8 Depth=1
	s_or_b64 exec, exec, s[20:21]
	s_and_saveexec_b64 s[20:21], s[18:19]
	s_cbranch_execz .LBB282_12
.LBB282_11:                             ;   in Loop: Header=BB282_8 Depth=1
	v_lshl_add_u64 v[36:37], v[10:11], 4, v[4:5]
	global_load_dwordx4 v[36:39], v[36:37], off
	s_waitcnt vmcnt(0)
	ds_write2_b64 v28, v[36:37], v[38:39] offset1:1
.LBB282_12:                             ;   in Loop: Header=BB282_8 Depth=1
	s_or_b64 exec, exec, s[20:21]
	v_add_u32_e32 v8, s14, v0
	v_cmp_le_u64_e32 vcc, s[8:9], v[8:9]
	s_or_b64 s[18:19], vcc, s[16:17]
	s_and_saveexec_b64 s[20:21], s[18:19]
	s_xor_b64 s[18:19], exec, s[20:21]
; %bb.13:                               ;   in Loop: Header=BB282_8 Depth=1
	ds_write_b128 v29, v[32:35]
; %bb.14:                               ;   in Loop: Header=BB282_8 Depth=1
	s_andn2_saveexec_b64 s[18:19], s[18:19]
	s_cbranch_execz .LBB282_7
; %bb.15:                               ;   in Loop: Header=BB282_8 Depth=1
	v_lshl_add_u64 v[36:37], v[8:9], 4, v[6:7]
	global_load_dwordx4 v[36:39], v[36:37], off
	s_waitcnt vmcnt(0)
	ds_write2_b64 v29, v[36:37], v[38:39] offset1:1
	s_branch .LBB282_7
.LBB282_16:                             ;   in Loop: Header=BB282_8 Depth=1
	v_add_u32_e32 v8, s14, v2
	v_cmp_le_u64_e32 vcc, s[8:9], v[8:9]
	s_andn2_b64 s[22:23], s[2:3], exec
	s_and_b64 s[24:25], vcc, exec
	s_mov_b64 s[18:19], exec
	s_or_b64 s[22:23], s[22:23], s[24:25]
	v_mov_b64_e32 v[10:11], v[8:9]
	s_or_b64 exec, exec, s[20:21]
	s_and_saveexec_b64 s[20:21], s[22:23]
	s_xor_b64 s[20:21], exec, s[20:21]
	s_cbranch_execz .LBB282_10
.LBB282_17:                             ;   in Loop: Header=BB282_8 Depth=1
	ds_write_b128 v28, v[32:35]
	s_andn2_b64 s[18:19], s[18:19], exec
	s_or_b64 exec, exec, s[20:21]
	s_and_saveexec_b64 s[20:21], s[18:19]
	s_cbranch_execnz .LBB282_11
	s_branch .LBB282_12
.LBB282_18:
	s_waitcnt lgkmcnt(0)
	s_mul_i32 s0, s39, s4
	s_mul_hi_u32 s1, s38, s4
	s_add_i32 s1, s1, s0
	s_mul_i32 s0, s38, s4
	s_lshl_b64 s[0:1], s[0:1], 4
	v_add_u32_e32 v10, s34, v3
	s_add_u32 s8, s30, s0
	v_ashrrev_i32_e32 v0, 31, v10
	s_addc_u32 s9, s31, s1
	v_add_u32_e32 v4, s5, v1
	v_cmp_neq_f64_e64 s[0:1], s[26:27], 0
	s_xor_b64 s[4:5], s[6:7], -1
	v_mul_lo_u32 v2, s36, v0
	v_mul_lo_u32 v3, s37, v10
	v_mad_u64_u32 v[0:1], s[2:3], s36, v10, 0
	v_add3_u32 v1, v1, v2, v3
	s_or_b64 s[0:1], s[0:1], s[4:5]
	v_lshl_add_u64 v[8:9], v[0:1], 4, s[8:9]
	v_cmp_le_i32_e32 vcc, v10, v4
	v_cmp_gt_i32_e64 s[2:3], s33, v4
	v_cndmask_b32_e64 v0, 0, 1, s[0:1]
	s_and_b64 s[6:7], vcc, s[2:3]
	v_ashrrev_i32_e32 v5, 31, v4
	v_cmp_ne_u32_e64 s[0:1], 1, v0
	s_and_saveexec_b64 s[4:5], s[6:7]
	s_cbranch_execz .LBB282_22
; %bb.19:
	v_mul_f64 v[0:1], s[12:13], v[26:27]
	v_mul_f64 v[2:3], s[10:11], v[26:27]
	v_fma_f64 v[0:1], s[10:11], v[24:25], -v[0:1]
	v_fmac_f64_e32 v[2:3], s[12:13], v[24:25]
	s_and_b64 vcc, exec, s[0:1]
	v_lshl_add_u64 v[6:7], v[4:5], 4, v[8:9]
	s_cbranch_vccnz .LBB282_21
; %bb.20:
	global_load_dwordx4 v[24:27], v[6:7], off
	s_waitcnt vmcnt(0)
	v_mul_f64 v[28:29], s[28:29], v[26:27]
	v_mul_f64 v[26:27], s[26:27], v[26:27]
	v_fma_f64 v[28:29], s[26:27], v[24:25], -v[28:29]
	v_fmac_f64_e32 v[26:27], s[28:29], v[24:25]
	v_add_f64 v[0:1], v[0:1], v[28:29]
	v_add_f64 v[2:3], v[2:3], v[26:27]
.LBB282_21:
	global_store_dwordx4 v[6:7], v[0:3], off
.LBB282_22:
	s_or_b64 exec, exec, s[4:5]
	v_add_u32_e32 v6, 16, v4
	v_cmp_le_i32_e32 vcc, v10, v6
	v_cmp_gt_i32_e64 s[4:5], s33, v6
	s_and_b64 s[14:15], vcc, s[4:5]
	v_ashrrev_i32_e32 v7, 31, v6
	s_and_saveexec_b64 s[6:7], s[14:15]
	s_cbranch_execz .LBB282_26
; %bb.23:
	v_mul_f64 v[0:1], s[12:13], v[18:19]
	v_mul_f64 v[2:3], s[10:11], v[18:19]
	v_fma_f64 v[0:1], s[10:11], v[16:17], -v[0:1]
	v_fmac_f64_e32 v[2:3], s[12:13], v[16:17]
	s_and_b64 vcc, exec, s[0:1]
	v_lshl_add_u64 v[8:9], v[6:7], 4, v[8:9]
	s_cbranch_vccnz .LBB282_25
; %bb.24:
	global_load_dwordx4 v[16:19], v[8:9], off
	s_waitcnt vmcnt(0)
	v_mul_f64 v[24:25], s[28:29], v[18:19]
	v_mul_f64 v[18:19], s[26:27], v[18:19]
	v_fma_f64 v[24:25], s[26:27], v[16:17], -v[24:25]
	v_fmac_f64_e32 v[18:19], s[28:29], v[16:17]
	v_add_f64 v[0:1], v[0:1], v[24:25]
	v_add_f64 v[2:3], v[2:3], v[18:19]
.LBB282_25:
	global_store_dwordx4 v[8:9], v[0:3], off
.LBB282_26:
	s_or_b64 exec, exec, s[6:7]
	v_add_u32_e32 v10, 16, v10
	v_ashrrev_i32_e32 v0, 31, v10
	v_mul_lo_u32 v2, s36, v0
	v_mul_lo_u32 v3, s37, v10
	v_mad_u64_u32 v[0:1], s[6:7], s36, v10, 0
	v_add3_u32 v1, v1, v2, v3
	v_cmp_le_i32_e32 vcc, v10, v4
	v_lshl_add_u64 v[8:9], v[0:1], 4, s[8:9]
	s_and_b64 s[6:7], vcc, s[2:3]
	s_and_saveexec_b64 s[2:3], s[6:7]
	s_cbranch_execz .LBB282_30
; %bb.27:
	v_mul_f64 v[0:1], s[12:13], v[22:23]
	v_mul_f64 v[2:3], s[10:11], v[22:23]
	v_fma_f64 v[0:1], s[10:11], v[20:21], -v[0:1]
	v_fmac_f64_e32 v[2:3], s[12:13], v[20:21]
	s_and_b64 vcc, exec, s[0:1]
	v_lshl_add_u64 v[4:5], v[4:5], 4, v[8:9]
	s_cbranch_vccnz .LBB282_29
; %bb.28:
	global_load_dwordx4 v[16:19], v[4:5], off
	s_waitcnt vmcnt(0)
	v_mul_f64 v[20:21], s[28:29], v[18:19]
	v_mul_f64 v[18:19], s[26:27], v[18:19]
	v_fma_f64 v[20:21], s[26:27], v[16:17], -v[20:21]
	v_fmac_f64_e32 v[18:19], s[28:29], v[16:17]
	v_add_f64 v[0:1], v[0:1], v[20:21]
	v_add_f64 v[2:3], v[2:3], v[18:19]
.LBB282_29:
	global_store_dwordx4 v[4:5], v[0:3], off
.LBB282_30:
	s_or_b64 exec, exec, s[2:3]
	v_cmp_le_i32_e32 vcc, v10, v6
	s_and_b64 s[2:3], vcc, s[4:5]
	s_and_saveexec_b64 s[4:5], s[2:3]
	s_cbranch_execz .LBB282_34
; %bb.31:
	v_mul_f64 v[0:1], s[12:13], v[12:13]
	v_mul_f64 v[2:3], s[10:11], v[12:13]
	v_fma_f64 v[0:1], s[10:11], v[14:15], -v[0:1]
	v_fmac_f64_e32 v[2:3], s[12:13], v[14:15]
	s_and_b64 vcc, exec, s[0:1]
	v_lshl_add_u64 v[4:5], v[6:7], 4, v[8:9]
	s_cbranch_vccnz .LBB282_33
; %bb.32:
	global_load_dwordx4 v[6:9], v[4:5], off
	s_waitcnt vmcnt(0)
	v_mul_f64 v[10:11], s[28:29], v[8:9]
	v_mul_f64 v[8:9], s[26:27], v[8:9]
	v_fma_f64 v[10:11], s[26:27], v[6:7], -v[10:11]
	v_fmac_f64_e32 v[8:9], s[28:29], v[6:7]
	v_add_f64 v[0:1], v[0:1], v[10:11]
	v_add_f64 v[2:3], v[2:3], v[8:9]
.LBB282_33:
	global_store_dwordx4 v[4:5], v[0:3], off
.LBB282_34:
	s_endpgm
	.section	.rodata,"a",@progbits
	.p2align	6, 0x0
	.amdhsa_kernel _ZL29rocblas_internal_gemmt_kernelIlLi16ELi32ELi8ELc84ELc78ELc76ELb0ELb0E19rocblas_complex_numIdES1_PKS1_PS1_EviT_T9_T10_S5_lS7_S5_lS6_T11_S5_li
		.amdhsa_group_segment_fixed_size 8192
		.amdhsa_private_segment_fixed_size 0
		.amdhsa_kernarg_size 124
		.amdhsa_user_sgpr_count 2
		.amdhsa_user_sgpr_dispatch_ptr 0
		.amdhsa_user_sgpr_queue_ptr 0
		.amdhsa_user_sgpr_kernarg_segment_ptr 1
		.amdhsa_user_sgpr_dispatch_id 0
		.amdhsa_user_sgpr_kernarg_preload_length 0
		.amdhsa_user_sgpr_kernarg_preload_offset 0
		.amdhsa_user_sgpr_private_segment_size 0
		.amdhsa_uses_dynamic_stack 0
		.amdhsa_enable_private_segment 0
		.amdhsa_system_sgpr_workgroup_id_x 1
		.amdhsa_system_sgpr_workgroup_id_y 1
		.amdhsa_system_sgpr_workgroup_id_z 1
		.amdhsa_system_sgpr_workgroup_info 0
		.amdhsa_system_vgpr_workitem_id 1
		.amdhsa_next_free_vgpr 62
		.amdhsa_next_free_sgpr 40
		.amdhsa_accum_offset 64
		.amdhsa_reserve_vcc 1
		.amdhsa_float_round_mode_32 0
		.amdhsa_float_round_mode_16_64 0
		.amdhsa_float_denorm_mode_32 3
		.amdhsa_float_denorm_mode_16_64 3
		.amdhsa_dx10_clamp 1
		.amdhsa_ieee_mode 1
		.amdhsa_fp16_overflow 0
		.amdhsa_tg_split 0
		.amdhsa_exception_fp_ieee_invalid_op 0
		.amdhsa_exception_fp_denorm_src 0
		.amdhsa_exception_fp_ieee_div_zero 0
		.amdhsa_exception_fp_ieee_overflow 0
		.amdhsa_exception_fp_ieee_underflow 0
		.amdhsa_exception_fp_ieee_inexact 0
		.amdhsa_exception_int_div_zero 0
	.end_amdhsa_kernel
	.section	.text._ZL29rocblas_internal_gemmt_kernelIlLi16ELi32ELi8ELc84ELc78ELc76ELb0ELb0E19rocblas_complex_numIdES1_PKS1_PS1_EviT_T9_T10_S5_lS7_S5_lS6_T11_S5_li,"axG",@progbits,_ZL29rocblas_internal_gemmt_kernelIlLi16ELi32ELi8ELc84ELc78ELc76ELb0ELb0E19rocblas_complex_numIdES1_PKS1_PS1_EviT_T9_T10_S5_lS7_S5_lS6_T11_S5_li,comdat
.Lfunc_end282:
	.size	_ZL29rocblas_internal_gemmt_kernelIlLi16ELi32ELi8ELc84ELc78ELc76ELb0ELb0E19rocblas_complex_numIdES1_PKS1_PS1_EviT_T9_T10_S5_lS7_S5_lS6_T11_S5_li, .Lfunc_end282-_ZL29rocblas_internal_gemmt_kernelIlLi16ELi32ELi8ELc84ELc78ELc76ELb0ELb0E19rocblas_complex_numIdES1_PKS1_PS1_EviT_T9_T10_S5_lS7_S5_lS6_T11_S5_li
                                        ; -- End function
	.set _ZL29rocblas_internal_gemmt_kernelIlLi16ELi32ELi8ELc84ELc78ELc76ELb0ELb0E19rocblas_complex_numIdES1_PKS1_PS1_EviT_T9_T10_S5_lS7_S5_lS6_T11_S5_li.num_vgpr, 62
	.set _ZL29rocblas_internal_gemmt_kernelIlLi16ELi32ELi8ELc84ELc78ELc76ELb0ELb0E19rocblas_complex_numIdES1_PKS1_PS1_EviT_T9_T10_S5_lS7_S5_lS6_T11_S5_li.num_agpr, 0
	.set _ZL29rocblas_internal_gemmt_kernelIlLi16ELi32ELi8ELc84ELc78ELc76ELb0ELb0E19rocblas_complex_numIdES1_PKS1_PS1_EviT_T9_T10_S5_lS7_S5_lS6_T11_S5_li.numbered_sgpr, 40
	.set _ZL29rocblas_internal_gemmt_kernelIlLi16ELi32ELi8ELc84ELc78ELc76ELb0ELb0E19rocblas_complex_numIdES1_PKS1_PS1_EviT_T9_T10_S5_lS7_S5_lS6_T11_S5_li.num_named_barrier, 0
	.set _ZL29rocblas_internal_gemmt_kernelIlLi16ELi32ELi8ELc84ELc78ELc76ELb0ELb0E19rocblas_complex_numIdES1_PKS1_PS1_EviT_T9_T10_S5_lS7_S5_lS6_T11_S5_li.private_seg_size, 0
	.set _ZL29rocblas_internal_gemmt_kernelIlLi16ELi32ELi8ELc84ELc78ELc76ELb0ELb0E19rocblas_complex_numIdES1_PKS1_PS1_EviT_T9_T10_S5_lS7_S5_lS6_T11_S5_li.uses_vcc, 1
	.set _ZL29rocblas_internal_gemmt_kernelIlLi16ELi32ELi8ELc84ELc78ELc76ELb0ELb0E19rocblas_complex_numIdES1_PKS1_PS1_EviT_T9_T10_S5_lS7_S5_lS6_T11_S5_li.uses_flat_scratch, 0
	.set _ZL29rocblas_internal_gemmt_kernelIlLi16ELi32ELi8ELc84ELc78ELc76ELb0ELb0E19rocblas_complex_numIdES1_PKS1_PS1_EviT_T9_T10_S5_lS7_S5_lS6_T11_S5_li.has_dyn_sized_stack, 0
	.set _ZL29rocblas_internal_gemmt_kernelIlLi16ELi32ELi8ELc84ELc78ELc76ELb0ELb0E19rocblas_complex_numIdES1_PKS1_PS1_EviT_T9_T10_S5_lS7_S5_lS6_T11_S5_li.has_recursion, 0
	.set _ZL29rocblas_internal_gemmt_kernelIlLi16ELi32ELi8ELc84ELc78ELc76ELb0ELb0E19rocblas_complex_numIdES1_PKS1_PS1_EviT_T9_T10_S5_lS7_S5_lS6_T11_S5_li.has_indirect_call, 0
	.section	.AMDGPU.csdata,"",@progbits
; Kernel info:
; codeLenInByte = 3236
; TotalNumSgprs: 46
; NumVgprs: 62
; NumAgprs: 0
; TotalNumVgprs: 62
; ScratchSize: 0
; MemoryBound: 0
; FloatMode: 240
; IeeeMode: 1
; LDSByteSize: 8192 bytes/workgroup (compile time only)
; SGPRBlocks: 5
; VGPRBlocks: 7
; NumSGPRsForWavesPerEU: 46
; NumVGPRsForWavesPerEU: 62
; AccumOffset: 64
; Occupancy: 8
; WaveLimiterHint : 0
; COMPUTE_PGM_RSRC2:SCRATCH_EN: 0
; COMPUTE_PGM_RSRC2:USER_SGPR: 2
; COMPUTE_PGM_RSRC2:TRAP_HANDLER: 0
; COMPUTE_PGM_RSRC2:TGID_X_EN: 1
; COMPUTE_PGM_RSRC2:TGID_Y_EN: 1
; COMPUTE_PGM_RSRC2:TGID_Z_EN: 1
; COMPUTE_PGM_RSRC2:TIDIG_COMP_CNT: 1
; COMPUTE_PGM_RSRC3_GFX90A:ACCUM_OFFSET: 15
; COMPUTE_PGM_RSRC3_GFX90A:TG_SPLIT: 0
	.section	.text._ZL29rocblas_internal_gemmt_kernelIlLi16ELi32ELi8ELc84ELc84ELc76ELb0ELb0E19rocblas_complex_numIdES1_PKS1_PS1_EviT_T9_T10_S5_lS7_S5_lS6_T11_S5_li,"axG",@progbits,_ZL29rocblas_internal_gemmt_kernelIlLi16ELi32ELi8ELc84ELc84ELc76ELb0ELb0E19rocblas_complex_numIdES1_PKS1_PS1_EviT_T9_T10_S5_lS7_S5_lS6_T11_S5_li,comdat
	.globl	_ZL29rocblas_internal_gemmt_kernelIlLi16ELi32ELi8ELc84ELc84ELc76ELb0ELb0E19rocblas_complex_numIdES1_PKS1_PS1_EviT_T9_T10_S5_lS7_S5_lS6_T11_S5_li ; -- Begin function _ZL29rocblas_internal_gemmt_kernelIlLi16ELi32ELi8ELc84ELc84ELc76ELb0ELb0E19rocblas_complex_numIdES1_PKS1_PS1_EviT_T9_T10_S5_lS7_S5_lS6_T11_S5_li
	.p2align	8
	.type	_ZL29rocblas_internal_gemmt_kernelIlLi16ELi32ELi8ELc84ELc84ELc76ELb0ELb0E19rocblas_complex_numIdES1_PKS1_PS1_EviT_T9_T10_S5_lS7_S5_lS6_T11_S5_li,@function
_ZL29rocblas_internal_gemmt_kernelIlLi16ELi32ELi8ELc84ELc84ELc76ELb0ELb0E19rocblas_complex_numIdES1_PKS1_PS1_EviT_T9_T10_S5_lS7_S5_lS6_T11_S5_li: ; @_ZL29rocblas_internal_gemmt_kernelIlLi16ELi32ELi8ELc84ELc84ELc76ELb0ELb0E19rocblas_complex_numIdES1_PKS1_PS1_EviT_T9_T10_S5_lS7_S5_lS6_T11_S5_li
; %bb.0:
	s_load_dwordx8 s[24:31], s[0:1], 0x48
	s_load_dwordx16 s[8:23], s[0:1], 0x8
	s_mov_b64 s[34:35], 0
	s_waitcnt lgkmcnt(0)
	v_cmp_eq_f64_e64 s[36:37], s[26:27], 1.0
	v_cmp_eq_f64_e64 s[6:7], s[28:29], 0
	s_and_b64 s[36:37], s[36:37], s[6:7]
	s_andn2_b64 vcc, exec, s[36:37]
	s_mov_b64 s[36:37], -1
	s_cbranch_vccnz .LBB283_4
; %bb.1:
	s_cmp_lg_u64 s[8:9], 0
	s_cbranch_scc0 .LBB283_3
; %bb.2:
	v_cmp_neq_f64_e64 s[34:35], s[10:11], 0
	v_cmp_neq_f64_e64 s[36:37], s[12:13], 0
	s_or_b64 s[34:35], s[34:35], s[36:37]
.LBB283_3:
	s_mov_b64 s[36:37], s[34:35]
.LBB283_4:
	s_and_b64 vcc, exec, s[36:37]
	s_cbranch_vccz .LBB283_34
; %bb.5:
	s_load_dwordx4 s[36:39], s[0:1], 0x68
	s_load_dword s33, s[0:1], 0x0
	s_lshl_b32 s5, s2, 5
	s_lshl_b32 s34, s3, 5
	v_cmp_eq_f64_e64 s[0:1], s[10:11], 0
	v_cmp_eq_f64_e64 s[2:3], s[12:13], 0
	s_and_b64 s[0:1], s[0:1], s[2:3]
	v_cmp_lt_i64_e64 s[2:3], s[8:9], 1
	s_or_b64 s[0:1], s[0:1], s[2:3]
	v_and_b32_e32 v1, 0x3ff, v0
	v_bfe_u32 v3, v0, 10, 10
	v_mov_b64_e32 v[24:25], 0
	s_and_b64 vcc, exec, s[0:1]
	v_mov_b64_e32 v[26:27], 0
	v_mov_b64_e32 v[16:17], 0
	;; [unrolled: 1-line block ×7, first 2 shown]
	s_cbranch_vccnz .LBB283_18
; %bb.6:
	s_mul_i32 s0, s25, s4
	s_mul_hi_u32 s1, s24, s4
	s_add_i32 s1, s1, s0
	s_mul_i32 s0, s24, s4
	s_lshl_b64 s[0:1], s[0:1], 4
	s_add_u32 s20, s20, s0
	s_addc_u32 s21, s21, s1
	s_mul_i32 s0, s19, s4
	s_mul_hi_u32 s1, s18, s4
	s_add_i32 s1, s1, s0
	s_mul_i32 s0, s18, s4
	v_lshl_add_u32 v4, v3, 4, v1
	s_lshl_b64 s[0:1], s[0:1], 4
	v_lshrrev_b32_e32 v2, 5, v4
	v_lshrrev_b32_e32 v7, 3, v4
	v_and_b32_e32 v4, 31, v4
	s_add_u32 s14, s14, s0
	v_or_b32_e32 v5, s5, v4
	s_addc_u32 s15, s15, s1
	v_lshlrev_b32_e32 v4, 4, v4
	s_ashr_i32 s24, s5, 31
	v_and_b32_e32 v0, 7, v1
	s_waitcnt lgkmcnt(0)
	v_cmp_gt_i32_e64 s[0:1], s33, v5
	v_cmp_le_i32_e64 s[2:3], s33, v5
	v_lshl_or_b32 v28, v2, 9, v4
	v_mul_lo_u32 v8, s17, v5
	v_mad_u64_u32 v[4:5], s[18:19], s16, v5, 0
	s_mul_i32 s16, s16, s24
	v_add3_u32 v5, v5, s16, v8
	v_lshlrev_b32_e32 v8, 4, v0
	v_add_u32_e32 v6, s34, v7
	v_lshl_or_b32 v7, v7, 7, v8
	v_cmp_gt_i32_e32 vcc, s33, v6
	v_add_u32_e32 v29, 0x1000, v7
	v_ashrrev_i32_e32 v7, 31, v6
	v_mov_b32_e32 v8, 0x1000
	v_mov_b32_e32 v9, 0
	v_lshl_add_u64 v[4:5], v[4:5], 4, s[14:15]
	v_lshl_add_u64 v[6:7], v[6:7], 4, s[20:21]
	v_lshlrev_b32_e32 v30, 4, v1
	v_lshl_add_u32 v31, v3, 7, v8
	v_mov_b64_e32 v[12:13], 0
	s_mov_b64 s[14:15], 0
	s_xor_b64 s[16:17], vcc, -1
	v_mov_b32_e32 v32, v9
	v_mov_b32_e32 v33, v9
	;; [unrolled: 1-line block ×4, first 2 shown]
	v_mov_b64_e32 v[14:15], 0
	v_mov_b64_e32 v[22:23], 0
	v_mov_b64_e32 v[20:21], 0
	v_mov_b64_e32 v[18:19], 0
	v_mov_b64_e32 v[16:17], 0
	v_mov_b64_e32 v[26:27], 0
	v_mov_b64_e32 v[24:25], 0
                                        ; implicit-def: $vgpr10_vgpr11
	s_branch .LBB283_8
.LBB283_7:                              ;   in Loop: Header=BB283_8 Depth=1
	s_or_b64 exec, exec, s[18:19]
	s_waitcnt lgkmcnt(0)
	s_barrier
	ds_read_b128 v[36:39], v31
	ds_read_b128 v[40:43], v31 offset:16
	ds_read_b128 v[44:47], v31 offset:32
	;; [unrolled: 1-line block ×3, first 2 shown]
	ds_read_b128 v[52:55], v30
	s_add_u32 s14, s14, 8
	s_addc_u32 s15, s15, 0
	s_waitcnt lgkmcnt(0)
	v_mul_f64 v[56:57], v[38:39], v[54:55]
	v_mul_f64 v[58:59], v[36:37], v[54:55]
	v_fma_f64 v[56:57], v[36:37], v[52:53], -v[56:57]
	v_fmac_f64_e32 v[58:59], v[38:39], v[52:53]
	v_add_f64 v[56:57], v[24:25], v[56:57]
	v_add_f64 v[58:59], v[58:59], v[26:27]
	ds_read_b128 v[24:27], v30 offset:256
	s_waitcnt lgkmcnt(0)
	v_mul_f64 v[60:61], v[38:39], v[26:27]
	v_fma_f64 v[60:61], v[36:37], v[24:25], -v[60:61]
	v_mul_f64 v[36:37], v[36:37], v[26:27]
	v_fmac_f64_e32 v[36:37], v[38:39], v[24:25]
	v_add_f64 v[38:39], v[16:17], v[60:61]
	v_add_f64 v[36:37], v[36:37], v[18:19]
	ds_read_b128 v[16:19], v31 offset:2048
	s_waitcnt lgkmcnt(0)
	v_mul_f64 v[60:61], v[18:19], v[54:55]
	v_fma_f64 v[60:61], v[16:17], v[52:53], -v[60:61]
	v_mul_f64 v[54:55], v[16:17], v[54:55]
	v_fmac_f64_e32 v[54:55], v[18:19], v[52:53]
	v_add_f64 v[52:53], v[20:21], v[60:61]
	v_mul_f64 v[20:21], v[18:19], v[26:27]
	v_fma_f64 v[20:21], v[16:17], v[24:25], -v[20:21]
	v_mul_f64 v[16:17], v[16:17], v[26:27]
	v_fmac_f64_e32 v[16:17], v[18:19], v[24:25]
	v_add_f64 v[24:25], v[14:15], v[20:21]
	v_add_f64 v[26:27], v[16:17], v[12:13]
	ds_read_b128 v[12:15], v30 offset:512
	v_add_f64 v[54:55], v[54:55], v[22:23]
	s_waitcnt lgkmcnt(0)
	v_mul_f64 v[16:17], v[42:43], v[14:15]
	v_mul_f64 v[18:19], v[40:41], v[14:15]
	v_fma_f64 v[16:17], v[40:41], v[12:13], -v[16:17]
	v_fmac_f64_e32 v[18:19], v[42:43], v[12:13]
	v_add_f64 v[56:57], v[56:57], v[16:17]
	v_add_f64 v[58:59], v[18:19], v[58:59]
	ds_read_b128 v[16:19], v30 offset:768
	s_waitcnt lgkmcnt(0)
	v_mul_f64 v[20:21], v[42:43], v[18:19]
	v_mul_f64 v[22:23], v[40:41], v[18:19]
	v_fma_f64 v[20:21], v[40:41], v[16:17], -v[20:21]
	v_fmac_f64_e32 v[22:23], v[42:43], v[16:17]
	v_add_f64 v[38:39], v[38:39], v[20:21]
	v_add_f64 v[36:37], v[22:23], v[36:37]
	ds_read_b128 v[20:23], v31 offset:2064
	s_waitcnt lgkmcnt(0)
	v_mul_f64 v[40:41], v[22:23], v[14:15]
	v_mul_f64 v[14:15], v[20:21], v[14:15]
	v_fmac_f64_e32 v[14:15], v[22:23], v[12:13]
	v_fma_f64 v[40:41], v[20:21], v[12:13], -v[40:41]
	v_add_f64 v[42:43], v[14:15], v[54:55]
	v_mul_f64 v[12:13], v[22:23], v[18:19]
	v_mul_f64 v[14:15], v[20:21], v[18:19]
	v_fma_f64 v[12:13], v[20:21], v[16:17], -v[12:13]
	v_fmac_f64_e32 v[14:15], v[22:23], v[16:17]
	v_add_f64 v[24:25], v[24:25], v[12:13]
	v_add_f64 v[26:27], v[14:15], v[26:27]
	ds_read_b128 v[12:15], v30 offset:1024
	v_add_f64 v[40:41], v[52:53], v[40:41]
	s_waitcnt lgkmcnt(0)
	v_mul_f64 v[16:17], v[46:47], v[14:15]
	v_mul_f64 v[18:19], v[44:45], v[14:15]
	v_fma_f64 v[16:17], v[44:45], v[12:13], -v[16:17]
	v_fmac_f64_e32 v[18:19], v[46:47], v[12:13]
	v_add_f64 v[52:53], v[56:57], v[16:17]
	v_add_f64 v[54:55], v[18:19], v[58:59]
	ds_read_b128 v[16:19], v30 offset:1280
	s_waitcnt lgkmcnt(0)
	v_mul_f64 v[20:21], v[46:47], v[18:19]
	v_mul_f64 v[22:23], v[44:45], v[18:19]
	v_fma_f64 v[20:21], v[44:45], v[16:17], -v[20:21]
	v_fmac_f64_e32 v[22:23], v[46:47], v[16:17]
	v_add_f64 v[38:39], v[38:39], v[20:21]
	v_add_f64 v[36:37], v[22:23], v[36:37]
	ds_read_b128 v[20:23], v31 offset:2080
	s_waitcnt lgkmcnt(0)
	v_mul_f64 v[44:45], v[22:23], v[14:15]
	v_mul_f64 v[14:15], v[20:21], v[14:15]
	v_fmac_f64_e32 v[14:15], v[22:23], v[12:13]
	v_fma_f64 v[44:45], v[20:21], v[12:13], -v[44:45]
	v_add_f64 v[42:43], v[14:15], v[42:43]
	v_mul_f64 v[12:13], v[22:23], v[18:19]
	v_mul_f64 v[14:15], v[20:21], v[18:19]
	v_fma_f64 v[12:13], v[20:21], v[16:17], -v[12:13]
	;; [unrolled: 30-line block ×3, first 2 shown]
	v_fmac_f64_e32 v[14:15], v[22:23], v[16:17]
	v_add_f64 v[24:25], v[24:25], v[12:13]
	v_add_f64 v[26:27], v[14:15], v[26:27]
	ds_read_b128 v[12:15], v31 offset:64
	ds_read_b128 v[16:19], v30 offset:2048
	v_add_f64 v[40:41], v[40:41], v[48:49]
	s_waitcnt lgkmcnt(0)
	v_mul_f64 v[20:21], v[14:15], v[18:19]
	v_mul_f64 v[22:23], v[12:13], v[18:19]
	v_fma_f64 v[20:21], v[12:13], v[16:17], -v[20:21]
	v_fmac_f64_e32 v[22:23], v[14:15], v[16:17]
	v_add_f64 v[44:45], v[44:45], v[20:21]
	v_add_f64 v[46:47], v[22:23], v[46:47]
	ds_read_b128 v[20:23], v30 offset:2304
	s_waitcnt lgkmcnt(0)
	v_mul_f64 v[48:49], v[14:15], v[22:23]
	v_fma_f64 v[48:49], v[12:13], v[20:21], -v[48:49]
	v_mul_f64 v[12:13], v[12:13], v[22:23]
	v_fmac_f64_e32 v[12:13], v[14:15], v[20:21]
	v_add_f64 v[36:37], v[12:13], v[36:37]
	ds_read_b128 v[12:15], v31 offset:2112
	v_add_f64 v[38:39], v[38:39], v[48:49]
	s_waitcnt lgkmcnt(0)
	v_mul_f64 v[48:49], v[14:15], v[18:19]
	v_mul_f64 v[18:19], v[12:13], v[18:19]
	v_fma_f64 v[48:49], v[12:13], v[16:17], -v[48:49]
	v_fmac_f64_e32 v[18:19], v[14:15], v[16:17]
	v_mul_f64 v[16:17], v[14:15], v[22:23]
	v_fma_f64 v[16:17], v[12:13], v[20:21], -v[16:17]
	v_mul_f64 v[12:13], v[12:13], v[22:23]
	v_fmac_f64_e32 v[12:13], v[14:15], v[20:21]
	v_add_f64 v[42:43], v[18:19], v[42:43]
	v_add_f64 v[24:25], v[24:25], v[16:17]
	v_add_f64 v[26:27], v[12:13], v[26:27]
	ds_read_b128 v[12:15], v31 offset:80
	ds_read_b128 v[16:19], v30 offset:2560
	v_add_f64 v[40:41], v[40:41], v[48:49]
	s_waitcnt lgkmcnt(0)
	v_mul_f64 v[20:21], v[14:15], v[18:19]
	v_mul_f64 v[22:23], v[12:13], v[18:19]
	v_fma_f64 v[20:21], v[12:13], v[16:17], -v[20:21]
	v_fmac_f64_e32 v[22:23], v[14:15], v[16:17]
	v_add_f64 v[44:45], v[44:45], v[20:21]
	v_add_f64 v[46:47], v[22:23], v[46:47]
	ds_read_b128 v[20:23], v30 offset:2816
	s_waitcnt lgkmcnt(0)
	v_mul_f64 v[48:49], v[14:15], v[22:23]
	v_fma_f64 v[48:49], v[12:13], v[20:21], -v[48:49]
	v_mul_f64 v[12:13], v[12:13], v[22:23]
	v_fmac_f64_e32 v[12:13], v[14:15], v[20:21]
	v_add_f64 v[36:37], v[12:13], v[36:37]
	ds_read_b128 v[12:15], v31 offset:2128
	v_add_f64 v[38:39], v[38:39], v[48:49]
	s_waitcnt lgkmcnt(0)
	v_mul_f64 v[48:49], v[14:15], v[18:19]
	v_mul_f64 v[18:19], v[12:13], v[18:19]
	v_fma_f64 v[48:49], v[12:13], v[16:17], -v[48:49]
	v_fmac_f64_e32 v[18:19], v[14:15], v[16:17]
	v_mul_f64 v[16:17], v[14:15], v[22:23]
	v_fma_f64 v[16:17], v[12:13], v[20:21], -v[16:17]
	v_mul_f64 v[12:13], v[12:13], v[22:23]
	v_fmac_f64_e32 v[12:13], v[14:15], v[20:21]
	v_add_f64 v[42:43], v[18:19], v[42:43]
	;; [unrolled: 31-line block ×3, first 2 shown]
	ds_read_b128 v[12:15], v31 offset:112
	ds_read_b128 v[20:23], v30 offset:3584
	v_add_f64 v[40:41], v[40:41], v[36:37]
	ds_read_b128 v[36:39], v30 offset:3840
	v_add_f64 v[52:53], v[24:25], v[16:17]
	v_add_f64 v[42:43], v[18:19], v[42:43]
	s_waitcnt lgkmcnt(1)
	v_mul_f64 v[16:17], v[14:15], v[22:23]
	v_fma_f64 v[16:17], v[12:13], v[20:21], -v[16:17]
	v_add_f64 v[24:25], v[44:45], v[16:17]
	s_waitcnt lgkmcnt(0)
	v_mul_f64 v[16:17], v[14:15], v[38:39]
	v_mul_f64 v[18:19], v[12:13], v[22:23]
	v_fma_f64 v[16:17], v[12:13], v[36:37], -v[16:17]
	v_mul_f64 v[12:13], v[12:13], v[38:39]
	v_fmac_f64_e32 v[18:19], v[14:15], v[20:21]
	v_fmac_f64_e32 v[12:13], v[14:15], v[36:37]
	v_add_f64 v[26:27], v[18:19], v[46:47]
	v_add_f64 v[18:19], v[12:13], v[50:51]
	ds_read_b128 v[12:15], v31 offset:2160
	v_add_f64 v[16:17], v[48:49], v[16:17]
	s_waitcnt lgkmcnt(0)
	s_barrier
	v_mul_f64 v[44:45], v[14:15], v[22:23]
	v_fma_f64 v[44:45], v[12:13], v[20:21], -v[44:45]
	v_mul_f64 v[22:23], v[12:13], v[22:23]
	v_fmac_f64_e32 v[22:23], v[14:15], v[20:21]
	v_add_f64 v[20:21], v[40:41], v[44:45]
	v_mul_f64 v[40:41], v[14:15], v[38:39]
	v_fma_f64 v[40:41], v[12:13], v[36:37], -v[40:41]
	v_mul_f64 v[12:13], v[12:13], v[38:39]
	v_fmac_f64_e32 v[12:13], v[14:15], v[36:37]
	v_mov_b64_e32 v[36:37], s[14:15]
	v_cmp_gt_i64_e32 vcc, s[8:9], v[36:37]
	v_add_f64 v[22:23], v[22:23], v[42:43]
	v_add_f64 v[14:15], v[52:53], v[40:41]
	;; [unrolled: 1-line block ×3, first 2 shown]
	s_cbranch_vccz .LBB283_18
.LBB283_8:                              ; =>This Inner Loop Header: Depth=1
	s_mov_b64 s[24:25], s[2:3]
	s_mov_b64 s[18:19], 0
	s_and_saveexec_b64 s[20:21], s[0:1]
	s_cbranch_execnz .LBB283_16
; %bb.9:                                ;   in Loop: Header=BB283_8 Depth=1
	s_or_b64 exec, exec, s[20:21]
	s_and_saveexec_b64 s[20:21], s[24:25]
	s_xor_b64 s[20:21], exec, s[20:21]
	s_cbranch_execnz .LBB283_17
.LBB283_10:                             ;   in Loop: Header=BB283_8 Depth=1
	s_or_b64 exec, exec, s[20:21]
	s_and_saveexec_b64 s[20:21], s[18:19]
	s_cbranch_execz .LBB283_12
.LBB283_11:                             ;   in Loop: Header=BB283_8 Depth=1
	v_lshl_add_u64 v[36:37], v[10:11], 4, v[4:5]
	global_load_dwordx4 v[36:39], v[36:37], off
	s_waitcnt vmcnt(0)
	ds_write2_b64 v28, v[36:37], v[38:39] offset1:1
.LBB283_12:                             ;   in Loop: Header=BB283_8 Depth=1
	s_or_b64 exec, exec, s[20:21]
	v_add_u32_e32 v8, s14, v0
	v_cmp_le_u64_e32 vcc, s[8:9], v[8:9]
	s_or_b64 s[18:19], vcc, s[16:17]
	s_and_saveexec_b64 s[20:21], s[18:19]
	s_xor_b64 s[18:19], exec, s[20:21]
; %bb.13:                               ;   in Loop: Header=BB283_8 Depth=1
	ds_write_b128 v29, v[32:35]
; %bb.14:                               ;   in Loop: Header=BB283_8 Depth=1
	s_andn2_saveexec_b64 s[18:19], s[18:19]
	s_cbranch_execz .LBB283_7
; %bb.15:                               ;   in Loop: Header=BB283_8 Depth=1
	v_mad_u64_u32 v[36:37], s[20:21], s22, v8, 0
	v_mov_b32_e32 v38, v37
	v_mad_u64_u32 v[38:39], s[20:21], s23, v8, v[38:39]
	v_mov_b32_e32 v37, v38
	v_lshl_add_u64 v[36:37], v[36:37], 4, v[6:7]
	global_load_dwordx4 v[36:39], v[36:37], off
	s_waitcnt vmcnt(0)
	ds_write2_b64 v29, v[36:37], v[38:39] offset1:1
	s_branch .LBB283_7
.LBB283_16:                             ;   in Loop: Header=BB283_8 Depth=1
	v_add_u32_e32 v8, s14, v2
	v_cmp_le_u64_e32 vcc, s[8:9], v[8:9]
	s_andn2_b64 s[24:25], s[2:3], exec
	s_and_b64 s[40:41], vcc, exec
	s_mov_b64 s[18:19], exec
	s_or_b64 s[24:25], s[24:25], s[40:41]
	v_mov_b64_e32 v[10:11], v[8:9]
	s_or_b64 exec, exec, s[20:21]
	s_and_saveexec_b64 s[20:21], s[24:25]
	s_xor_b64 s[20:21], exec, s[20:21]
	s_cbranch_execz .LBB283_10
.LBB283_17:                             ;   in Loop: Header=BB283_8 Depth=1
	ds_write_b128 v28, v[32:35]
	s_andn2_b64 s[18:19], s[18:19], exec
	s_or_b64 exec, exec, s[20:21]
	s_and_saveexec_b64 s[20:21], s[18:19]
	s_cbranch_execnz .LBB283_11
	s_branch .LBB283_12
.LBB283_18:
	s_waitcnt lgkmcnt(0)
	s_mul_i32 s0, s39, s4
	s_mul_hi_u32 s1, s38, s4
	s_add_i32 s1, s1, s0
	s_mul_i32 s0, s38, s4
	s_lshl_b64 s[0:1], s[0:1], 4
	v_add_u32_e32 v10, s34, v3
	s_add_u32 s8, s30, s0
	v_ashrrev_i32_e32 v0, 31, v10
	s_addc_u32 s9, s31, s1
	v_add_u32_e32 v4, s5, v1
	v_cmp_neq_f64_e64 s[0:1], s[26:27], 0
	s_xor_b64 s[4:5], s[6:7], -1
	v_mul_lo_u32 v2, s36, v0
	v_mul_lo_u32 v3, s37, v10
	v_mad_u64_u32 v[0:1], s[2:3], s36, v10, 0
	v_add3_u32 v1, v1, v2, v3
	s_or_b64 s[0:1], s[0:1], s[4:5]
	v_lshl_add_u64 v[8:9], v[0:1], 4, s[8:9]
	v_cmp_le_i32_e32 vcc, v10, v4
	v_cmp_gt_i32_e64 s[2:3], s33, v4
	v_cndmask_b32_e64 v0, 0, 1, s[0:1]
	s_and_b64 s[6:7], vcc, s[2:3]
	v_ashrrev_i32_e32 v5, 31, v4
	v_cmp_ne_u32_e64 s[0:1], 1, v0
	s_and_saveexec_b64 s[4:5], s[6:7]
	s_cbranch_execz .LBB283_22
; %bb.19:
	v_mul_f64 v[0:1], s[12:13], v[26:27]
	v_mul_f64 v[2:3], s[10:11], v[26:27]
	v_fma_f64 v[0:1], s[10:11], v[24:25], -v[0:1]
	v_fmac_f64_e32 v[2:3], s[12:13], v[24:25]
	s_and_b64 vcc, exec, s[0:1]
	v_lshl_add_u64 v[6:7], v[4:5], 4, v[8:9]
	s_cbranch_vccnz .LBB283_21
; %bb.20:
	global_load_dwordx4 v[24:27], v[6:7], off
	s_waitcnt vmcnt(0)
	v_mul_f64 v[28:29], s[28:29], v[26:27]
	v_mul_f64 v[26:27], s[26:27], v[26:27]
	v_fma_f64 v[28:29], s[26:27], v[24:25], -v[28:29]
	v_fmac_f64_e32 v[26:27], s[28:29], v[24:25]
	v_add_f64 v[0:1], v[0:1], v[28:29]
	v_add_f64 v[2:3], v[2:3], v[26:27]
.LBB283_21:
	global_store_dwordx4 v[6:7], v[0:3], off
.LBB283_22:
	s_or_b64 exec, exec, s[4:5]
	v_add_u32_e32 v6, 16, v4
	v_cmp_le_i32_e32 vcc, v10, v6
	v_cmp_gt_i32_e64 s[4:5], s33, v6
	s_and_b64 s[14:15], vcc, s[4:5]
	v_ashrrev_i32_e32 v7, 31, v6
	s_and_saveexec_b64 s[6:7], s[14:15]
	s_cbranch_execz .LBB283_26
; %bb.23:
	v_mul_f64 v[0:1], s[12:13], v[18:19]
	v_mul_f64 v[2:3], s[10:11], v[18:19]
	v_fma_f64 v[0:1], s[10:11], v[16:17], -v[0:1]
	v_fmac_f64_e32 v[2:3], s[12:13], v[16:17]
	s_and_b64 vcc, exec, s[0:1]
	v_lshl_add_u64 v[8:9], v[6:7], 4, v[8:9]
	s_cbranch_vccnz .LBB283_25
; %bb.24:
	global_load_dwordx4 v[16:19], v[8:9], off
	s_waitcnt vmcnt(0)
	v_mul_f64 v[24:25], s[28:29], v[18:19]
	v_mul_f64 v[18:19], s[26:27], v[18:19]
	v_fma_f64 v[24:25], s[26:27], v[16:17], -v[24:25]
	v_fmac_f64_e32 v[18:19], s[28:29], v[16:17]
	v_add_f64 v[0:1], v[0:1], v[24:25]
	v_add_f64 v[2:3], v[2:3], v[18:19]
.LBB283_25:
	global_store_dwordx4 v[8:9], v[0:3], off
.LBB283_26:
	s_or_b64 exec, exec, s[6:7]
	v_add_u32_e32 v10, 16, v10
	v_ashrrev_i32_e32 v0, 31, v10
	v_mul_lo_u32 v2, s36, v0
	v_mul_lo_u32 v3, s37, v10
	v_mad_u64_u32 v[0:1], s[6:7], s36, v10, 0
	v_add3_u32 v1, v1, v2, v3
	v_cmp_le_i32_e32 vcc, v10, v4
	v_lshl_add_u64 v[8:9], v[0:1], 4, s[8:9]
	s_and_b64 s[6:7], vcc, s[2:3]
	s_and_saveexec_b64 s[2:3], s[6:7]
	s_cbranch_execz .LBB283_30
; %bb.27:
	v_mul_f64 v[0:1], s[12:13], v[22:23]
	v_mul_f64 v[2:3], s[10:11], v[22:23]
	v_fma_f64 v[0:1], s[10:11], v[20:21], -v[0:1]
	v_fmac_f64_e32 v[2:3], s[12:13], v[20:21]
	s_and_b64 vcc, exec, s[0:1]
	v_lshl_add_u64 v[4:5], v[4:5], 4, v[8:9]
	s_cbranch_vccnz .LBB283_29
; %bb.28:
	global_load_dwordx4 v[16:19], v[4:5], off
	s_waitcnt vmcnt(0)
	v_mul_f64 v[20:21], s[28:29], v[18:19]
	v_mul_f64 v[18:19], s[26:27], v[18:19]
	v_fma_f64 v[20:21], s[26:27], v[16:17], -v[20:21]
	v_fmac_f64_e32 v[18:19], s[28:29], v[16:17]
	v_add_f64 v[0:1], v[0:1], v[20:21]
	v_add_f64 v[2:3], v[2:3], v[18:19]
.LBB283_29:
	global_store_dwordx4 v[4:5], v[0:3], off
.LBB283_30:
	s_or_b64 exec, exec, s[2:3]
	v_cmp_le_i32_e32 vcc, v10, v6
	s_and_b64 s[2:3], vcc, s[4:5]
	s_and_saveexec_b64 s[4:5], s[2:3]
	s_cbranch_execz .LBB283_34
; %bb.31:
	v_mul_f64 v[0:1], s[12:13], v[12:13]
	v_mul_f64 v[2:3], s[10:11], v[12:13]
	v_fma_f64 v[0:1], s[10:11], v[14:15], -v[0:1]
	v_fmac_f64_e32 v[2:3], s[12:13], v[14:15]
	s_and_b64 vcc, exec, s[0:1]
	v_lshl_add_u64 v[4:5], v[6:7], 4, v[8:9]
	s_cbranch_vccnz .LBB283_33
; %bb.32:
	global_load_dwordx4 v[6:9], v[4:5], off
	s_waitcnt vmcnt(0)
	v_mul_f64 v[10:11], s[28:29], v[8:9]
	v_mul_f64 v[8:9], s[26:27], v[8:9]
	v_fma_f64 v[10:11], s[26:27], v[6:7], -v[10:11]
	v_fmac_f64_e32 v[8:9], s[28:29], v[6:7]
	v_add_f64 v[0:1], v[0:1], v[10:11]
	v_add_f64 v[2:3], v[2:3], v[8:9]
.LBB283_33:
	global_store_dwordx4 v[4:5], v[0:3], off
.LBB283_34:
	s_endpgm
	.section	.rodata,"a",@progbits
	.p2align	6, 0x0
	.amdhsa_kernel _ZL29rocblas_internal_gemmt_kernelIlLi16ELi32ELi8ELc84ELc84ELc76ELb0ELb0E19rocblas_complex_numIdES1_PKS1_PS1_EviT_T9_T10_S5_lS7_S5_lS6_T11_S5_li
		.amdhsa_group_segment_fixed_size 8192
		.amdhsa_private_segment_fixed_size 0
		.amdhsa_kernarg_size 124
		.amdhsa_user_sgpr_count 2
		.amdhsa_user_sgpr_dispatch_ptr 0
		.amdhsa_user_sgpr_queue_ptr 0
		.amdhsa_user_sgpr_kernarg_segment_ptr 1
		.amdhsa_user_sgpr_dispatch_id 0
		.amdhsa_user_sgpr_kernarg_preload_length 0
		.amdhsa_user_sgpr_kernarg_preload_offset 0
		.amdhsa_user_sgpr_private_segment_size 0
		.amdhsa_uses_dynamic_stack 0
		.amdhsa_enable_private_segment 0
		.amdhsa_system_sgpr_workgroup_id_x 1
		.amdhsa_system_sgpr_workgroup_id_y 1
		.amdhsa_system_sgpr_workgroup_id_z 1
		.amdhsa_system_sgpr_workgroup_info 0
		.amdhsa_system_vgpr_workitem_id 1
		.amdhsa_next_free_vgpr 62
		.amdhsa_next_free_sgpr 42
		.amdhsa_accum_offset 64
		.amdhsa_reserve_vcc 1
		.amdhsa_float_round_mode_32 0
		.amdhsa_float_round_mode_16_64 0
		.amdhsa_float_denorm_mode_32 3
		.amdhsa_float_denorm_mode_16_64 3
		.amdhsa_dx10_clamp 1
		.amdhsa_ieee_mode 1
		.amdhsa_fp16_overflow 0
		.amdhsa_tg_split 0
		.amdhsa_exception_fp_ieee_invalid_op 0
		.amdhsa_exception_fp_denorm_src 0
		.amdhsa_exception_fp_ieee_div_zero 0
		.amdhsa_exception_fp_ieee_overflow 0
		.amdhsa_exception_fp_ieee_underflow 0
		.amdhsa_exception_fp_ieee_inexact 0
		.amdhsa_exception_int_div_zero 0
	.end_amdhsa_kernel
	.section	.text._ZL29rocblas_internal_gemmt_kernelIlLi16ELi32ELi8ELc84ELc84ELc76ELb0ELb0E19rocblas_complex_numIdES1_PKS1_PS1_EviT_T9_T10_S5_lS7_S5_lS6_T11_S5_li,"axG",@progbits,_ZL29rocblas_internal_gemmt_kernelIlLi16ELi32ELi8ELc84ELc84ELc76ELb0ELb0E19rocblas_complex_numIdES1_PKS1_PS1_EviT_T9_T10_S5_lS7_S5_lS6_T11_S5_li,comdat
.Lfunc_end283:
	.size	_ZL29rocblas_internal_gemmt_kernelIlLi16ELi32ELi8ELc84ELc84ELc76ELb0ELb0E19rocblas_complex_numIdES1_PKS1_PS1_EviT_T9_T10_S5_lS7_S5_lS6_T11_S5_li, .Lfunc_end283-_ZL29rocblas_internal_gemmt_kernelIlLi16ELi32ELi8ELc84ELc84ELc76ELb0ELb0E19rocblas_complex_numIdES1_PKS1_PS1_EviT_T9_T10_S5_lS7_S5_lS6_T11_S5_li
                                        ; -- End function
	.set _ZL29rocblas_internal_gemmt_kernelIlLi16ELi32ELi8ELc84ELc84ELc76ELb0ELb0E19rocblas_complex_numIdES1_PKS1_PS1_EviT_T9_T10_S5_lS7_S5_lS6_T11_S5_li.num_vgpr, 62
	.set _ZL29rocblas_internal_gemmt_kernelIlLi16ELi32ELi8ELc84ELc84ELc76ELb0ELb0E19rocblas_complex_numIdES1_PKS1_PS1_EviT_T9_T10_S5_lS7_S5_lS6_T11_S5_li.num_agpr, 0
	.set _ZL29rocblas_internal_gemmt_kernelIlLi16ELi32ELi8ELc84ELc84ELc76ELb0ELb0E19rocblas_complex_numIdES1_PKS1_PS1_EviT_T9_T10_S5_lS7_S5_lS6_T11_S5_li.numbered_sgpr, 42
	.set _ZL29rocblas_internal_gemmt_kernelIlLi16ELi32ELi8ELc84ELc84ELc76ELb0ELb0E19rocblas_complex_numIdES1_PKS1_PS1_EviT_T9_T10_S5_lS7_S5_lS6_T11_S5_li.num_named_barrier, 0
	.set _ZL29rocblas_internal_gemmt_kernelIlLi16ELi32ELi8ELc84ELc84ELc76ELb0ELb0E19rocblas_complex_numIdES1_PKS1_PS1_EviT_T9_T10_S5_lS7_S5_lS6_T11_S5_li.private_seg_size, 0
	.set _ZL29rocblas_internal_gemmt_kernelIlLi16ELi32ELi8ELc84ELc84ELc76ELb0ELb0E19rocblas_complex_numIdES1_PKS1_PS1_EviT_T9_T10_S5_lS7_S5_lS6_T11_S5_li.uses_vcc, 1
	.set _ZL29rocblas_internal_gemmt_kernelIlLi16ELi32ELi8ELc84ELc84ELc76ELb0ELb0E19rocblas_complex_numIdES1_PKS1_PS1_EviT_T9_T10_S5_lS7_S5_lS6_T11_S5_li.uses_flat_scratch, 0
	.set _ZL29rocblas_internal_gemmt_kernelIlLi16ELi32ELi8ELc84ELc84ELc76ELb0ELb0E19rocblas_complex_numIdES1_PKS1_PS1_EviT_T9_T10_S5_lS7_S5_lS6_T11_S5_li.has_dyn_sized_stack, 0
	.set _ZL29rocblas_internal_gemmt_kernelIlLi16ELi32ELi8ELc84ELc84ELc76ELb0ELb0E19rocblas_complex_numIdES1_PKS1_PS1_EviT_T9_T10_S5_lS7_S5_lS6_T11_S5_li.has_recursion, 0
	.set _ZL29rocblas_internal_gemmt_kernelIlLi16ELi32ELi8ELc84ELc84ELc76ELb0ELb0E19rocblas_complex_numIdES1_PKS1_PS1_EviT_T9_T10_S5_lS7_S5_lS6_T11_S5_li.has_indirect_call, 0
	.section	.AMDGPU.csdata,"",@progbits
; Kernel info:
; codeLenInByte = 3228
; TotalNumSgprs: 48
; NumVgprs: 62
; NumAgprs: 0
; TotalNumVgprs: 62
; ScratchSize: 0
; MemoryBound: 0
; FloatMode: 240
; IeeeMode: 1
; LDSByteSize: 8192 bytes/workgroup (compile time only)
; SGPRBlocks: 5
; VGPRBlocks: 7
; NumSGPRsForWavesPerEU: 48
; NumVGPRsForWavesPerEU: 62
; AccumOffset: 64
; Occupancy: 8
; WaveLimiterHint : 0
; COMPUTE_PGM_RSRC2:SCRATCH_EN: 0
; COMPUTE_PGM_RSRC2:USER_SGPR: 2
; COMPUTE_PGM_RSRC2:TRAP_HANDLER: 0
; COMPUTE_PGM_RSRC2:TGID_X_EN: 1
; COMPUTE_PGM_RSRC2:TGID_Y_EN: 1
; COMPUTE_PGM_RSRC2:TGID_Z_EN: 1
; COMPUTE_PGM_RSRC2:TIDIG_COMP_CNT: 1
; COMPUTE_PGM_RSRC3_GFX90A:ACCUM_OFFSET: 15
; COMPUTE_PGM_RSRC3_GFX90A:TG_SPLIT: 0
	.section	.text._ZL29rocblas_internal_gemmt_kernelIlLi16ELi32ELi8ELc84ELc67ELc76ELb0ELb1E19rocblas_complex_numIdES1_PKS1_PS1_EviT_T9_T10_S5_lS7_S5_lS6_T11_S5_li,"axG",@progbits,_ZL29rocblas_internal_gemmt_kernelIlLi16ELi32ELi8ELc84ELc67ELc76ELb0ELb1E19rocblas_complex_numIdES1_PKS1_PS1_EviT_T9_T10_S5_lS7_S5_lS6_T11_S5_li,comdat
	.globl	_ZL29rocblas_internal_gemmt_kernelIlLi16ELi32ELi8ELc84ELc67ELc76ELb0ELb1E19rocblas_complex_numIdES1_PKS1_PS1_EviT_T9_T10_S5_lS7_S5_lS6_T11_S5_li ; -- Begin function _ZL29rocblas_internal_gemmt_kernelIlLi16ELi32ELi8ELc84ELc67ELc76ELb0ELb1E19rocblas_complex_numIdES1_PKS1_PS1_EviT_T9_T10_S5_lS7_S5_lS6_T11_S5_li
	.p2align	8
	.type	_ZL29rocblas_internal_gemmt_kernelIlLi16ELi32ELi8ELc84ELc67ELc76ELb0ELb1E19rocblas_complex_numIdES1_PKS1_PS1_EviT_T9_T10_S5_lS7_S5_lS6_T11_S5_li,@function
_ZL29rocblas_internal_gemmt_kernelIlLi16ELi32ELi8ELc84ELc67ELc76ELb0ELb1E19rocblas_complex_numIdES1_PKS1_PS1_EviT_T9_T10_S5_lS7_S5_lS6_T11_S5_li: ; @_ZL29rocblas_internal_gemmt_kernelIlLi16ELi32ELi8ELc84ELc67ELc76ELb0ELb1E19rocblas_complex_numIdES1_PKS1_PS1_EviT_T9_T10_S5_lS7_S5_lS6_T11_S5_li
; %bb.0:
	s_load_dwordx8 s[24:31], s[0:1], 0x48
	s_load_dwordx16 s[8:23], s[0:1], 0x8
	s_mov_b64 s[34:35], 0
	s_waitcnt lgkmcnt(0)
	v_cmp_eq_f64_e64 s[36:37], s[26:27], 1.0
	v_cmp_eq_f64_e64 s[6:7], s[28:29], 0
	s_and_b64 s[36:37], s[36:37], s[6:7]
	s_andn2_b64 vcc, exec, s[36:37]
	s_mov_b64 s[36:37], -1
	s_cbranch_vccnz .LBB284_4
; %bb.1:
	s_cmp_lg_u64 s[8:9], 0
	s_cbranch_scc0 .LBB284_3
; %bb.2:
	v_cmp_neq_f64_e64 s[34:35], s[10:11], 0
	v_cmp_neq_f64_e64 s[36:37], s[12:13], 0
	s_or_b64 s[34:35], s[34:35], s[36:37]
.LBB284_3:
	s_mov_b64 s[36:37], s[34:35]
.LBB284_4:
	s_and_b64 vcc, exec, s[36:37]
	s_cbranch_vccz .LBB284_32
; %bb.5:
	s_load_dwordx4 s[36:39], s[0:1], 0x68
	s_load_dword s33, s[0:1], 0x0
	s_lshl_b32 s5, s2, 5
	s_lshl_b32 s34, s3, 5
	v_cmp_eq_f64_e64 s[0:1], s[10:11], 0
	v_cmp_eq_f64_e64 s[2:3], s[12:13], 0
	s_and_b64 s[0:1], s[0:1], s[2:3]
	v_cmp_lt_i64_e64 s[2:3], s[8:9], 1
	s_or_b64 s[0:1], s[0:1], s[2:3]
	v_and_b32_e32 v5, 0x3ff, v0
	v_bfe_u32 v7, v0, 10, 10
	v_mov_b64_e32 v[28:29], 0
	s_and_b64 vcc, exec, s[0:1]
	v_mov_b64_e32 v[30:31], 0
	v_mov_b64_e32 v[24:25], 0
	;; [unrolled: 1-line block ×7, first 2 shown]
	s_cbranch_vccnz .LBB284_16
; %bb.6:
	s_mul_i32 s0, s25, s4
	s_mul_hi_u32 s1, s24, s4
	s_add_i32 s1, s1, s0
	s_mul_i32 s0, s24, s4
	s_lshl_b64 s[0:1], s[0:1], 4
	s_add_u32 s20, s20, s0
	s_addc_u32 s21, s21, s1
	s_mul_i32 s0, s19, s4
	s_mul_hi_u32 s1, s18, s4
	s_add_i32 s1, s1, s0
	s_mul_i32 s0, s18, s4
	v_lshl_add_u32 v1, v7, 4, v5
	s_lshl_b64 s[0:1], s[0:1], 4
	v_lshrrev_b32_e32 v6, 5, v1
	v_lshrrev_b32_e32 v10, 3, v1
	v_and_b32_e32 v1, 31, v1
	s_add_u32 s2, s14, s0
	v_or_b32_e32 v2, s5, v1
	s_addc_u32 s3, s15, s1
	v_lshlrev_b32_e32 v1, 4, v1
	s_ashr_i32 s24, s5, 31
	v_and_b32_e32 v4, 7, v5
	s_waitcnt lgkmcnt(0)
	v_cmp_gt_i32_e64 s[0:1], s33, v2
	v_cmp_le_i32_e64 s[14:15], s33, v2
	v_lshl_or_b32 v32, v6, 9, v1
	v_mul_lo_u32 v1, s17, v2
	v_mad_u64_u32 v[2:3], s[18:19], s16, v2, 0
	s_mul_i32 s16, s16, s24
	v_add3_u32 v3, v3, s16, v1
	v_lshlrev_b32_e32 v1, 4, v4
	v_add_u32_e32 v0, s34, v10
	v_lshl_or_b32 v1, v10, 7, v1
	v_add_u32_e32 v33, 0x1000, v1
	v_ashrrev_i32_e32 v1, 31, v0
	v_lshl_add_u64 v[8:9], v[2:3], 4, s[2:3]
	v_cmp_gt_i32_e64 s[2:3], s33, v0
	v_lshl_add_u64 v[10:11], v[0:1], 4, s[20:21]
	v_mov_b32_e32 v0, 0x1000
	v_mov_b32_e32 v13, 0
	v_lshlrev_b32_e32 v34, 4, v5
	v_lshl_add_u32 v35, v7, 7, v0
	v_mov_b64_e32 v[16:17], 0
	s_mov_b64 s[16:17], 0
	v_mov_b32_e32 v36, v13
	v_mov_b32_e32 v37, v13
	;; [unrolled: 1-line block ×4, first 2 shown]
	v_mov_b64_e32 v[18:19], 0
	v_mov_b64_e32 v[22:23], 0
	;; [unrolled: 1-line block ×7, first 2 shown]
                                        ; implicit-def: $vgpr14_vgpr15
	s_branch .LBB284_8
.LBB284_7:                              ;   in Loop: Header=BB284_8 Depth=1
	s_or_b64 exec, exec, s[18:19]
	ds_write_b128 v33, v[0:3]
	s_waitcnt lgkmcnt(0)
	s_barrier
	ds_read_b128 v[0:3], v34
	ds_read_b128 v[40:43], v35
	ds_read_b128 v[44:47], v35 offset:16
	ds_read_b128 v[48:51], v35 offset:32
	ds_read_b128 v[52:55], v35 offset:48
	ds_read_b128 v[56:59], v34 offset:256
	s_waitcnt lgkmcnt(4)
	v_mul_f64 v[60:61], v[42:43], v[2:3]
	v_fma_f64 v[60:61], v[40:41], v[0:1], -v[60:61]
	v_mul_f64 v[62:63], v[40:41], v[2:3]
	v_fmac_f64_e32 v[62:63], v[42:43], v[0:1]
	v_add_f64 v[60:61], v[28:29], v[60:61]
	s_waitcnt lgkmcnt(0)
	v_mul_f64 v[28:29], v[42:43], v[58:59]
	v_add_f64 v[62:63], v[62:63], v[30:31]
	v_fma_f64 v[64:65], v[40:41], v[56:57], -v[28:29]
	ds_read_b128 v[28:31], v35 offset:2048
	v_mul_f64 v[40:41], v[40:41], v[58:59]
	v_fmac_f64_e32 v[40:41], v[42:43], v[56:57]
	v_add_f64 v[42:43], v[24:25], v[64:65]
	v_add_f64 v[40:41], v[40:41], v[26:27]
	ds_read_b128 v[24:27], v35 offset:2064
	s_waitcnt lgkmcnt(1)
	v_mul_f64 v[64:65], v[30:31], v[2:3]
	v_mul_f64 v[2:3], v[28:29], v[2:3]
	v_fma_f64 v[64:65], v[28:29], v[0:1], -v[64:65]
	v_fmac_f64_e32 v[2:3], v[30:31], v[0:1]
	v_mul_f64 v[0:1], v[30:31], v[58:59]
	v_add_f64 v[20:21], v[20:21], v[64:65]
	v_add_f64 v[22:23], v[2:3], v[22:23]
	v_fma_f64 v[64:65], v[28:29], v[56:57], -v[0:1]
	v_mul_f64 v[28:29], v[28:29], v[58:59]
	ds_read_b128 v[0:3], v34 offset:512
	v_fmac_f64_e32 v[28:29], v[30:31], v[56:57]
	v_add_f64 v[30:31], v[18:19], v[64:65]
	v_add_f64 v[28:29], v[28:29], v[16:17]
	ds_read_b128 v[16:19], v34 offset:768
	s_waitcnt lgkmcnt(1)
	v_mul_f64 v[56:57], v[46:47], v[2:3]
	v_fma_f64 v[56:57], v[44:45], v[0:1], -v[56:57]
	v_add_f64 v[56:57], v[60:61], v[56:57]
	v_mul_f64 v[58:59], v[44:45], v[2:3]
	s_waitcnt lgkmcnt(0)
	v_mul_f64 v[60:61], v[46:47], v[18:19]
	v_fma_f64 v[60:61], v[44:45], v[16:17], -v[60:61]
	v_mul_f64 v[44:45], v[44:45], v[18:19]
	v_fmac_f64_e32 v[44:45], v[46:47], v[16:17]
	v_add_f64 v[40:41], v[44:45], v[40:41]
	v_mul_f64 v[44:45], v[26:27], v[2:3]
	v_mul_f64 v[2:3], v[24:25], v[2:3]
	v_fmac_f64_e32 v[58:59], v[46:47], v[0:1]
	v_fma_f64 v[44:45], v[24:25], v[0:1], -v[44:45]
	v_fmac_f64_e32 v[2:3], v[26:27], v[0:1]
	v_mul_f64 v[0:1], v[26:27], v[18:19]
	v_add_f64 v[44:45], v[20:21], v[44:45]
	v_add_f64 v[46:47], v[2:3], v[22:23]
	v_fma_f64 v[20:21], v[24:25], v[16:17], -v[0:1]
	v_mul_f64 v[18:19], v[24:25], v[18:19]
	ds_read_b128 v[0:3], v34 offset:1024
	v_fmac_f64_e32 v[18:19], v[26:27], v[16:17]
	v_add_f64 v[28:29], v[18:19], v[28:29]
	ds_read_b128 v[16:19], v34 offset:1280
	v_add_f64 v[30:31], v[30:31], v[20:21]
	s_waitcnt lgkmcnt(1)
	v_mul_f64 v[20:21], v[50:51], v[2:3]
	v_fma_f64 v[20:21], v[48:49], v[0:1], -v[20:21]
	v_mul_f64 v[22:23], v[48:49], v[2:3]
	v_add_f64 v[58:59], v[58:59], v[62:63]
	v_fmac_f64_e32 v[22:23], v[50:51], v[0:1]
	v_add_f64 v[56:57], v[56:57], v[20:21]
	s_waitcnt lgkmcnt(0)
	v_mul_f64 v[20:21], v[50:51], v[18:19]
	v_add_f64 v[58:59], v[22:23], v[58:59]
	v_fma_f64 v[24:25], v[48:49], v[16:17], -v[20:21]
	ds_read_b128 v[20:23], v35 offset:2080
	v_mul_f64 v[26:27], v[48:49], v[18:19]
	v_add_f64 v[42:43], v[42:43], v[60:61]
	v_fmac_f64_e32 v[26:27], v[50:51], v[16:17]
	v_add_f64 v[42:43], v[42:43], v[24:25]
	v_add_f64 v[40:41], v[26:27], v[40:41]
	ds_read_b128 v[24:27], v35 offset:2096
	s_waitcnt lgkmcnt(1)
	v_mul_f64 v[48:49], v[22:23], v[2:3]
	v_mul_f64 v[2:3], v[20:21], v[2:3]
	v_fma_f64 v[48:49], v[20:21], v[0:1], -v[48:49]
	v_fmac_f64_e32 v[2:3], v[22:23], v[0:1]
	v_mul_f64 v[0:1], v[22:23], v[18:19]
	v_mul_f64 v[18:19], v[20:21], v[18:19]
	v_fmac_f64_e32 v[18:19], v[22:23], v[16:17]
	v_add_f64 v[44:45], v[44:45], v[48:49]
	v_add_f64 v[46:47], v[2:3], v[46:47]
	v_fma_f64 v[48:49], v[20:21], v[16:17], -v[0:1]
	ds_read_b128 v[0:3], v34 offset:1536
	v_add_f64 v[22:23], v[18:19], v[28:29]
	ds_read_b128 v[16:19], v34 offset:1792
	v_add_f64 v[20:21], v[30:31], v[48:49]
	s_add_u32 s16, s16, 8
	s_waitcnt lgkmcnt(1)
	v_mul_f64 v[28:29], v[54:55], v[2:3]
	v_mul_f64 v[30:31], v[52:53], v[2:3]
	s_waitcnt lgkmcnt(0)
	v_mul_f64 v[48:49], v[54:55], v[18:19]
	v_fma_f64 v[48:49], v[52:53], v[16:17], -v[48:49]
	v_add_f64 v[42:43], v[42:43], v[48:49]
	v_mul_f64 v[48:49], v[26:27], v[2:3]
	v_mul_f64 v[2:3], v[24:25], v[2:3]
	v_fma_f64 v[28:29], v[52:53], v[0:1], -v[28:29]
	v_fmac_f64_e32 v[30:31], v[54:55], v[0:1]
	v_fma_f64 v[48:49], v[24:25], v[0:1], -v[48:49]
	v_fmac_f64_e32 v[2:3], v[26:27], v[0:1]
	v_mul_f64 v[0:1], v[26:27], v[18:19]
	v_mul_f64 v[50:51], v[52:53], v[18:19]
	v_add_f64 v[44:45], v[44:45], v[48:49]
	v_fma_f64 v[48:49], v[24:25], v[16:17], -v[0:1]
	v_mul_f64 v[24:25], v[24:25], v[18:19]
	v_fmac_f64_e32 v[50:51], v[54:55], v[16:17]
	v_add_f64 v[46:47], v[2:3], v[46:47]
	v_fmac_f64_e32 v[24:25], v[26:27], v[16:17]
	ds_read_b128 v[0:3], v35 offset:64
	ds_read_b128 v[16:19], v34 offset:2048
	v_add_f64 v[40:41], v[50:51], v[40:41]
	v_add_f64 v[48:49], v[20:21], v[48:49]
	;; [unrolled: 1-line block ×3, first 2 shown]
	ds_read_b128 v[20:23], v34 offset:2304
	ds_read_b128 v[24:27], v35 offset:80
	s_waitcnt lgkmcnt(2)
	v_mul_f64 v[52:53], v[2:3], v[18:19]
	v_add_f64 v[28:29], v[56:57], v[28:29]
	v_fma_f64 v[52:53], v[0:1], v[16:17], -v[52:53]
	v_mul_f64 v[54:55], v[0:1], v[18:19]
	v_add_f64 v[30:31], v[30:31], v[58:59]
	v_fmac_f64_e32 v[54:55], v[2:3], v[16:17]
	v_add_f64 v[52:53], v[28:29], v[52:53]
	s_waitcnt lgkmcnt(1)
	v_mul_f64 v[28:29], v[2:3], v[22:23]
	v_add_f64 v[54:55], v[54:55], v[30:31]
	v_fma_f64 v[56:57], v[0:1], v[20:21], -v[28:29]
	ds_read_b128 v[28:31], v35 offset:2112
	v_mul_f64 v[0:1], v[0:1], v[22:23]
	v_fmac_f64_e32 v[0:1], v[2:3], v[20:21]
	v_add_f64 v[42:43], v[42:43], v[56:57]
	v_add_f64 v[40:41], v[0:1], v[40:41]
	ds_read_b128 v[0:3], v35 offset:2128
	s_waitcnt lgkmcnt(1)
	v_mul_f64 v[56:57], v[30:31], v[18:19]
	v_mul_f64 v[18:19], v[28:29], v[18:19]
	v_fma_f64 v[56:57], v[28:29], v[16:17], -v[56:57]
	v_fmac_f64_e32 v[18:19], v[30:31], v[16:17]
	v_mul_f64 v[16:17], v[30:31], v[22:23]
	v_add_f64 v[44:45], v[44:45], v[56:57]
	v_add_f64 v[46:47], v[18:19], v[46:47]
	v_fma_f64 v[56:57], v[28:29], v[20:21], -v[16:17]
	v_mul_f64 v[22:23], v[28:29], v[22:23]
	ds_read_b128 v[16:19], v34 offset:2560
	v_fmac_f64_e32 v[22:23], v[30:31], v[20:21]
	v_add_f64 v[30:31], v[22:23], v[50:51]
	ds_read_b128 v[20:23], v34 offset:2816
	v_add_f64 v[28:29], v[48:49], v[56:57]
	s_waitcnt lgkmcnt(1)
	v_mul_f64 v[48:49], v[26:27], v[18:19]
	v_fma_f64 v[48:49], v[24:25], v[16:17], -v[48:49]
	v_add_f64 v[48:49], v[52:53], v[48:49]
	s_waitcnt lgkmcnt(0)
	v_mul_f64 v[52:53], v[26:27], v[22:23]
	v_mul_f64 v[50:51], v[24:25], v[18:19]
	v_fma_f64 v[52:53], v[24:25], v[20:21], -v[52:53]
	v_mul_f64 v[24:25], v[24:25], v[22:23]
	v_fmac_f64_e32 v[24:25], v[26:27], v[20:21]
	v_add_f64 v[40:41], v[24:25], v[40:41]
	v_mul_f64 v[24:25], v[2:3], v[18:19]
	v_mul_f64 v[18:19], v[0:1], v[18:19]
	v_fmac_f64_e32 v[50:51], v[26:27], v[16:17]
	v_fma_f64 v[24:25], v[0:1], v[16:17], -v[24:25]
	v_fmac_f64_e32 v[18:19], v[2:3], v[16:17]
	v_mul_f64 v[16:17], v[2:3], v[22:23]
	v_mul_f64 v[22:23], v[0:1], v[22:23]
	v_add_f64 v[44:45], v[44:45], v[24:25]
	v_add_f64 v[46:47], v[18:19], v[46:47]
	v_fma_f64 v[24:25], v[0:1], v[20:21], -v[16:17]
	v_fmac_f64_e32 v[22:23], v[2:3], v[20:21]
	ds_read_b128 v[0:3], v35 offset:96
	ds_read_b128 v[16:19], v34 offset:3072
	v_add_f64 v[50:51], v[50:51], v[54:55]
	v_add_f64 v[42:43], v[42:43], v[52:53]
	;; [unrolled: 1-line block ×4, first 2 shown]
	ds_read_b128 v[20:23], v34 offset:3328
	ds_read_b128 v[24:27], v35 offset:112
	s_waitcnt lgkmcnt(2)
	v_mul_f64 v[28:29], v[2:3], v[18:19]
	v_fma_f64 v[28:29], v[0:1], v[16:17], -v[28:29]
	v_mul_f64 v[30:31], v[0:1], v[18:19]
	v_fmac_f64_e32 v[30:31], v[2:3], v[16:17]
	v_add_f64 v[48:49], v[48:49], v[28:29]
	s_waitcnt lgkmcnt(1)
	v_mul_f64 v[28:29], v[2:3], v[22:23]
	v_add_f64 v[50:51], v[30:31], v[50:51]
	v_fma_f64 v[56:57], v[0:1], v[20:21], -v[28:29]
	ds_read_b128 v[28:31], v35 offset:2144
	v_mul_f64 v[0:1], v[0:1], v[22:23]
	v_fmac_f64_e32 v[0:1], v[2:3], v[20:21]
	v_add_f64 v[58:59], v[0:1], v[40:41]
	ds_read_b128 v[0:3], v35 offset:2160
	s_waitcnt lgkmcnt(1)
	v_mul_f64 v[40:41], v[30:31], v[18:19]
	v_mul_f64 v[18:19], v[28:29], v[18:19]
	v_fma_f64 v[40:41], v[28:29], v[16:17], -v[40:41]
	v_fmac_f64_e32 v[18:19], v[30:31], v[16:17]
	v_mul_f64 v[16:17], v[30:31], v[22:23]
	v_add_f64 v[44:45], v[44:45], v[40:41]
	v_add_f64 v[46:47], v[18:19], v[46:47]
	v_fma_f64 v[40:41], v[28:29], v[20:21], -v[16:17]
	ds_read_b128 v[16:19], v34 offset:3584
	v_add_f64 v[56:57], v[42:43], v[56:57]
	v_add_f64 v[52:53], v[52:53], v[40:41]
	ds_read_b128 v[40:43], v34 offset:3840
	v_mul_f64 v[22:23], v[28:29], v[22:23]
	v_fmac_f64_e32 v[22:23], v[30:31], v[20:21]
	s_waitcnt lgkmcnt(1)
	v_mul_f64 v[20:21], v[26:27], v[18:19]
	v_fma_f64 v[20:21], v[24:25], v[16:17], -v[20:21]
	v_add_f64 v[54:55], v[22:23], v[54:55]
	v_mul_f64 v[22:23], v[24:25], v[18:19]
	v_add_f64 v[28:29], v[48:49], v[20:21]
	s_waitcnt lgkmcnt(0)
	v_mul_f64 v[20:21], v[26:27], v[42:43]
	v_fmac_f64_e32 v[22:23], v[26:27], v[16:17]
	v_fma_f64 v[20:21], v[24:25], v[40:41], -v[20:21]
	v_add_f64 v[30:31], v[22:23], v[50:51]
	v_mul_f64 v[22:23], v[24:25], v[42:43]
	v_add_f64 v[24:25], v[56:57], v[20:21]
	v_mul_f64 v[20:21], v[2:3], v[18:19]
	v_mul_f64 v[18:19], v[0:1], v[18:19]
	v_fma_f64 v[20:21], v[0:1], v[16:17], -v[20:21]
	v_fmac_f64_e32 v[18:19], v[2:3], v[16:17]
	v_mul_f64 v[16:17], v[2:3], v[42:43]
	v_fma_f64 v[16:17], v[0:1], v[40:41], -v[16:17]
	v_mul_f64 v[0:1], v[0:1], v[42:43]
	v_fmac_f64_e32 v[22:23], v[26:27], v[40:41]
	v_fmac_f64_e32 v[0:1], v[2:3], v[40:41]
	s_addc_u32 s17, s17, 0
	v_add_f64 v[26:27], v[22:23], v[58:59]
	v_add_f64 v[22:23], v[18:19], v[46:47]
	;; [unrolled: 1-line block ×4, first 2 shown]
	v_mov_b64_e32 v[0:1], s[16:17]
	v_cmp_gt_i64_e32 vcc, s[8:9], v[0:1]
	v_add_f64 v[20:21], v[44:45], v[20:21]
	s_barrier
	s_cbranch_vccz .LBB284_16
.LBB284_8:                              ; =>This Inner Loop Header: Depth=1
	s_mov_b64 s[24:25], s[14:15]
	s_mov_b64 s[18:19], 0
	s_and_saveexec_b64 s[20:21], s[0:1]
	s_cbranch_execnz .LBB284_14
; %bb.9:                                ;   in Loop: Header=BB284_8 Depth=1
	s_or_b64 exec, exec, s[20:21]
	s_and_saveexec_b64 s[20:21], s[24:25]
	s_xor_b64 s[20:21], exec, s[20:21]
	s_cbranch_execnz .LBB284_15
.LBB284_10:                             ;   in Loop: Header=BB284_8 Depth=1
	s_or_b64 exec, exec, s[20:21]
	s_and_saveexec_b64 s[20:21], s[18:19]
	s_cbranch_execz .LBB284_12
.LBB284_11:                             ;   in Loop: Header=BB284_8 Depth=1
	v_lshl_add_u64 v[0:1], v[14:15], 4, v[8:9]
	global_load_dwordx4 v[0:3], v[0:1], off
	s_waitcnt vmcnt(0)
	ds_write2_b64 v32, v[0:1], v[2:3] offset1:1
.LBB284_12:                             ;   in Loop: Header=BB284_8 Depth=1
	s_or_b64 exec, exec, s[20:21]
	v_add_u32_e32 v12, s16, v4
	v_cmp_gt_u64_e32 vcc, s[8:9], v[12:13]
	s_and_b64 s[20:21], vcc, s[2:3]
	v_mov_b64_e32 v[0:1], 0
	v_mov_b64_e32 v[2:3], 0
	s_and_saveexec_b64 s[18:19], s[20:21]
	s_cbranch_execz .LBB284_7
; %bb.13:                               ;   in Loop: Header=BB284_8 Depth=1
	v_mad_u64_u32 v[0:1], s[20:21], s22, v12, 0
	v_mov_b32_e32 v2, v1
	v_mad_u64_u32 v[2:3], s[20:21], s23, v12, v[2:3]
	v_mov_b32_e32 v1, v2
	v_lshl_add_u64 v[0:1], v[0:1], 4, v[10:11]
	global_load_dwordx4 v[0:3], v[0:1], off
	s_waitcnt vmcnt(0)
	v_xor_b32_e32 v3, 0x80000000, v3
	s_branch .LBB284_7
.LBB284_14:                             ;   in Loop: Header=BB284_8 Depth=1
	v_add_u32_e32 v12, s16, v6
	v_cmp_le_u64_e32 vcc, s[8:9], v[12:13]
	s_andn2_b64 s[24:25], s[14:15], exec
	s_and_b64 s[40:41], vcc, exec
	s_mov_b64 s[18:19], exec
	s_or_b64 s[24:25], s[24:25], s[40:41]
	v_mov_b64_e32 v[14:15], v[12:13]
	s_or_b64 exec, exec, s[20:21]
	s_and_saveexec_b64 s[20:21], s[24:25]
	s_xor_b64 s[20:21], exec, s[20:21]
	s_cbranch_execz .LBB284_10
.LBB284_15:                             ;   in Loop: Header=BB284_8 Depth=1
	ds_write_b128 v32, v[36:39]
	s_andn2_b64 s[18:19], s[18:19], exec
	s_or_b64 exec, exec, s[20:21]
	s_and_saveexec_b64 s[20:21], s[18:19]
	s_cbranch_execnz .LBB284_11
	s_branch .LBB284_12
.LBB284_16:
	s_waitcnt lgkmcnt(0)
	s_mul_i32 s0, s39, s4
	s_mul_hi_u32 s1, s38, s4
	s_add_i32 s1, s1, s0
	s_mul_i32 s0, s38, s4
	s_lshl_b64 s[0:1], s[0:1], 4
	v_add_u32_e32 v10, s34, v7
	s_add_u32 s8, s30, s0
	v_ashrrev_i32_e32 v0, 31, v10
	s_addc_u32 s9, s31, s1
	v_add_u32_e32 v4, s5, v5
	v_cmp_neq_f64_e64 s[0:1], s[26:27], 0
	s_xor_b64 s[4:5], s[6:7], -1
	v_mul_lo_u32 v2, s36, v0
	v_mul_lo_u32 v3, s37, v10
	v_mad_u64_u32 v[0:1], s[2:3], s36, v10, 0
	v_add3_u32 v1, v1, v2, v3
	s_or_b64 s[0:1], s[0:1], s[4:5]
	v_lshl_add_u64 v[8:9], v[0:1], 4, s[8:9]
	v_cmp_le_i32_e32 vcc, v10, v4
	v_cmp_gt_i32_e64 s[2:3], s33, v4
	v_cndmask_b32_e64 v0, 0, 1, s[0:1]
	s_and_b64 s[6:7], vcc, s[2:3]
	v_ashrrev_i32_e32 v5, 31, v4
	v_cmp_ne_u32_e64 s[0:1], 1, v0
	s_and_saveexec_b64 s[4:5], s[6:7]
	s_cbranch_execz .LBB284_20
; %bb.17:
	v_mul_f64 v[0:1], s[12:13], v[30:31]
	v_mul_f64 v[2:3], s[10:11], v[30:31]
	v_fma_f64 v[0:1], s[10:11], v[28:29], -v[0:1]
	v_fmac_f64_e32 v[2:3], s[12:13], v[28:29]
	s_and_b64 vcc, exec, s[0:1]
	v_lshl_add_u64 v[6:7], v[4:5], 4, v[8:9]
	s_cbranch_vccnz .LBB284_19
; %bb.18:
	global_load_dwordx4 v[12:15], v[6:7], off
	s_waitcnt vmcnt(0)
	v_mul_f64 v[28:29], s[28:29], v[14:15]
	v_mul_f64 v[14:15], s[26:27], v[14:15]
	v_fma_f64 v[28:29], s[26:27], v[12:13], -v[28:29]
	v_fmac_f64_e32 v[14:15], s[28:29], v[12:13]
	v_add_f64 v[0:1], v[0:1], v[28:29]
	v_add_f64 v[2:3], v[2:3], v[14:15]
.LBB284_19:
	global_store_dwordx4 v[6:7], v[0:3], off
.LBB284_20:
	s_or_b64 exec, exec, s[4:5]
	v_add_u32_e32 v6, 16, v4
	v_cmp_le_i32_e32 vcc, v10, v6
	v_cmp_gt_i32_e64 s[4:5], s33, v6
	s_and_b64 s[14:15], vcc, s[4:5]
	v_ashrrev_i32_e32 v7, 31, v6
	s_and_saveexec_b64 s[6:7], s[14:15]
	s_cbranch_execz .LBB284_24
; %bb.21:
	v_mul_f64 v[0:1], s[12:13], v[26:27]
	v_mul_f64 v[2:3], s[10:11], v[26:27]
	v_fma_f64 v[0:1], s[10:11], v[24:25], -v[0:1]
	v_fmac_f64_e32 v[2:3], s[12:13], v[24:25]
	s_and_b64 vcc, exec, s[0:1]
	v_lshl_add_u64 v[8:9], v[6:7], 4, v[8:9]
	s_cbranch_vccnz .LBB284_23
; %bb.22:
	global_load_dwordx4 v[12:15], v[8:9], off
	s_waitcnt vmcnt(0)
	v_mul_f64 v[24:25], s[28:29], v[14:15]
	v_mul_f64 v[14:15], s[26:27], v[14:15]
	v_fma_f64 v[24:25], s[26:27], v[12:13], -v[24:25]
	v_fmac_f64_e32 v[14:15], s[28:29], v[12:13]
	v_add_f64 v[0:1], v[0:1], v[24:25]
	v_add_f64 v[2:3], v[2:3], v[14:15]
.LBB284_23:
	global_store_dwordx4 v[8:9], v[0:3], off
.LBB284_24:
	s_or_b64 exec, exec, s[6:7]
	v_add_u32_e32 v10, 16, v10
	v_ashrrev_i32_e32 v0, 31, v10
	v_mul_lo_u32 v2, s36, v0
	v_mul_lo_u32 v3, s37, v10
	v_mad_u64_u32 v[0:1], s[6:7], s36, v10, 0
	v_add3_u32 v1, v1, v2, v3
	v_cmp_le_i32_e32 vcc, v10, v4
	v_lshl_add_u64 v[8:9], v[0:1], 4, s[8:9]
	s_and_b64 s[6:7], vcc, s[2:3]
	s_and_saveexec_b64 s[2:3], s[6:7]
	s_cbranch_execz .LBB284_28
; %bb.25:
	v_mul_f64 v[0:1], s[12:13], v[22:23]
	v_mul_f64 v[2:3], s[10:11], v[22:23]
	v_fma_f64 v[0:1], s[10:11], v[20:21], -v[0:1]
	v_fmac_f64_e32 v[2:3], s[12:13], v[20:21]
	s_and_b64 vcc, exec, s[0:1]
	v_lshl_add_u64 v[4:5], v[4:5], 4, v[8:9]
	s_cbranch_vccnz .LBB284_27
; %bb.26:
	global_load_dwordx4 v[12:15], v[4:5], off
	s_waitcnt vmcnt(0)
	v_mul_f64 v[20:21], s[28:29], v[14:15]
	v_mul_f64 v[14:15], s[26:27], v[14:15]
	v_fma_f64 v[20:21], s[26:27], v[12:13], -v[20:21]
	v_fmac_f64_e32 v[14:15], s[28:29], v[12:13]
	v_add_f64 v[0:1], v[0:1], v[20:21]
	v_add_f64 v[2:3], v[2:3], v[14:15]
.LBB284_27:
	global_store_dwordx4 v[4:5], v[0:3], off
.LBB284_28:
	s_or_b64 exec, exec, s[2:3]
	v_cmp_le_i32_e32 vcc, v10, v6
	s_and_b64 s[2:3], vcc, s[4:5]
	s_and_saveexec_b64 s[4:5], s[2:3]
	s_cbranch_execz .LBB284_32
; %bb.29:
	v_mul_f64 v[0:1], s[12:13], v[16:17]
	v_mul_f64 v[2:3], s[10:11], v[16:17]
	v_fma_f64 v[0:1], s[10:11], v[18:19], -v[0:1]
	v_fmac_f64_e32 v[2:3], s[12:13], v[18:19]
	s_and_b64 vcc, exec, s[0:1]
	v_lshl_add_u64 v[4:5], v[6:7], 4, v[8:9]
	s_cbranch_vccnz .LBB284_31
; %bb.30:
	global_load_dwordx4 v[6:9], v[4:5], off
	s_waitcnt vmcnt(0)
	v_mul_f64 v[10:11], s[28:29], v[8:9]
	v_mul_f64 v[8:9], s[26:27], v[8:9]
	v_fma_f64 v[10:11], s[26:27], v[6:7], -v[10:11]
	v_fmac_f64_e32 v[8:9], s[28:29], v[6:7]
	v_add_f64 v[0:1], v[0:1], v[10:11]
	v_add_f64 v[2:3], v[2:3], v[8:9]
.LBB284_31:
	global_store_dwordx4 v[4:5], v[0:3], off
.LBB284_32:
	s_endpgm
	.section	.rodata,"a",@progbits
	.p2align	6, 0x0
	.amdhsa_kernel _ZL29rocblas_internal_gemmt_kernelIlLi16ELi32ELi8ELc84ELc67ELc76ELb0ELb1E19rocblas_complex_numIdES1_PKS1_PS1_EviT_T9_T10_S5_lS7_S5_lS6_T11_S5_li
		.amdhsa_group_segment_fixed_size 8192
		.amdhsa_private_segment_fixed_size 0
		.amdhsa_kernarg_size 124
		.amdhsa_user_sgpr_count 2
		.amdhsa_user_sgpr_dispatch_ptr 0
		.amdhsa_user_sgpr_queue_ptr 0
		.amdhsa_user_sgpr_kernarg_segment_ptr 1
		.amdhsa_user_sgpr_dispatch_id 0
		.amdhsa_user_sgpr_kernarg_preload_length 0
		.amdhsa_user_sgpr_kernarg_preload_offset 0
		.amdhsa_user_sgpr_private_segment_size 0
		.amdhsa_uses_dynamic_stack 0
		.amdhsa_enable_private_segment 0
		.amdhsa_system_sgpr_workgroup_id_x 1
		.amdhsa_system_sgpr_workgroup_id_y 1
		.amdhsa_system_sgpr_workgroup_id_z 1
		.amdhsa_system_sgpr_workgroup_info 0
		.amdhsa_system_vgpr_workitem_id 1
		.amdhsa_next_free_vgpr 66
		.amdhsa_next_free_sgpr 42
		.amdhsa_accum_offset 68
		.amdhsa_reserve_vcc 1
		.amdhsa_float_round_mode_32 0
		.amdhsa_float_round_mode_16_64 0
		.amdhsa_float_denorm_mode_32 3
		.amdhsa_float_denorm_mode_16_64 3
		.amdhsa_dx10_clamp 1
		.amdhsa_ieee_mode 1
		.amdhsa_fp16_overflow 0
		.amdhsa_tg_split 0
		.amdhsa_exception_fp_ieee_invalid_op 0
		.amdhsa_exception_fp_denorm_src 0
		.amdhsa_exception_fp_ieee_div_zero 0
		.amdhsa_exception_fp_ieee_overflow 0
		.amdhsa_exception_fp_ieee_underflow 0
		.amdhsa_exception_fp_ieee_inexact 0
		.amdhsa_exception_int_div_zero 0
	.end_amdhsa_kernel
	.section	.text._ZL29rocblas_internal_gemmt_kernelIlLi16ELi32ELi8ELc84ELc67ELc76ELb0ELb1E19rocblas_complex_numIdES1_PKS1_PS1_EviT_T9_T10_S5_lS7_S5_lS6_T11_S5_li,"axG",@progbits,_ZL29rocblas_internal_gemmt_kernelIlLi16ELi32ELi8ELc84ELc67ELc76ELb0ELb1E19rocblas_complex_numIdES1_PKS1_PS1_EviT_T9_T10_S5_lS7_S5_lS6_T11_S5_li,comdat
.Lfunc_end284:
	.size	_ZL29rocblas_internal_gemmt_kernelIlLi16ELi32ELi8ELc84ELc67ELc76ELb0ELb1E19rocblas_complex_numIdES1_PKS1_PS1_EviT_T9_T10_S5_lS7_S5_lS6_T11_S5_li, .Lfunc_end284-_ZL29rocblas_internal_gemmt_kernelIlLi16ELi32ELi8ELc84ELc67ELc76ELb0ELb1E19rocblas_complex_numIdES1_PKS1_PS1_EviT_T9_T10_S5_lS7_S5_lS6_T11_S5_li
                                        ; -- End function
	.set _ZL29rocblas_internal_gemmt_kernelIlLi16ELi32ELi8ELc84ELc67ELc76ELb0ELb1E19rocblas_complex_numIdES1_PKS1_PS1_EviT_T9_T10_S5_lS7_S5_lS6_T11_S5_li.num_vgpr, 66
	.set _ZL29rocblas_internal_gemmt_kernelIlLi16ELi32ELi8ELc84ELc67ELc76ELb0ELb1E19rocblas_complex_numIdES1_PKS1_PS1_EviT_T9_T10_S5_lS7_S5_lS6_T11_S5_li.num_agpr, 0
	.set _ZL29rocblas_internal_gemmt_kernelIlLi16ELi32ELi8ELc84ELc67ELc76ELb0ELb1E19rocblas_complex_numIdES1_PKS1_PS1_EviT_T9_T10_S5_lS7_S5_lS6_T11_S5_li.numbered_sgpr, 42
	.set _ZL29rocblas_internal_gemmt_kernelIlLi16ELi32ELi8ELc84ELc67ELc76ELb0ELb1E19rocblas_complex_numIdES1_PKS1_PS1_EviT_T9_T10_S5_lS7_S5_lS6_T11_S5_li.num_named_barrier, 0
	.set _ZL29rocblas_internal_gemmt_kernelIlLi16ELi32ELi8ELc84ELc67ELc76ELb0ELb1E19rocblas_complex_numIdES1_PKS1_PS1_EviT_T9_T10_S5_lS7_S5_lS6_T11_S5_li.private_seg_size, 0
	.set _ZL29rocblas_internal_gemmt_kernelIlLi16ELi32ELi8ELc84ELc67ELc76ELb0ELb1E19rocblas_complex_numIdES1_PKS1_PS1_EviT_T9_T10_S5_lS7_S5_lS6_T11_S5_li.uses_vcc, 1
	.set _ZL29rocblas_internal_gemmt_kernelIlLi16ELi32ELi8ELc84ELc67ELc76ELb0ELb1E19rocblas_complex_numIdES1_PKS1_PS1_EviT_T9_T10_S5_lS7_S5_lS6_T11_S5_li.uses_flat_scratch, 0
	.set _ZL29rocblas_internal_gemmt_kernelIlLi16ELi32ELi8ELc84ELc67ELc76ELb0ELb1E19rocblas_complex_numIdES1_PKS1_PS1_EviT_T9_T10_S5_lS7_S5_lS6_T11_S5_li.has_dyn_sized_stack, 0
	.set _ZL29rocblas_internal_gemmt_kernelIlLi16ELi32ELi8ELc84ELc67ELc76ELb0ELb1E19rocblas_complex_numIdES1_PKS1_PS1_EviT_T9_T10_S5_lS7_S5_lS6_T11_S5_li.has_recursion, 0
	.set _ZL29rocblas_internal_gemmt_kernelIlLi16ELi32ELi8ELc84ELc67ELc76ELb0ELb1E19rocblas_complex_numIdES1_PKS1_PS1_EviT_T9_T10_S5_lS7_S5_lS6_T11_S5_li.has_indirect_call, 0
	.section	.AMDGPU.csdata,"",@progbits
; Kernel info:
; codeLenInByte = 3212
; TotalNumSgprs: 48
; NumVgprs: 66
; NumAgprs: 0
; TotalNumVgprs: 66
; ScratchSize: 0
; MemoryBound: 1
; FloatMode: 240
; IeeeMode: 1
; LDSByteSize: 8192 bytes/workgroup (compile time only)
; SGPRBlocks: 5
; VGPRBlocks: 8
; NumSGPRsForWavesPerEU: 48
; NumVGPRsForWavesPerEU: 66
; AccumOffset: 68
; Occupancy: 7
; WaveLimiterHint : 0
; COMPUTE_PGM_RSRC2:SCRATCH_EN: 0
; COMPUTE_PGM_RSRC2:USER_SGPR: 2
; COMPUTE_PGM_RSRC2:TRAP_HANDLER: 0
; COMPUTE_PGM_RSRC2:TGID_X_EN: 1
; COMPUTE_PGM_RSRC2:TGID_Y_EN: 1
; COMPUTE_PGM_RSRC2:TGID_Z_EN: 1
; COMPUTE_PGM_RSRC2:TIDIG_COMP_CNT: 1
; COMPUTE_PGM_RSRC3_GFX90A:ACCUM_OFFSET: 16
; COMPUTE_PGM_RSRC3_GFX90A:TG_SPLIT: 0
	.section	.text._ZL29rocblas_internal_gemmt_kernelIlLi16ELi32ELi8ELc67ELc78ELc76ELb1ELb0E19rocblas_complex_numIdES1_PKS1_PS1_EviT_T9_T10_S5_lS7_S5_lS6_T11_S5_li,"axG",@progbits,_ZL29rocblas_internal_gemmt_kernelIlLi16ELi32ELi8ELc67ELc78ELc76ELb1ELb0E19rocblas_complex_numIdES1_PKS1_PS1_EviT_T9_T10_S5_lS7_S5_lS6_T11_S5_li,comdat
	.globl	_ZL29rocblas_internal_gemmt_kernelIlLi16ELi32ELi8ELc67ELc78ELc76ELb1ELb0E19rocblas_complex_numIdES1_PKS1_PS1_EviT_T9_T10_S5_lS7_S5_lS6_T11_S5_li ; -- Begin function _ZL29rocblas_internal_gemmt_kernelIlLi16ELi32ELi8ELc67ELc78ELc76ELb1ELb0E19rocblas_complex_numIdES1_PKS1_PS1_EviT_T9_T10_S5_lS7_S5_lS6_T11_S5_li
	.p2align	8
	.type	_ZL29rocblas_internal_gemmt_kernelIlLi16ELi32ELi8ELc67ELc78ELc76ELb1ELb0E19rocblas_complex_numIdES1_PKS1_PS1_EviT_T9_T10_S5_lS7_S5_lS6_T11_S5_li,@function
_ZL29rocblas_internal_gemmt_kernelIlLi16ELi32ELi8ELc67ELc78ELc76ELb1ELb0E19rocblas_complex_numIdES1_PKS1_PS1_EviT_T9_T10_S5_lS7_S5_lS6_T11_S5_li: ; @_ZL29rocblas_internal_gemmt_kernelIlLi16ELi32ELi8ELc67ELc78ELc76ELb1ELb0E19rocblas_complex_numIdES1_PKS1_PS1_EviT_T9_T10_S5_lS7_S5_lS6_T11_S5_li
; %bb.0:
	s_load_dwordx8 s[24:31], s[0:1], 0x48
	s_load_dwordx16 s[8:23], s[0:1], 0x8
	s_mov_b64 s[34:35], 0
	s_waitcnt lgkmcnt(0)
	v_cmp_eq_f64_e64 s[36:37], s[26:27], 1.0
	v_cmp_eq_f64_e64 s[6:7], s[28:29], 0
	s_and_b64 s[36:37], s[36:37], s[6:7]
	s_andn2_b64 vcc, exec, s[36:37]
	s_mov_b64 s[36:37], -1
	s_cbranch_vccnz .LBB285_4
; %bb.1:
	s_cmp_lg_u64 s[8:9], 0
	s_cbranch_scc0 .LBB285_3
; %bb.2:
	v_cmp_neq_f64_e64 s[34:35], s[10:11], 0
	v_cmp_neq_f64_e64 s[36:37], s[12:13], 0
	s_or_b64 s[34:35], s[34:35], s[36:37]
.LBB285_3:
	s_mov_b64 s[36:37], s[34:35]
.LBB285_4:
	s_and_b64 vcc, exec, s[36:37]
	s_cbranch_vccz .LBB285_32
; %bb.5:
	s_load_dwordx4 s[36:39], s[0:1], 0x68
	s_load_dword s33, s[0:1], 0x0
	s_lshl_b32 s5, s2, 5
	s_lshl_b32 s34, s3, 5
	v_cmp_eq_f64_e64 s[0:1], s[10:11], 0
	v_cmp_eq_f64_e64 s[2:3], s[12:13], 0
	s_and_b64 s[0:1], s[0:1], s[2:3]
	v_cmp_lt_i64_e64 s[2:3], s[8:9], 1
	s_or_b64 s[0:1], s[0:1], s[2:3]
	v_and_b32_e32 v5, 0x3ff, v0
	v_bfe_u32 v7, v0, 10, 10
	v_mov_b64_e32 v[26:27], 0
	s_and_b64 vcc, exec, s[0:1]
	v_mov_b64_e32 v[28:29], 0
	v_mov_b64_e32 v[22:23], 0
	;; [unrolled: 1-line block ×7, first 2 shown]
	s_cbranch_vccnz .LBB285_16
; %bb.6:
	s_mul_i32 s0, s25, s4
	s_mul_hi_u32 s1, s24, s4
	s_add_i32 s1, s1, s0
	s_mul_i32 s0, s24, s4
	s_lshl_b64 s[0:1], s[0:1], 4
	s_add_u32 s2, s20, s0
	s_addc_u32 s3, s21, s1
	s_mul_i32 s0, s19, s4
	s_mul_hi_u32 s1, s18, s4
	s_add_i32 s1, s1, s0
	s_mul_i32 s0, s18, s4
	v_lshl_add_u32 v0, v7, 4, v5
	s_lshl_b64 s[0:1], s[0:1], 4
	v_lshrrev_b32_e32 v6, 5, v0
	v_lshrrev_b32_e32 v2, 3, v0
	v_and_b32_e32 v0, 31, v0
	s_add_u32 s14, s14, s0
	v_or_b32_e32 v1, s5, v0
	s_addc_u32 s15, s15, s1
	v_lshlrev_b32_e32 v0, 4, v0
	s_ashr_i32 s20, s5, 31
	s_waitcnt lgkmcnt(0)
	v_cmp_gt_i32_e64 s[0:1], s33, v1
	v_lshl_or_b32 v30, v6, 9, v0
	v_mul_lo_u32 v8, s17, v1
	v_mad_u64_u32 v[0:1], s[18:19], s16, v1, 0
	s_mul_i32 s16, s16, s20
	v_and_b32_e32 v4, 7, v5
	v_add3_u32 v1, v1, s16, v8
	v_lshl_add_u64 v[8:9], v[0:1], 4, s[14:15]
	v_lshlrev_b32_e32 v0, 4, v4
	v_add_u32_e32 v3, s34, v2
	v_lshl_or_b32 v0, v2, 7, v0
	v_add_u32_e32 v31, 0x1000, v0
	v_ashrrev_i32_e32 v0, 31, v3
	v_mul_lo_u32 v2, s22, v0
	v_mul_lo_u32 v10, s23, v3
	v_mad_u64_u32 v[0:1], s[14:15], s22, v3, 0
	v_add3_u32 v1, v1, v2, v10
	v_cmp_gt_i32_e32 vcc, s33, v3
	v_lshl_add_u64 v[10:11], v[0:1], 4, s[2:3]
	v_mov_b32_e32 v0, 0x1000
	v_mov_b32_e32 v13, 0
	v_lshlrev_b32_e32 v32, 4, v5
	v_lshl_add_u32 v33, v7, 7, v0
	v_mov_b64_e32 v[14:15], 0
	s_mov_b64 s[2:3], 0
	s_xor_b64 s[14:15], vcc, -1
	v_mov_b32_e32 v34, v13
	v_mov_b32_e32 v35, v13
	;; [unrolled: 1-line block ×4, first 2 shown]
	v_mov_b64_e32 v[16:17], 0
	v_mov_b64_e32 v[20:21], 0
	v_mov_b64_e32 v[18:19], 0
	v_mov_b64_e32 v[24:25], 0
	v_mov_b64_e32 v[22:23], 0
	v_mov_b64_e32 v[28:29], 0
	v_mov_b64_e32 v[26:27], 0
	s_branch .LBB285_8
.LBB285_7:                              ;   in Loop: Header=BB285_8 Depth=1
	s_or_b64 exec, exec, s[16:17]
	s_waitcnt lgkmcnt(0)
	s_barrier
	ds_read_b128 v[0:3], v32
	ds_read_b128 v[38:41], v33
	ds_read_b128 v[42:45], v33 offset:16
	ds_read_b128 v[46:49], v33 offset:32
	;; [unrolled: 1-line block ×4, first 2 shown]
	s_waitcnt lgkmcnt(4)
	v_mul_f64 v[58:59], v[40:41], v[2:3]
	v_fma_f64 v[58:59], v[38:39], v[0:1], -v[58:59]
	v_mul_f64 v[60:61], v[38:39], v[2:3]
	v_fmac_f64_e32 v[60:61], v[40:41], v[0:1]
	v_add_f64 v[58:59], v[26:27], v[58:59]
	s_waitcnt lgkmcnt(0)
	v_mul_f64 v[26:27], v[40:41], v[56:57]
	v_add_f64 v[60:61], v[60:61], v[28:29]
	v_fma_f64 v[62:63], v[38:39], v[54:55], -v[26:27]
	ds_read_b128 v[26:29], v33 offset:2048
	v_mul_f64 v[38:39], v[38:39], v[56:57]
	v_fmac_f64_e32 v[38:39], v[40:41], v[54:55]
	v_add_f64 v[40:41], v[22:23], v[62:63]
	v_add_f64 v[38:39], v[38:39], v[24:25]
	ds_read_b128 v[22:25], v33 offset:2064
	s_waitcnt lgkmcnt(1)
	v_mul_f64 v[62:63], v[28:29], v[2:3]
	v_mul_f64 v[2:3], v[26:27], v[2:3]
	v_fma_f64 v[62:63], v[26:27], v[0:1], -v[62:63]
	v_fmac_f64_e32 v[2:3], v[28:29], v[0:1]
	v_mul_f64 v[0:1], v[28:29], v[56:57]
	v_add_f64 v[18:19], v[18:19], v[62:63]
	v_add_f64 v[20:21], v[2:3], v[20:21]
	v_fma_f64 v[62:63], v[26:27], v[54:55], -v[0:1]
	v_mul_f64 v[26:27], v[26:27], v[56:57]
	ds_read_b128 v[0:3], v32 offset:512
	v_fmac_f64_e32 v[26:27], v[28:29], v[54:55]
	v_add_f64 v[28:29], v[16:17], v[62:63]
	v_add_f64 v[26:27], v[26:27], v[14:15]
	ds_read_b128 v[14:17], v32 offset:768
	s_waitcnt lgkmcnt(1)
	v_mul_f64 v[54:55], v[44:45], v[2:3]
	v_fma_f64 v[54:55], v[42:43], v[0:1], -v[54:55]
	v_add_f64 v[54:55], v[58:59], v[54:55]
	v_mul_f64 v[56:57], v[42:43], v[2:3]
	s_waitcnt lgkmcnt(0)
	v_mul_f64 v[58:59], v[44:45], v[16:17]
	v_fma_f64 v[58:59], v[42:43], v[14:15], -v[58:59]
	v_mul_f64 v[42:43], v[42:43], v[16:17]
	v_fmac_f64_e32 v[42:43], v[44:45], v[14:15]
	v_add_f64 v[38:39], v[42:43], v[38:39]
	v_mul_f64 v[42:43], v[24:25], v[2:3]
	v_mul_f64 v[2:3], v[22:23], v[2:3]
	v_fmac_f64_e32 v[56:57], v[44:45], v[0:1]
	v_fma_f64 v[42:43], v[22:23], v[0:1], -v[42:43]
	v_fmac_f64_e32 v[2:3], v[24:25], v[0:1]
	v_mul_f64 v[0:1], v[24:25], v[16:17]
	v_add_f64 v[42:43], v[18:19], v[42:43]
	v_add_f64 v[44:45], v[2:3], v[20:21]
	v_fma_f64 v[18:19], v[22:23], v[14:15], -v[0:1]
	v_mul_f64 v[16:17], v[22:23], v[16:17]
	ds_read_b128 v[0:3], v32 offset:1024
	v_fmac_f64_e32 v[16:17], v[24:25], v[14:15]
	v_add_f64 v[26:27], v[16:17], v[26:27]
	ds_read_b128 v[14:17], v32 offset:1280
	v_add_f64 v[28:29], v[28:29], v[18:19]
	s_waitcnt lgkmcnt(1)
	v_mul_f64 v[18:19], v[48:49], v[2:3]
	v_fma_f64 v[18:19], v[46:47], v[0:1], -v[18:19]
	v_mul_f64 v[20:21], v[46:47], v[2:3]
	v_add_f64 v[56:57], v[56:57], v[60:61]
	v_fmac_f64_e32 v[20:21], v[48:49], v[0:1]
	v_add_f64 v[54:55], v[54:55], v[18:19]
	s_waitcnt lgkmcnt(0)
	v_mul_f64 v[18:19], v[48:49], v[16:17]
	v_add_f64 v[56:57], v[20:21], v[56:57]
	v_fma_f64 v[22:23], v[46:47], v[14:15], -v[18:19]
	ds_read_b128 v[18:21], v33 offset:2080
	v_mul_f64 v[24:25], v[46:47], v[16:17]
	v_add_f64 v[40:41], v[40:41], v[58:59]
	v_fmac_f64_e32 v[24:25], v[48:49], v[14:15]
	v_add_f64 v[40:41], v[40:41], v[22:23]
	v_add_f64 v[38:39], v[24:25], v[38:39]
	ds_read_b128 v[22:25], v33 offset:2096
	s_waitcnt lgkmcnt(1)
	v_mul_f64 v[46:47], v[20:21], v[2:3]
	v_mul_f64 v[2:3], v[18:19], v[2:3]
	v_fma_f64 v[46:47], v[18:19], v[0:1], -v[46:47]
	v_fmac_f64_e32 v[2:3], v[20:21], v[0:1]
	v_mul_f64 v[0:1], v[20:21], v[16:17]
	v_mul_f64 v[16:17], v[18:19], v[16:17]
	v_fmac_f64_e32 v[16:17], v[20:21], v[14:15]
	v_add_f64 v[42:43], v[42:43], v[46:47]
	v_add_f64 v[44:45], v[2:3], v[44:45]
	v_fma_f64 v[46:47], v[18:19], v[14:15], -v[0:1]
	ds_read_b128 v[0:3], v32 offset:1536
	v_add_f64 v[20:21], v[16:17], v[26:27]
	ds_read_b128 v[14:17], v32 offset:1792
	v_add_f64 v[18:19], v[28:29], v[46:47]
	s_add_u32 s2, s2, 8
	s_waitcnt lgkmcnt(1)
	v_mul_f64 v[26:27], v[52:53], v[2:3]
	v_mul_f64 v[28:29], v[50:51], v[2:3]
	s_waitcnt lgkmcnt(0)
	v_mul_f64 v[46:47], v[52:53], v[16:17]
	v_fma_f64 v[46:47], v[50:51], v[14:15], -v[46:47]
	v_add_f64 v[40:41], v[40:41], v[46:47]
	v_mul_f64 v[46:47], v[24:25], v[2:3]
	v_mul_f64 v[2:3], v[22:23], v[2:3]
	v_fma_f64 v[26:27], v[50:51], v[0:1], -v[26:27]
	v_fmac_f64_e32 v[28:29], v[52:53], v[0:1]
	v_fma_f64 v[46:47], v[22:23], v[0:1], -v[46:47]
	v_fmac_f64_e32 v[2:3], v[24:25], v[0:1]
	v_mul_f64 v[0:1], v[24:25], v[16:17]
	v_mul_f64 v[48:49], v[50:51], v[16:17]
	v_add_f64 v[42:43], v[42:43], v[46:47]
	v_fma_f64 v[46:47], v[22:23], v[14:15], -v[0:1]
	v_mul_f64 v[22:23], v[22:23], v[16:17]
	v_fmac_f64_e32 v[48:49], v[52:53], v[14:15]
	v_add_f64 v[44:45], v[2:3], v[44:45]
	v_fmac_f64_e32 v[22:23], v[24:25], v[14:15]
	ds_read_b128 v[0:3], v33 offset:64
	ds_read_b128 v[14:17], v32 offset:2048
	v_add_f64 v[38:39], v[48:49], v[38:39]
	v_add_f64 v[46:47], v[18:19], v[46:47]
	;; [unrolled: 1-line block ×3, first 2 shown]
	ds_read_b128 v[18:21], v32 offset:2304
	ds_read_b128 v[22:25], v33 offset:80
	s_waitcnt lgkmcnt(2)
	v_mul_f64 v[50:51], v[2:3], v[16:17]
	v_add_f64 v[26:27], v[54:55], v[26:27]
	v_fma_f64 v[50:51], v[0:1], v[14:15], -v[50:51]
	v_mul_f64 v[52:53], v[0:1], v[16:17]
	v_add_f64 v[28:29], v[28:29], v[56:57]
	v_fmac_f64_e32 v[52:53], v[2:3], v[14:15]
	v_add_f64 v[50:51], v[26:27], v[50:51]
	s_waitcnt lgkmcnt(1)
	v_mul_f64 v[26:27], v[2:3], v[20:21]
	v_add_f64 v[52:53], v[52:53], v[28:29]
	v_fma_f64 v[54:55], v[0:1], v[18:19], -v[26:27]
	ds_read_b128 v[26:29], v33 offset:2112
	v_mul_f64 v[0:1], v[0:1], v[20:21]
	v_fmac_f64_e32 v[0:1], v[2:3], v[18:19]
	v_add_f64 v[40:41], v[40:41], v[54:55]
	v_add_f64 v[38:39], v[0:1], v[38:39]
	ds_read_b128 v[0:3], v33 offset:2128
	s_waitcnt lgkmcnt(1)
	v_mul_f64 v[54:55], v[28:29], v[16:17]
	v_mul_f64 v[16:17], v[26:27], v[16:17]
	v_fma_f64 v[54:55], v[26:27], v[14:15], -v[54:55]
	v_fmac_f64_e32 v[16:17], v[28:29], v[14:15]
	v_mul_f64 v[14:15], v[28:29], v[20:21]
	v_add_f64 v[42:43], v[42:43], v[54:55]
	v_add_f64 v[44:45], v[16:17], v[44:45]
	v_fma_f64 v[54:55], v[26:27], v[18:19], -v[14:15]
	v_mul_f64 v[20:21], v[26:27], v[20:21]
	ds_read_b128 v[14:17], v32 offset:2560
	v_fmac_f64_e32 v[20:21], v[28:29], v[18:19]
	v_add_f64 v[28:29], v[20:21], v[48:49]
	ds_read_b128 v[18:21], v32 offset:2816
	v_add_f64 v[26:27], v[46:47], v[54:55]
	s_waitcnt lgkmcnt(1)
	v_mul_f64 v[46:47], v[24:25], v[16:17]
	v_fma_f64 v[46:47], v[22:23], v[14:15], -v[46:47]
	v_add_f64 v[46:47], v[50:51], v[46:47]
	s_waitcnt lgkmcnt(0)
	v_mul_f64 v[50:51], v[24:25], v[20:21]
	v_mul_f64 v[48:49], v[22:23], v[16:17]
	v_fma_f64 v[50:51], v[22:23], v[18:19], -v[50:51]
	v_mul_f64 v[22:23], v[22:23], v[20:21]
	v_fmac_f64_e32 v[22:23], v[24:25], v[18:19]
	v_add_f64 v[38:39], v[22:23], v[38:39]
	v_mul_f64 v[22:23], v[2:3], v[16:17]
	v_mul_f64 v[16:17], v[0:1], v[16:17]
	v_fmac_f64_e32 v[48:49], v[24:25], v[14:15]
	v_fma_f64 v[22:23], v[0:1], v[14:15], -v[22:23]
	v_fmac_f64_e32 v[16:17], v[2:3], v[14:15]
	v_mul_f64 v[14:15], v[2:3], v[20:21]
	v_mul_f64 v[20:21], v[0:1], v[20:21]
	v_add_f64 v[42:43], v[42:43], v[22:23]
	v_add_f64 v[44:45], v[16:17], v[44:45]
	v_fma_f64 v[22:23], v[0:1], v[18:19], -v[14:15]
	v_fmac_f64_e32 v[20:21], v[2:3], v[18:19]
	ds_read_b128 v[0:3], v33 offset:96
	ds_read_b128 v[14:17], v32 offset:3072
	v_add_f64 v[48:49], v[48:49], v[52:53]
	v_add_f64 v[40:41], v[40:41], v[50:51]
	;; [unrolled: 1-line block ×4, first 2 shown]
	ds_read_b128 v[18:21], v32 offset:3328
	ds_read_b128 v[22:25], v33 offset:112
	s_waitcnt lgkmcnt(2)
	v_mul_f64 v[26:27], v[2:3], v[16:17]
	v_fma_f64 v[26:27], v[0:1], v[14:15], -v[26:27]
	v_mul_f64 v[28:29], v[0:1], v[16:17]
	v_fmac_f64_e32 v[28:29], v[2:3], v[14:15]
	v_add_f64 v[46:47], v[46:47], v[26:27]
	s_waitcnt lgkmcnt(1)
	v_mul_f64 v[26:27], v[2:3], v[20:21]
	v_add_f64 v[48:49], v[28:29], v[48:49]
	v_fma_f64 v[54:55], v[0:1], v[18:19], -v[26:27]
	ds_read_b128 v[26:29], v33 offset:2144
	v_mul_f64 v[0:1], v[0:1], v[20:21]
	v_fmac_f64_e32 v[0:1], v[2:3], v[18:19]
	v_add_f64 v[56:57], v[0:1], v[38:39]
	ds_read_b128 v[0:3], v33 offset:2160
	s_waitcnt lgkmcnt(1)
	v_mul_f64 v[38:39], v[28:29], v[16:17]
	v_mul_f64 v[16:17], v[26:27], v[16:17]
	v_fma_f64 v[38:39], v[26:27], v[14:15], -v[38:39]
	v_fmac_f64_e32 v[16:17], v[28:29], v[14:15]
	v_mul_f64 v[14:15], v[28:29], v[20:21]
	v_add_f64 v[42:43], v[42:43], v[38:39]
	v_add_f64 v[44:45], v[16:17], v[44:45]
	v_fma_f64 v[38:39], v[26:27], v[18:19], -v[14:15]
	ds_read_b128 v[14:17], v32 offset:3584
	v_add_f64 v[54:55], v[40:41], v[54:55]
	v_add_f64 v[50:51], v[50:51], v[38:39]
	ds_read_b128 v[38:41], v32 offset:3840
	v_mul_f64 v[20:21], v[26:27], v[20:21]
	v_fmac_f64_e32 v[20:21], v[28:29], v[18:19]
	s_waitcnt lgkmcnt(1)
	v_mul_f64 v[18:19], v[24:25], v[16:17]
	v_fma_f64 v[18:19], v[22:23], v[14:15], -v[18:19]
	v_add_f64 v[52:53], v[20:21], v[52:53]
	v_mul_f64 v[20:21], v[22:23], v[16:17]
	v_add_f64 v[26:27], v[46:47], v[18:19]
	s_waitcnt lgkmcnt(0)
	v_mul_f64 v[18:19], v[24:25], v[40:41]
	v_fmac_f64_e32 v[20:21], v[24:25], v[14:15]
	v_fma_f64 v[18:19], v[22:23], v[38:39], -v[18:19]
	v_add_f64 v[28:29], v[20:21], v[48:49]
	v_mul_f64 v[20:21], v[22:23], v[40:41]
	v_add_f64 v[22:23], v[54:55], v[18:19]
	v_mul_f64 v[18:19], v[2:3], v[16:17]
	v_mul_f64 v[16:17], v[0:1], v[16:17]
	v_fma_f64 v[18:19], v[0:1], v[14:15], -v[18:19]
	v_fmac_f64_e32 v[16:17], v[2:3], v[14:15]
	v_mul_f64 v[14:15], v[2:3], v[40:41]
	v_fma_f64 v[14:15], v[0:1], v[38:39], -v[14:15]
	v_mul_f64 v[0:1], v[0:1], v[40:41]
	v_fmac_f64_e32 v[20:21], v[24:25], v[38:39]
	v_fmac_f64_e32 v[0:1], v[2:3], v[38:39]
	s_addc_u32 s3, s3, 0
	v_add_f64 v[24:25], v[20:21], v[56:57]
	v_add_f64 v[20:21], v[16:17], v[44:45]
	;; [unrolled: 1-line block ×4, first 2 shown]
	v_mov_b64_e32 v[0:1], s[2:3]
	v_cmp_gt_i64_e32 vcc, s[8:9], v[0:1]
	v_add_f64 v[18:19], v[42:43], v[18:19]
	s_barrier
	s_cbranch_vccz .LBB285_16
.LBB285_8:                              ; =>This Inner Loop Header: Depth=1
	v_mov_b64_e32 v[0:1], 0
	v_mov_b64_e32 v[2:3], 0
	s_and_saveexec_b64 s[16:17], s[0:1]
	s_cbranch_execz .LBB285_12
; %bb.9:                                ;   in Loop: Header=BB285_8 Depth=1
	v_add_u32_e32 v12, s2, v6
	v_cmp_gt_u64_e32 vcc, s[8:9], v[12:13]
	v_mov_b64_e32 v[2:3], 0
	v_mov_b64_e32 v[0:1], 0
	s_and_saveexec_b64 s[18:19], vcc
	s_cbranch_execz .LBB285_11
; %bb.10:                               ;   in Loop: Header=BB285_8 Depth=1
	v_lshl_add_u64 v[0:1], v[12:13], 4, v[8:9]
	global_load_dwordx4 v[0:3], v[0:1], off
	s_waitcnt vmcnt(0)
	v_xor_b32_e32 v3, 0x80000000, v3
.LBB285_11:                             ;   in Loop: Header=BB285_8 Depth=1
	s_or_b64 exec, exec, s[18:19]
.LBB285_12:                             ;   in Loop: Header=BB285_8 Depth=1
	s_or_b64 exec, exec, s[16:17]
	v_add_u32_e32 v12, s2, v4
	v_cmp_le_u64_e32 vcc, s[8:9], v[12:13]
	s_or_b64 s[16:17], vcc, s[14:15]
	ds_write_b128 v30, v[0:3]
	s_and_saveexec_b64 s[18:19], s[16:17]
	s_xor_b64 s[16:17], exec, s[18:19]
; %bb.13:                               ;   in Loop: Header=BB285_8 Depth=1
	ds_write_b128 v31, v[34:37]
; %bb.14:                               ;   in Loop: Header=BB285_8 Depth=1
	s_andn2_saveexec_b64 s[16:17], s[16:17]
	s_cbranch_execz .LBB285_7
; %bb.15:                               ;   in Loop: Header=BB285_8 Depth=1
	v_lshl_add_u64 v[0:1], v[12:13], 4, v[10:11]
	global_load_dwordx4 v[0:3], v[0:1], off
	s_waitcnt vmcnt(0)
	ds_write2_b64 v31, v[0:1], v[2:3] offset1:1
	s_branch .LBB285_7
.LBB285_16:
	s_waitcnt lgkmcnt(0)
	s_mul_i32 s0, s39, s4
	s_mul_hi_u32 s1, s38, s4
	s_add_i32 s1, s1, s0
	s_mul_i32 s0, s38, s4
	s_lshl_b64 s[0:1], s[0:1], 4
	v_add_u32_e32 v10, s34, v7
	s_add_u32 s8, s30, s0
	v_ashrrev_i32_e32 v0, 31, v10
	s_addc_u32 s9, s31, s1
	v_add_u32_e32 v4, s5, v5
	v_cmp_neq_f64_e64 s[0:1], s[26:27], 0
	s_xor_b64 s[4:5], s[6:7], -1
	v_mul_lo_u32 v2, s36, v0
	v_mul_lo_u32 v3, s37, v10
	v_mad_u64_u32 v[0:1], s[2:3], s36, v10, 0
	v_add3_u32 v1, v1, v2, v3
	s_or_b64 s[0:1], s[0:1], s[4:5]
	v_lshl_add_u64 v[8:9], v[0:1], 4, s[8:9]
	v_cmp_le_i32_e32 vcc, v10, v4
	v_cmp_gt_i32_e64 s[2:3], s33, v4
	v_cndmask_b32_e64 v0, 0, 1, s[0:1]
	s_and_b64 s[6:7], vcc, s[2:3]
	v_ashrrev_i32_e32 v5, 31, v4
	v_cmp_ne_u32_e64 s[0:1], 1, v0
	s_and_saveexec_b64 s[4:5], s[6:7]
	s_cbranch_execz .LBB285_20
; %bb.17:
	v_mul_f64 v[0:1], s[12:13], v[28:29]
	v_mul_f64 v[2:3], s[10:11], v[28:29]
	v_fma_f64 v[0:1], s[10:11], v[26:27], -v[0:1]
	v_fmac_f64_e32 v[2:3], s[12:13], v[26:27]
	s_and_b64 vcc, exec, s[0:1]
	v_lshl_add_u64 v[6:7], v[4:5], 4, v[8:9]
	s_cbranch_vccnz .LBB285_19
; %bb.18:
	global_load_dwordx4 v[26:29], v[6:7], off
	s_waitcnt vmcnt(0)
	v_mul_f64 v[12:13], s[28:29], v[28:29]
	v_mul_f64 v[28:29], s[26:27], v[28:29]
	v_fma_f64 v[12:13], s[26:27], v[26:27], -v[12:13]
	v_fmac_f64_e32 v[28:29], s[28:29], v[26:27]
	v_add_f64 v[0:1], v[0:1], v[12:13]
	v_add_f64 v[2:3], v[2:3], v[28:29]
.LBB285_19:
	global_store_dwordx4 v[6:7], v[0:3], off
.LBB285_20:
	s_or_b64 exec, exec, s[4:5]
	v_add_u32_e32 v6, 16, v4
	v_cmp_le_i32_e32 vcc, v10, v6
	v_cmp_gt_i32_e64 s[4:5], s33, v6
	s_and_b64 s[14:15], vcc, s[4:5]
	v_ashrrev_i32_e32 v7, 31, v6
	s_and_saveexec_b64 s[6:7], s[14:15]
	s_cbranch_execz .LBB285_24
; %bb.21:
	v_mul_f64 v[0:1], s[12:13], v[24:25]
	v_mul_f64 v[2:3], s[10:11], v[24:25]
	v_fma_f64 v[0:1], s[10:11], v[22:23], -v[0:1]
	v_fmac_f64_e32 v[2:3], s[12:13], v[22:23]
	s_and_b64 vcc, exec, s[0:1]
	v_lshl_add_u64 v[8:9], v[6:7], 4, v[8:9]
	s_cbranch_vccnz .LBB285_23
; %bb.22:
	global_load_dwordx4 v[22:25], v[8:9], off
	s_waitcnt vmcnt(0)
	v_mul_f64 v[12:13], s[28:29], v[24:25]
	v_mul_f64 v[24:25], s[26:27], v[24:25]
	v_fma_f64 v[12:13], s[26:27], v[22:23], -v[12:13]
	v_fmac_f64_e32 v[24:25], s[28:29], v[22:23]
	v_add_f64 v[0:1], v[0:1], v[12:13]
	v_add_f64 v[2:3], v[2:3], v[24:25]
.LBB285_23:
	global_store_dwordx4 v[8:9], v[0:3], off
.LBB285_24:
	s_or_b64 exec, exec, s[6:7]
	v_add_u32_e32 v10, 16, v10
	v_ashrrev_i32_e32 v0, 31, v10
	v_mul_lo_u32 v2, s36, v0
	v_mul_lo_u32 v3, s37, v10
	v_mad_u64_u32 v[0:1], s[6:7], s36, v10, 0
	v_add3_u32 v1, v1, v2, v3
	v_cmp_le_i32_e32 vcc, v10, v4
	v_lshl_add_u64 v[8:9], v[0:1], 4, s[8:9]
	s_and_b64 s[6:7], vcc, s[2:3]
	s_and_saveexec_b64 s[2:3], s[6:7]
	s_cbranch_execz .LBB285_28
; %bb.25:
	v_mul_f64 v[0:1], s[12:13], v[20:21]
	v_mul_f64 v[2:3], s[10:11], v[20:21]
	v_fma_f64 v[0:1], s[10:11], v[18:19], -v[0:1]
	v_fmac_f64_e32 v[2:3], s[12:13], v[18:19]
	s_and_b64 vcc, exec, s[0:1]
	v_lshl_add_u64 v[4:5], v[4:5], 4, v[8:9]
	s_cbranch_vccnz .LBB285_27
; %bb.26:
	global_load_dwordx4 v[18:21], v[4:5], off
	s_waitcnt vmcnt(0)
	v_mul_f64 v[12:13], s[28:29], v[20:21]
	v_mul_f64 v[20:21], s[26:27], v[20:21]
	v_fma_f64 v[12:13], s[26:27], v[18:19], -v[12:13]
	v_fmac_f64_e32 v[20:21], s[28:29], v[18:19]
	v_add_f64 v[0:1], v[0:1], v[12:13]
	v_add_f64 v[2:3], v[2:3], v[20:21]
.LBB285_27:
	global_store_dwordx4 v[4:5], v[0:3], off
.LBB285_28:
	s_or_b64 exec, exec, s[2:3]
	v_cmp_le_i32_e32 vcc, v10, v6
	s_and_b64 s[2:3], vcc, s[4:5]
	s_and_saveexec_b64 s[4:5], s[2:3]
	s_cbranch_execz .LBB285_32
; %bb.29:
	v_mul_f64 v[0:1], s[12:13], v[14:15]
	v_mul_f64 v[2:3], s[10:11], v[14:15]
	v_fma_f64 v[0:1], s[10:11], v[16:17], -v[0:1]
	v_fmac_f64_e32 v[2:3], s[12:13], v[16:17]
	s_and_b64 vcc, exec, s[0:1]
	v_lshl_add_u64 v[4:5], v[6:7], 4, v[8:9]
	s_cbranch_vccnz .LBB285_31
; %bb.30:
	global_load_dwordx4 v[6:9], v[4:5], off
	s_waitcnt vmcnt(0)
	v_mul_f64 v[10:11], s[28:29], v[8:9]
	v_mul_f64 v[8:9], s[26:27], v[8:9]
	v_fma_f64 v[10:11], s[26:27], v[6:7], -v[10:11]
	v_fmac_f64_e32 v[8:9], s[28:29], v[6:7]
	v_add_f64 v[0:1], v[0:1], v[10:11]
	v_add_f64 v[2:3], v[2:3], v[8:9]
.LBB285_31:
	global_store_dwordx4 v[4:5], v[0:3], off
.LBB285_32:
	s_endpgm
	.section	.rodata,"a",@progbits
	.p2align	6, 0x0
	.amdhsa_kernel _ZL29rocblas_internal_gemmt_kernelIlLi16ELi32ELi8ELc67ELc78ELc76ELb1ELb0E19rocblas_complex_numIdES1_PKS1_PS1_EviT_T9_T10_S5_lS7_S5_lS6_T11_S5_li
		.amdhsa_group_segment_fixed_size 8192
		.amdhsa_private_segment_fixed_size 0
		.amdhsa_kernarg_size 124
		.amdhsa_user_sgpr_count 2
		.amdhsa_user_sgpr_dispatch_ptr 0
		.amdhsa_user_sgpr_queue_ptr 0
		.amdhsa_user_sgpr_kernarg_segment_ptr 1
		.amdhsa_user_sgpr_dispatch_id 0
		.amdhsa_user_sgpr_kernarg_preload_length 0
		.amdhsa_user_sgpr_kernarg_preload_offset 0
		.amdhsa_user_sgpr_private_segment_size 0
		.amdhsa_uses_dynamic_stack 0
		.amdhsa_enable_private_segment 0
		.amdhsa_system_sgpr_workgroup_id_x 1
		.amdhsa_system_sgpr_workgroup_id_y 1
		.amdhsa_system_sgpr_workgroup_id_z 1
		.amdhsa_system_sgpr_workgroup_info 0
		.amdhsa_system_vgpr_workitem_id 1
		.amdhsa_next_free_vgpr 64
		.amdhsa_next_free_sgpr 40
		.amdhsa_accum_offset 64
		.amdhsa_reserve_vcc 1
		.amdhsa_float_round_mode_32 0
		.amdhsa_float_round_mode_16_64 0
		.amdhsa_float_denorm_mode_32 3
		.amdhsa_float_denorm_mode_16_64 3
		.amdhsa_dx10_clamp 1
		.amdhsa_ieee_mode 1
		.amdhsa_fp16_overflow 0
		.amdhsa_tg_split 0
		.amdhsa_exception_fp_ieee_invalid_op 0
		.amdhsa_exception_fp_denorm_src 0
		.amdhsa_exception_fp_ieee_div_zero 0
		.amdhsa_exception_fp_ieee_overflow 0
		.amdhsa_exception_fp_ieee_underflow 0
		.amdhsa_exception_fp_ieee_inexact 0
		.amdhsa_exception_int_div_zero 0
	.end_amdhsa_kernel
	.section	.text._ZL29rocblas_internal_gemmt_kernelIlLi16ELi32ELi8ELc67ELc78ELc76ELb1ELb0E19rocblas_complex_numIdES1_PKS1_PS1_EviT_T9_T10_S5_lS7_S5_lS6_T11_S5_li,"axG",@progbits,_ZL29rocblas_internal_gemmt_kernelIlLi16ELi32ELi8ELc67ELc78ELc76ELb1ELb0E19rocblas_complex_numIdES1_PKS1_PS1_EviT_T9_T10_S5_lS7_S5_lS6_T11_S5_li,comdat
.Lfunc_end285:
	.size	_ZL29rocblas_internal_gemmt_kernelIlLi16ELi32ELi8ELc67ELc78ELc76ELb1ELb0E19rocblas_complex_numIdES1_PKS1_PS1_EviT_T9_T10_S5_lS7_S5_lS6_T11_S5_li, .Lfunc_end285-_ZL29rocblas_internal_gemmt_kernelIlLi16ELi32ELi8ELc67ELc78ELc76ELb1ELb0E19rocblas_complex_numIdES1_PKS1_PS1_EviT_T9_T10_S5_lS7_S5_lS6_T11_S5_li
                                        ; -- End function
	.set _ZL29rocblas_internal_gemmt_kernelIlLi16ELi32ELi8ELc67ELc78ELc76ELb1ELb0E19rocblas_complex_numIdES1_PKS1_PS1_EviT_T9_T10_S5_lS7_S5_lS6_T11_S5_li.num_vgpr, 64
	.set _ZL29rocblas_internal_gemmt_kernelIlLi16ELi32ELi8ELc67ELc78ELc76ELb1ELb0E19rocblas_complex_numIdES1_PKS1_PS1_EviT_T9_T10_S5_lS7_S5_lS6_T11_S5_li.num_agpr, 0
	.set _ZL29rocblas_internal_gemmt_kernelIlLi16ELi32ELi8ELc67ELc78ELc76ELb1ELb0E19rocblas_complex_numIdES1_PKS1_PS1_EviT_T9_T10_S5_lS7_S5_lS6_T11_S5_li.numbered_sgpr, 40
	.set _ZL29rocblas_internal_gemmt_kernelIlLi16ELi32ELi8ELc67ELc78ELc76ELb1ELb0E19rocblas_complex_numIdES1_PKS1_PS1_EviT_T9_T10_S5_lS7_S5_lS6_T11_S5_li.num_named_barrier, 0
	.set _ZL29rocblas_internal_gemmt_kernelIlLi16ELi32ELi8ELc67ELc78ELc76ELb1ELb0E19rocblas_complex_numIdES1_PKS1_PS1_EviT_T9_T10_S5_lS7_S5_lS6_T11_S5_li.private_seg_size, 0
	.set _ZL29rocblas_internal_gemmt_kernelIlLi16ELi32ELi8ELc67ELc78ELc76ELb1ELb0E19rocblas_complex_numIdES1_PKS1_PS1_EviT_T9_T10_S5_lS7_S5_lS6_T11_S5_li.uses_vcc, 1
	.set _ZL29rocblas_internal_gemmt_kernelIlLi16ELi32ELi8ELc67ELc78ELc76ELb1ELb0E19rocblas_complex_numIdES1_PKS1_PS1_EviT_T9_T10_S5_lS7_S5_lS6_T11_S5_li.uses_flat_scratch, 0
	.set _ZL29rocblas_internal_gemmt_kernelIlLi16ELi32ELi8ELc67ELc78ELc76ELb1ELb0E19rocblas_complex_numIdES1_PKS1_PS1_EviT_T9_T10_S5_lS7_S5_lS6_T11_S5_li.has_dyn_sized_stack, 0
	.set _ZL29rocblas_internal_gemmt_kernelIlLi16ELi32ELi8ELc67ELc78ELc76ELb1ELb0E19rocblas_complex_numIdES1_PKS1_PS1_EviT_T9_T10_S5_lS7_S5_lS6_T11_S5_li.has_recursion, 0
	.set _ZL29rocblas_internal_gemmt_kernelIlLi16ELi32ELi8ELc67ELc78ELc76ELb1ELb0E19rocblas_complex_numIdES1_PKS1_PS1_EviT_T9_T10_S5_lS7_S5_lS6_T11_S5_li.has_indirect_call, 0
	.section	.AMDGPU.csdata,"",@progbits
; Kernel info:
; codeLenInByte = 3148
; TotalNumSgprs: 46
; NumVgprs: 64
; NumAgprs: 0
; TotalNumVgprs: 64
; ScratchSize: 0
; MemoryBound: 1
; FloatMode: 240
; IeeeMode: 1
; LDSByteSize: 8192 bytes/workgroup (compile time only)
; SGPRBlocks: 5
; VGPRBlocks: 7
; NumSGPRsForWavesPerEU: 46
; NumVGPRsForWavesPerEU: 64
; AccumOffset: 64
; Occupancy: 8
; WaveLimiterHint : 0
; COMPUTE_PGM_RSRC2:SCRATCH_EN: 0
; COMPUTE_PGM_RSRC2:USER_SGPR: 2
; COMPUTE_PGM_RSRC2:TRAP_HANDLER: 0
; COMPUTE_PGM_RSRC2:TGID_X_EN: 1
; COMPUTE_PGM_RSRC2:TGID_Y_EN: 1
; COMPUTE_PGM_RSRC2:TGID_Z_EN: 1
; COMPUTE_PGM_RSRC2:TIDIG_COMP_CNT: 1
; COMPUTE_PGM_RSRC3_GFX90A:ACCUM_OFFSET: 15
; COMPUTE_PGM_RSRC3_GFX90A:TG_SPLIT: 0
	.section	.text._ZL29rocblas_internal_gemmt_kernelIlLi16ELi32ELi8ELc67ELc84ELc76ELb1ELb0E19rocblas_complex_numIdES1_PKS1_PS1_EviT_T9_T10_S5_lS7_S5_lS6_T11_S5_li,"axG",@progbits,_ZL29rocblas_internal_gemmt_kernelIlLi16ELi32ELi8ELc67ELc84ELc76ELb1ELb0E19rocblas_complex_numIdES1_PKS1_PS1_EviT_T9_T10_S5_lS7_S5_lS6_T11_S5_li,comdat
	.globl	_ZL29rocblas_internal_gemmt_kernelIlLi16ELi32ELi8ELc67ELc84ELc76ELb1ELb0E19rocblas_complex_numIdES1_PKS1_PS1_EviT_T9_T10_S5_lS7_S5_lS6_T11_S5_li ; -- Begin function _ZL29rocblas_internal_gemmt_kernelIlLi16ELi32ELi8ELc67ELc84ELc76ELb1ELb0E19rocblas_complex_numIdES1_PKS1_PS1_EviT_T9_T10_S5_lS7_S5_lS6_T11_S5_li
	.p2align	8
	.type	_ZL29rocblas_internal_gemmt_kernelIlLi16ELi32ELi8ELc67ELc84ELc76ELb1ELb0E19rocblas_complex_numIdES1_PKS1_PS1_EviT_T9_T10_S5_lS7_S5_lS6_T11_S5_li,@function
_ZL29rocblas_internal_gemmt_kernelIlLi16ELi32ELi8ELc67ELc84ELc76ELb1ELb0E19rocblas_complex_numIdES1_PKS1_PS1_EviT_T9_T10_S5_lS7_S5_lS6_T11_S5_li: ; @_ZL29rocblas_internal_gemmt_kernelIlLi16ELi32ELi8ELc67ELc84ELc76ELb1ELb0E19rocblas_complex_numIdES1_PKS1_PS1_EviT_T9_T10_S5_lS7_S5_lS6_T11_S5_li
; %bb.0:
	s_load_dwordx8 s[24:31], s[0:1], 0x48
	s_load_dwordx16 s[8:23], s[0:1], 0x8
	s_mov_b64 s[34:35], 0
	s_waitcnt lgkmcnt(0)
	v_cmp_eq_f64_e64 s[36:37], s[26:27], 1.0
	v_cmp_eq_f64_e64 s[6:7], s[28:29], 0
	s_and_b64 s[36:37], s[36:37], s[6:7]
	s_andn2_b64 vcc, exec, s[36:37]
	s_mov_b64 s[36:37], -1
	s_cbranch_vccnz .LBB286_4
; %bb.1:
	s_cmp_lg_u64 s[8:9], 0
	s_cbranch_scc0 .LBB286_3
; %bb.2:
	v_cmp_neq_f64_e64 s[34:35], s[10:11], 0
	v_cmp_neq_f64_e64 s[36:37], s[12:13], 0
	s_or_b64 s[34:35], s[34:35], s[36:37]
.LBB286_3:
	s_mov_b64 s[36:37], s[34:35]
.LBB286_4:
	s_and_b64 vcc, exec, s[36:37]
	s_cbranch_vccz .LBB286_32
; %bb.5:
	s_load_dwordx4 s[36:39], s[0:1], 0x68
	s_load_dword s33, s[0:1], 0x0
	s_lshl_b32 s5, s2, 5
	s_lshl_b32 s34, s3, 5
	v_cmp_eq_f64_e64 s[0:1], s[10:11], 0
	v_cmp_eq_f64_e64 s[2:3], s[12:13], 0
	s_and_b64 s[0:1], s[0:1], s[2:3]
	v_cmp_lt_i64_e64 s[2:3], s[8:9], 1
	s_or_b64 s[0:1], s[0:1], s[2:3]
	v_and_b32_e32 v5, 0x3ff, v0
	v_bfe_u32 v7, v0, 10, 10
	v_mov_b64_e32 v[26:27], 0
	s_and_b64 vcc, exec, s[0:1]
	v_mov_b64_e32 v[28:29], 0
	v_mov_b64_e32 v[22:23], 0
	;; [unrolled: 1-line block ×7, first 2 shown]
	s_cbranch_vccnz .LBB286_16
; %bb.6:
	s_mul_i32 s0, s25, s4
	s_mul_hi_u32 s1, s24, s4
	s_add_i32 s1, s1, s0
	s_mul_i32 s0, s24, s4
	s_lshl_b64 s[0:1], s[0:1], 4
	s_add_u32 s2, s20, s0
	s_addc_u32 s3, s21, s1
	s_mul_i32 s0, s19, s4
	s_mul_hi_u32 s1, s18, s4
	s_add_i32 s1, s1, s0
	s_mul_i32 s0, s18, s4
	v_lshl_add_u32 v1, v7, 4, v5
	s_lshl_b64 s[0:1], s[0:1], 4
	v_lshrrev_b32_e32 v6, 5, v1
	v_lshrrev_b32_e32 v10, 3, v1
	v_and_b32_e32 v1, 31, v1
	s_add_u32 s14, s14, s0
	v_or_b32_e32 v2, s5, v1
	s_addc_u32 s15, s15, s1
	v_lshlrev_b32_e32 v1, 4, v1
	s_ashr_i32 s20, s5, 31
	v_and_b32_e32 v4, 7, v5
	s_waitcnt lgkmcnt(0)
	v_cmp_gt_i32_e64 s[0:1], s33, v2
	v_lshl_or_b32 v30, v6, 9, v1
	v_mul_lo_u32 v1, s17, v2
	v_mad_u64_u32 v[2:3], s[18:19], s16, v2, 0
	s_mul_i32 s16, s16, s20
	v_add3_u32 v3, v3, s16, v1
	v_lshlrev_b32_e32 v1, 4, v4
	v_add_u32_e32 v0, s34, v10
	v_lshl_or_b32 v1, v10, 7, v1
	v_add_u32_e32 v31, 0x1000, v1
	v_ashrrev_i32_e32 v1, 31, v0
	v_cmp_gt_i32_e32 vcc, s33, v0
	v_lshl_add_u64 v[10:11], v[0:1], 4, s[2:3]
	v_mov_b32_e32 v0, 0x1000
	v_mov_b32_e32 v13, 0
	v_lshl_add_u64 v[8:9], v[2:3], 4, s[14:15]
	v_lshlrev_b32_e32 v32, 4, v5
	v_lshl_add_u32 v33, v7, 7, v0
	v_mov_b64_e32 v[14:15], 0
	s_mov_b64 s[2:3], 0
	s_xor_b64 s[14:15], vcc, -1
	v_mov_b32_e32 v34, v13
	v_mov_b32_e32 v35, v13
	;; [unrolled: 1-line block ×4, first 2 shown]
	v_mov_b64_e32 v[16:17], 0
	v_mov_b64_e32 v[20:21], 0
	;; [unrolled: 1-line block ×7, first 2 shown]
	s_branch .LBB286_8
.LBB286_7:                              ;   in Loop: Header=BB286_8 Depth=1
	s_or_b64 exec, exec, s[16:17]
	s_waitcnt lgkmcnt(0)
	s_barrier
	ds_read_b128 v[0:3], v32
	ds_read_b128 v[38:41], v33
	ds_read_b128 v[42:45], v33 offset:16
	ds_read_b128 v[46:49], v33 offset:32
	;; [unrolled: 1-line block ×4, first 2 shown]
	s_waitcnt lgkmcnt(4)
	v_mul_f64 v[58:59], v[40:41], v[2:3]
	v_fma_f64 v[58:59], v[38:39], v[0:1], -v[58:59]
	v_mul_f64 v[60:61], v[38:39], v[2:3]
	v_fmac_f64_e32 v[60:61], v[40:41], v[0:1]
	v_add_f64 v[58:59], v[26:27], v[58:59]
	s_waitcnt lgkmcnt(0)
	v_mul_f64 v[26:27], v[40:41], v[56:57]
	v_add_f64 v[60:61], v[60:61], v[28:29]
	v_fma_f64 v[62:63], v[38:39], v[54:55], -v[26:27]
	ds_read_b128 v[26:29], v33 offset:2048
	v_mul_f64 v[38:39], v[38:39], v[56:57]
	v_fmac_f64_e32 v[38:39], v[40:41], v[54:55]
	v_add_f64 v[40:41], v[22:23], v[62:63]
	v_add_f64 v[38:39], v[38:39], v[24:25]
	ds_read_b128 v[22:25], v33 offset:2064
	s_waitcnt lgkmcnt(1)
	v_mul_f64 v[62:63], v[28:29], v[2:3]
	v_mul_f64 v[2:3], v[26:27], v[2:3]
	v_fma_f64 v[62:63], v[26:27], v[0:1], -v[62:63]
	v_fmac_f64_e32 v[2:3], v[28:29], v[0:1]
	v_mul_f64 v[0:1], v[28:29], v[56:57]
	v_add_f64 v[18:19], v[18:19], v[62:63]
	v_add_f64 v[20:21], v[2:3], v[20:21]
	v_fma_f64 v[62:63], v[26:27], v[54:55], -v[0:1]
	v_mul_f64 v[26:27], v[26:27], v[56:57]
	ds_read_b128 v[0:3], v32 offset:512
	v_fmac_f64_e32 v[26:27], v[28:29], v[54:55]
	v_add_f64 v[28:29], v[16:17], v[62:63]
	v_add_f64 v[26:27], v[26:27], v[14:15]
	ds_read_b128 v[14:17], v32 offset:768
	s_waitcnt lgkmcnt(1)
	v_mul_f64 v[54:55], v[44:45], v[2:3]
	v_fma_f64 v[54:55], v[42:43], v[0:1], -v[54:55]
	v_add_f64 v[54:55], v[58:59], v[54:55]
	v_mul_f64 v[56:57], v[42:43], v[2:3]
	s_waitcnt lgkmcnt(0)
	v_mul_f64 v[58:59], v[44:45], v[16:17]
	v_fma_f64 v[58:59], v[42:43], v[14:15], -v[58:59]
	v_mul_f64 v[42:43], v[42:43], v[16:17]
	v_fmac_f64_e32 v[42:43], v[44:45], v[14:15]
	v_add_f64 v[38:39], v[42:43], v[38:39]
	v_mul_f64 v[42:43], v[24:25], v[2:3]
	v_mul_f64 v[2:3], v[22:23], v[2:3]
	v_fmac_f64_e32 v[56:57], v[44:45], v[0:1]
	v_fma_f64 v[42:43], v[22:23], v[0:1], -v[42:43]
	v_fmac_f64_e32 v[2:3], v[24:25], v[0:1]
	v_mul_f64 v[0:1], v[24:25], v[16:17]
	v_add_f64 v[42:43], v[18:19], v[42:43]
	v_add_f64 v[44:45], v[2:3], v[20:21]
	v_fma_f64 v[18:19], v[22:23], v[14:15], -v[0:1]
	v_mul_f64 v[16:17], v[22:23], v[16:17]
	ds_read_b128 v[0:3], v32 offset:1024
	v_fmac_f64_e32 v[16:17], v[24:25], v[14:15]
	v_add_f64 v[26:27], v[16:17], v[26:27]
	ds_read_b128 v[14:17], v32 offset:1280
	v_add_f64 v[28:29], v[28:29], v[18:19]
	s_waitcnt lgkmcnt(1)
	v_mul_f64 v[18:19], v[48:49], v[2:3]
	v_fma_f64 v[18:19], v[46:47], v[0:1], -v[18:19]
	v_mul_f64 v[20:21], v[46:47], v[2:3]
	v_add_f64 v[56:57], v[56:57], v[60:61]
	v_fmac_f64_e32 v[20:21], v[48:49], v[0:1]
	v_add_f64 v[54:55], v[54:55], v[18:19]
	s_waitcnt lgkmcnt(0)
	v_mul_f64 v[18:19], v[48:49], v[16:17]
	v_add_f64 v[56:57], v[20:21], v[56:57]
	v_fma_f64 v[22:23], v[46:47], v[14:15], -v[18:19]
	ds_read_b128 v[18:21], v33 offset:2080
	v_mul_f64 v[24:25], v[46:47], v[16:17]
	v_add_f64 v[40:41], v[40:41], v[58:59]
	v_fmac_f64_e32 v[24:25], v[48:49], v[14:15]
	v_add_f64 v[40:41], v[40:41], v[22:23]
	v_add_f64 v[38:39], v[24:25], v[38:39]
	ds_read_b128 v[22:25], v33 offset:2096
	s_waitcnt lgkmcnt(1)
	v_mul_f64 v[46:47], v[20:21], v[2:3]
	v_mul_f64 v[2:3], v[18:19], v[2:3]
	v_fma_f64 v[46:47], v[18:19], v[0:1], -v[46:47]
	v_fmac_f64_e32 v[2:3], v[20:21], v[0:1]
	v_mul_f64 v[0:1], v[20:21], v[16:17]
	v_mul_f64 v[16:17], v[18:19], v[16:17]
	v_fmac_f64_e32 v[16:17], v[20:21], v[14:15]
	v_add_f64 v[42:43], v[42:43], v[46:47]
	v_add_f64 v[44:45], v[2:3], v[44:45]
	v_fma_f64 v[46:47], v[18:19], v[14:15], -v[0:1]
	ds_read_b128 v[0:3], v32 offset:1536
	v_add_f64 v[20:21], v[16:17], v[26:27]
	ds_read_b128 v[14:17], v32 offset:1792
	v_add_f64 v[18:19], v[28:29], v[46:47]
	s_add_u32 s2, s2, 8
	s_waitcnt lgkmcnt(1)
	v_mul_f64 v[26:27], v[52:53], v[2:3]
	v_mul_f64 v[28:29], v[50:51], v[2:3]
	s_waitcnt lgkmcnt(0)
	v_mul_f64 v[46:47], v[52:53], v[16:17]
	v_fma_f64 v[46:47], v[50:51], v[14:15], -v[46:47]
	v_add_f64 v[40:41], v[40:41], v[46:47]
	v_mul_f64 v[46:47], v[24:25], v[2:3]
	v_mul_f64 v[2:3], v[22:23], v[2:3]
	v_fma_f64 v[26:27], v[50:51], v[0:1], -v[26:27]
	v_fmac_f64_e32 v[28:29], v[52:53], v[0:1]
	v_fma_f64 v[46:47], v[22:23], v[0:1], -v[46:47]
	v_fmac_f64_e32 v[2:3], v[24:25], v[0:1]
	v_mul_f64 v[0:1], v[24:25], v[16:17]
	v_mul_f64 v[48:49], v[50:51], v[16:17]
	v_add_f64 v[42:43], v[42:43], v[46:47]
	v_fma_f64 v[46:47], v[22:23], v[14:15], -v[0:1]
	v_mul_f64 v[22:23], v[22:23], v[16:17]
	v_fmac_f64_e32 v[48:49], v[52:53], v[14:15]
	v_add_f64 v[44:45], v[2:3], v[44:45]
	v_fmac_f64_e32 v[22:23], v[24:25], v[14:15]
	ds_read_b128 v[0:3], v33 offset:64
	ds_read_b128 v[14:17], v32 offset:2048
	v_add_f64 v[38:39], v[48:49], v[38:39]
	v_add_f64 v[46:47], v[18:19], v[46:47]
	;; [unrolled: 1-line block ×3, first 2 shown]
	ds_read_b128 v[18:21], v32 offset:2304
	ds_read_b128 v[22:25], v33 offset:80
	s_waitcnt lgkmcnt(2)
	v_mul_f64 v[50:51], v[2:3], v[16:17]
	v_add_f64 v[26:27], v[54:55], v[26:27]
	v_fma_f64 v[50:51], v[0:1], v[14:15], -v[50:51]
	v_mul_f64 v[52:53], v[0:1], v[16:17]
	v_add_f64 v[28:29], v[28:29], v[56:57]
	v_fmac_f64_e32 v[52:53], v[2:3], v[14:15]
	v_add_f64 v[50:51], v[26:27], v[50:51]
	s_waitcnt lgkmcnt(1)
	v_mul_f64 v[26:27], v[2:3], v[20:21]
	v_add_f64 v[52:53], v[52:53], v[28:29]
	v_fma_f64 v[54:55], v[0:1], v[18:19], -v[26:27]
	ds_read_b128 v[26:29], v33 offset:2112
	v_mul_f64 v[0:1], v[0:1], v[20:21]
	v_fmac_f64_e32 v[0:1], v[2:3], v[18:19]
	v_add_f64 v[40:41], v[40:41], v[54:55]
	v_add_f64 v[38:39], v[0:1], v[38:39]
	ds_read_b128 v[0:3], v33 offset:2128
	s_waitcnt lgkmcnt(1)
	v_mul_f64 v[54:55], v[28:29], v[16:17]
	v_mul_f64 v[16:17], v[26:27], v[16:17]
	v_fma_f64 v[54:55], v[26:27], v[14:15], -v[54:55]
	v_fmac_f64_e32 v[16:17], v[28:29], v[14:15]
	v_mul_f64 v[14:15], v[28:29], v[20:21]
	v_add_f64 v[42:43], v[42:43], v[54:55]
	v_add_f64 v[44:45], v[16:17], v[44:45]
	v_fma_f64 v[54:55], v[26:27], v[18:19], -v[14:15]
	v_mul_f64 v[20:21], v[26:27], v[20:21]
	ds_read_b128 v[14:17], v32 offset:2560
	v_fmac_f64_e32 v[20:21], v[28:29], v[18:19]
	v_add_f64 v[28:29], v[20:21], v[48:49]
	ds_read_b128 v[18:21], v32 offset:2816
	v_add_f64 v[26:27], v[46:47], v[54:55]
	s_waitcnt lgkmcnt(1)
	v_mul_f64 v[46:47], v[24:25], v[16:17]
	v_fma_f64 v[46:47], v[22:23], v[14:15], -v[46:47]
	v_add_f64 v[46:47], v[50:51], v[46:47]
	s_waitcnt lgkmcnt(0)
	v_mul_f64 v[50:51], v[24:25], v[20:21]
	v_mul_f64 v[48:49], v[22:23], v[16:17]
	v_fma_f64 v[50:51], v[22:23], v[18:19], -v[50:51]
	v_mul_f64 v[22:23], v[22:23], v[20:21]
	v_fmac_f64_e32 v[22:23], v[24:25], v[18:19]
	v_add_f64 v[38:39], v[22:23], v[38:39]
	v_mul_f64 v[22:23], v[2:3], v[16:17]
	v_mul_f64 v[16:17], v[0:1], v[16:17]
	v_fmac_f64_e32 v[48:49], v[24:25], v[14:15]
	v_fma_f64 v[22:23], v[0:1], v[14:15], -v[22:23]
	v_fmac_f64_e32 v[16:17], v[2:3], v[14:15]
	v_mul_f64 v[14:15], v[2:3], v[20:21]
	v_mul_f64 v[20:21], v[0:1], v[20:21]
	v_add_f64 v[42:43], v[42:43], v[22:23]
	v_add_f64 v[44:45], v[16:17], v[44:45]
	v_fma_f64 v[22:23], v[0:1], v[18:19], -v[14:15]
	v_fmac_f64_e32 v[20:21], v[2:3], v[18:19]
	ds_read_b128 v[0:3], v33 offset:96
	ds_read_b128 v[14:17], v32 offset:3072
	v_add_f64 v[48:49], v[48:49], v[52:53]
	v_add_f64 v[40:41], v[40:41], v[50:51]
	;; [unrolled: 1-line block ×4, first 2 shown]
	ds_read_b128 v[18:21], v32 offset:3328
	ds_read_b128 v[22:25], v33 offset:112
	s_waitcnt lgkmcnt(2)
	v_mul_f64 v[26:27], v[2:3], v[16:17]
	v_fma_f64 v[26:27], v[0:1], v[14:15], -v[26:27]
	v_mul_f64 v[28:29], v[0:1], v[16:17]
	v_fmac_f64_e32 v[28:29], v[2:3], v[14:15]
	v_add_f64 v[46:47], v[46:47], v[26:27]
	s_waitcnt lgkmcnt(1)
	v_mul_f64 v[26:27], v[2:3], v[20:21]
	v_add_f64 v[48:49], v[28:29], v[48:49]
	v_fma_f64 v[54:55], v[0:1], v[18:19], -v[26:27]
	ds_read_b128 v[26:29], v33 offset:2144
	v_mul_f64 v[0:1], v[0:1], v[20:21]
	v_fmac_f64_e32 v[0:1], v[2:3], v[18:19]
	v_add_f64 v[56:57], v[0:1], v[38:39]
	ds_read_b128 v[0:3], v33 offset:2160
	s_waitcnt lgkmcnt(1)
	v_mul_f64 v[38:39], v[28:29], v[16:17]
	v_mul_f64 v[16:17], v[26:27], v[16:17]
	v_fma_f64 v[38:39], v[26:27], v[14:15], -v[38:39]
	v_fmac_f64_e32 v[16:17], v[28:29], v[14:15]
	v_mul_f64 v[14:15], v[28:29], v[20:21]
	v_add_f64 v[42:43], v[42:43], v[38:39]
	v_add_f64 v[44:45], v[16:17], v[44:45]
	v_fma_f64 v[38:39], v[26:27], v[18:19], -v[14:15]
	ds_read_b128 v[14:17], v32 offset:3584
	v_add_f64 v[54:55], v[40:41], v[54:55]
	v_add_f64 v[50:51], v[50:51], v[38:39]
	ds_read_b128 v[38:41], v32 offset:3840
	v_mul_f64 v[20:21], v[26:27], v[20:21]
	v_fmac_f64_e32 v[20:21], v[28:29], v[18:19]
	s_waitcnt lgkmcnt(1)
	v_mul_f64 v[18:19], v[24:25], v[16:17]
	v_fma_f64 v[18:19], v[22:23], v[14:15], -v[18:19]
	v_add_f64 v[52:53], v[20:21], v[52:53]
	v_mul_f64 v[20:21], v[22:23], v[16:17]
	v_add_f64 v[26:27], v[46:47], v[18:19]
	s_waitcnt lgkmcnt(0)
	v_mul_f64 v[18:19], v[24:25], v[40:41]
	v_fmac_f64_e32 v[20:21], v[24:25], v[14:15]
	v_fma_f64 v[18:19], v[22:23], v[38:39], -v[18:19]
	v_add_f64 v[28:29], v[20:21], v[48:49]
	v_mul_f64 v[20:21], v[22:23], v[40:41]
	v_add_f64 v[22:23], v[54:55], v[18:19]
	v_mul_f64 v[18:19], v[2:3], v[16:17]
	v_mul_f64 v[16:17], v[0:1], v[16:17]
	v_fma_f64 v[18:19], v[0:1], v[14:15], -v[18:19]
	v_fmac_f64_e32 v[16:17], v[2:3], v[14:15]
	v_mul_f64 v[14:15], v[2:3], v[40:41]
	v_fma_f64 v[14:15], v[0:1], v[38:39], -v[14:15]
	v_mul_f64 v[0:1], v[0:1], v[40:41]
	v_fmac_f64_e32 v[20:21], v[24:25], v[38:39]
	v_fmac_f64_e32 v[0:1], v[2:3], v[38:39]
	s_addc_u32 s3, s3, 0
	v_add_f64 v[24:25], v[20:21], v[56:57]
	v_add_f64 v[20:21], v[16:17], v[44:45]
	;; [unrolled: 1-line block ×4, first 2 shown]
	v_mov_b64_e32 v[0:1], s[2:3]
	v_cmp_gt_i64_e32 vcc, s[8:9], v[0:1]
	v_add_f64 v[18:19], v[42:43], v[18:19]
	s_barrier
	s_cbranch_vccz .LBB286_16
.LBB286_8:                              ; =>This Inner Loop Header: Depth=1
	v_mov_b64_e32 v[0:1], 0
	v_mov_b64_e32 v[2:3], 0
	s_and_saveexec_b64 s[16:17], s[0:1]
	s_cbranch_execz .LBB286_12
; %bb.9:                                ;   in Loop: Header=BB286_8 Depth=1
	v_add_u32_e32 v12, s2, v6
	v_cmp_gt_u64_e32 vcc, s[8:9], v[12:13]
	v_mov_b64_e32 v[2:3], 0
	v_mov_b64_e32 v[0:1], 0
	s_and_saveexec_b64 s[18:19], vcc
	s_cbranch_execz .LBB286_11
; %bb.10:                               ;   in Loop: Header=BB286_8 Depth=1
	v_lshl_add_u64 v[0:1], v[12:13], 4, v[8:9]
	global_load_dwordx4 v[0:3], v[0:1], off
	s_waitcnt vmcnt(0)
	v_xor_b32_e32 v3, 0x80000000, v3
.LBB286_11:                             ;   in Loop: Header=BB286_8 Depth=1
	s_or_b64 exec, exec, s[18:19]
.LBB286_12:                             ;   in Loop: Header=BB286_8 Depth=1
	s_or_b64 exec, exec, s[16:17]
	v_add_u32_e32 v12, s2, v4
	v_cmp_le_u64_e32 vcc, s[8:9], v[12:13]
	s_or_b64 s[16:17], vcc, s[14:15]
	ds_write_b128 v30, v[0:3]
	s_and_saveexec_b64 s[18:19], s[16:17]
	s_xor_b64 s[16:17], exec, s[18:19]
; %bb.13:                               ;   in Loop: Header=BB286_8 Depth=1
	ds_write_b128 v31, v[34:37]
; %bb.14:                               ;   in Loop: Header=BB286_8 Depth=1
	s_andn2_saveexec_b64 s[16:17], s[16:17]
	s_cbranch_execz .LBB286_7
; %bb.15:                               ;   in Loop: Header=BB286_8 Depth=1
	v_mad_u64_u32 v[0:1], s[18:19], s22, v12, 0
	v_mov_b32_e32 v2, v1
	v_mad_u64_u32 v[2:3], s[18:19], s23, v12, v[2:3]
	v_mov_b32_e32 v1, v2
	v_lshl_add_u64 v[0:1], v[0:1], 4, v[10:11]
	global_load_dwordx4 v[0:3], v[0:1], off
	s_waitcnt vmcnt(0)
	ds_write2_b64 v31, v[0:1], v[2:3] offset1:1
	s_branch .LBB286_7
.LBB286_16:
	s_waitcnt lgkmcnt(0)
	s_mul_i32 s0, s39, s4
	s_mul_hi_u32 s1, s38, s4
	s_add_i32 s1, s1, s0
	s_mul_i32 s0, s38, s4
	s_lshl_b64 s[0:1], s[0:1], 4
	v_add_u32_e32 v10, s34, v7
	s_add_u32 s8, s30, s0
	v_ashrrev_i32_e32 v0, 31, v10
	s_addc_u32 s9, s31, s1
	v_add_u32_e32 v4, s5, v5
	v_cmp_neq_f64_e64 s[0:1], s[26:27], 0
	s_xor_b64 s[4:5], s[6:7], -1
	v_mul_lo_u32 v2, s36, v0
	v_mul_lo_u32 v3, s37, v10
	v_mad_u64_u32 v[0:1], s[2:3], s36, v10, 0
	v_add3_u32 v1, v1, v2, v3
	s_or_b64 s[0:1], s[0:1], s[4:5]
	v_lshl_add_u64 v[8:9], v[0:1], 4, s[8:9]
	v_cmp_le_i32_e32 vcc, v10, v4
	v_cmp_gt_i32_e64 s[2:3], s33, v4
	v_cndmask_b32_e64 v0, 0, 1, s[0:1]
	s_and_b64 s[6:7], vcc, s[2:3]
	v_ashrrev_i32_e32 v5, 31, v4
	v_cmp_ne_u32_e64 s[0:1], 1, v0
	s_and_saveexec_b64 s[4:5], s[6:7]
	s_cbranch_execz .LBB286_20
; %bb.17:
	v_mul_f64 v[0:1], s[12:13], v[28:29]
	v_mul_f64 v[2:3], s[10:11], v[28:29]
	v_fma_f64 v[0:1], s[10:11], v[26:27], -v[0:1]
	v_fmac_f64_e32 v[2:3], s[12:13], v[26:27]
	s_and_b64 vcc, exec, s[0:1]
	v_lshl_add_u64 v[6:7], v[4:5], 4, v[8:9]
	s_cbranch_vccnz .LBB286_19
; %bb.18:
	global_load_dwordx4 v[26:29], v[6:7], off
	s_waitcnt vmcnt(0)
	v_mul_f64 v[12:13], s[28:29], v[28:29]
	v_mul_f64 v[28:29], s[26:27], v[28:29]
	v_fma_f64 v[12:13], s[26:27], v[26:27], -v[12:13]
	v_fmac_f64_e32 v[28:29], s[28:29], v[26:27]
	v_add_f64 v[0:1], v[0:1], v[12:13]
	v_add_f64 v[2:3], v[2:3], v[28:29]
.LBB286_19:
	global_store_dwordx4 v[6:7], v[0:3], off
.LBB286_20:
	s_or_b64 exec, exec, s[4:5]
	v_add_u32_e32 v6, 16, v4
	v_cmp_le_i32_e32 vcc, v10, v6
	v_cmp_gt_i32_e64 s[4:5], s33, v6
	s_and_b64 s[14:15], vcc, s[4:5]
	v_ashrrev_i32_e32 v7, 31, v6
	s_and_saveexec_b64 s[6:7], s[14:15]
	s_cbranch_execz .LBB286_24
; %bb.21:
	v_mul_f64 v[0:1], s[12:13], v[24:25]
	v_mul_f64 v[2:3], s[10:11], v[24:25]
	v_fma_f64 v[0:1], s[10:11], v[22:23], -v[0:1]
	v_fmac_f64_e32 v[2:3], s[12:13], v[22:23]
	s_and_b64 vcc, exec, s[0:1]
	v_lshl_add_u64 v[8:9], v[6:7], 4, v[8:9]
	s_cbranch_vccnz .LBB286_23
; %bb.22:
	global_load_dwordx4 v[22:25], v[8:9], off
	s_waitcnt vmcnt(0)
	v_mul_f64 v[12:13], s[28:29], v[24:25]
	v_mul_f64 v[24:25], s[26:27], v[24:25]
	v_fma_f64 v[12:13], s[26:27], v[22:23], -v[12:13]
	v_fmac_f64_e32 v[24:25], s[28:29], v[22:23]
	v_add_f64 v[0:1], v[0:1], v[12:13]
	v_add_f64 v[2:3], v[2:3], v[24:25]
.LBB286_23:
	global_store_dwordx4 v[8:9], v[0:3], off
.LBB286_24:
	s_or_b64 exec, exec, s[6:7]
	v_add_u32_e32 v10, 16, v10
	v_ashrrev_i32_e32 v0, 31, v10
	v_mul_lo_u32 v2, s36, v0
	v_mul_lo_u32 v3, s37, v10
	v_mad_u64_u32 v[0:1], s[6:7], s36, v10, 0
	v_add3_u32 v1, v1, v2, v3
	v_cmp_le_i32_e32 vcc, v10, v4
	v_lshl_add_u64 v[8:9], v[0:1], 4, s[8:9]
	s_and_b64 s[6:7], vcc, s[2:3]
	s_and_saveexec_b64 s[2:3], s[6:7]
	s_cbranch_execz .LBB286_28
; %bb.25:
	v_mul_f64 v[0:1], s[12:13], v[20:21]
	v_mul_f64 v[2:3], s[10:11], v[20:21]
	v_fma_f64 v[0:1], s[10:11], v[18:19], -v[0:1]
	v_fmac_f64_e32 v[2:3], s[12:13], v[18:19]
	s_and_b64 vcc, exec, s[0:1]
	v_lshl_add_u64 v[4:5], v[4:5], 4, v[8:9]
	s_cbranch_vccnz .LBB286_27
; %bb.26:
	global_load_dwordx4 v[18:21], v[4:5], off
	s_waitcnt vmcnt(0)
	v_mul_f64 v[12:13], s[28:29], v[20:21]
	v_mul_f64 v[20:21], s[26:27], v[20:21]
	v_fma_f64 v[12:13], s[26:27], v[18:19], -v[12:13]
	v_fmac_f64_e32 v[20:21], s[28:29], v[18:19]
	v_add_f64 v[0:1], v[0:1], v[12:13]
	v_add_f64 v[2:3], v[2:3], v[20:21]
.LBB286_27:
	global_store_dwordx4 v[4:5], v[0:3], off
.LBB286_28:
	s_or_b64 exec, exec, s[2:3]
	v_cmp_le_i32_e32 vcc, v10, v6
	s_and_b64 s[2:3], vcc, s[4:5]
	s_and_saveexec_b64 s[4:5], s[2:3]
	s_cbranch_execz .LBB286_32
; %bb.29:
	v_mul_f64 v[0:1], s[12:13], v[14:15]
	v_mul_f64 v[2:3], s[10:11], v[14:15]
	v_fma_f64 v[0:1], s[10:11], v[16:17], -v[0:1]
	v_fmac_f64_e32 v[2:3], s[12:13], v[16:17]
	s_and_b64 vcc, exec, s[0:1]
	v_lshl_add_u64 v[4:5], v[6:7], 4, v[8:9]
	s_cbranch_vccnz .LBB286_31
; %bb.30:
	global_load_dwordx4 v[6:9], v[4:5], off
	s_waitcnt vmcnt(0)
	v_mul_f64 v[10:11], s[28:29], v[8:9]
	v_mul_f64 v[8:9], s[26:27], v[8:9]
	v_fma_f64 v[10:11], s[26:27], v[6:7], -v[10:11]
	v_fmac_f64_e32 v[8:9], s[28:29], v[6:7]
	v_add_f64 v[0:1], v[0:1], v[10:11]
	v_add_f64 v[2:3], v[2:3], v[8:9]
.LBB286_31:
	global_store_dwordx4 v[4:5], v[0:3], off
.LBB286_32:
	s_endpgm
	.section	.rodata,"a",@progbits
	.p2align	6, 0x0
	.amdhsa_kernel _ZL29rocblas_internal_gemmt_kernelIlLi16ELi32ELi8ELc67ELc84ELc76ELb1ELb0E19rocblas_complex_numIdES1_PKS1_PS1_EviT_T9_T10_S5_lS7_S5_lS6_T11_S5_li
		.amdhsa_group_segment_fixed_size 8192
		.amdhsa_private_segment_fixed_size 0
		.amdhsa_kernarg_size 124
		.amdhsa_user_sgpr_count 2
		.amdhsa_user_sgpr_dispatch_ptr 0
		.amdhsa_user_sgpr_queue_ptr 0
		.amdhsa_user_sgpr_kernarg_segment_ptr 1
		.amdhsa_user_sgpr_dispatch_id 0
		.amdhsa_user_sgpr_kernarg_preload_length 0
		.amdhsa_user_sgpr_kernarg_preload_offset 0
		.amdhsa_user_sgpr_private_segment_size 0
		.amdhsa_uses_dynamic_stack 0
		.amdhsa_enable_private_segment 0
		.amdhsa_system_sgpr_workgroup_id_x 1
		.amdhsa_system_sgpr_workgroup_id_y 1
		.amdhsa_system_sgpr_workgroup_id_z 1
		.amdhsa_system_sgpr_workgroup_info 0
		.amdhsa_system_vgpr_workitem_id 1
		.amdhsa_next_free_vgpr 64
		.amdhsa_next_free_sgpr 40
		.amdhsa_accum_offset 64
		.amdhsa_reserve_vcc 1
		.amdhsa_float_round_mode_32 0
		.amdhsa_float_round_mode_16_64 0
		.amdhsa_float_denorm_mode_32 3
		.amdhsa_float_denorm_mode_16_64 3
		.amdhsa_dx10_clamp 1
		.amdhsa_ieee_mode 1
		.amdhsa_fp16_overflow 0
		.amdhsa_tg_split 0
		.amdhsa_exception_fp_ieee_invalid_op 0
		.amdhsa_exception_fp_denorm_src 0
		.amdhsa_exception_fp_ieee_div_zero 0
		.amdhsa_exception_fp_ieee_overflow 0
		.amdhsa_exception_fp_ieee_underflow 0
		.amdhsa_exception_fp_ieee_inexact 0
		.amdhsa_exception_int_div_zero 0
	.end_amdhsa_kernel
	.section	.text._ZL29rocblas_internal_gemmt_kernelIlLi16ELi32ELi8ELc67ELc84ELc76ELb1ELb0E19rocblas_complex_numIdES1_PKS1_PS1_EviT_T9_T10_S5_lS7_S5_lS6_T11_S5_li,"axG",@progbits,_ZL29rocblas_internal_gemmt_kernelIlLi16ELi32ELi8ELc67ELc84ELc76ELb1ELb0E19rocblas_complex_numIdES1_PKS1_PS1_EviT_T9_T10_S5_lS7_S5_lS6_T11_S5_li,comdat
.Lfunc_end286:
	.size	_ZL29rocblas_internal_gemmt_kernelIlLi16ELi32ELi8ELc67ELc84ELc76ELb1ELb0E19rocblas_complex_numIdES1_PKS1_PS1_EviT_T9_T10_S5_lS7_S5_lS6_T11_S5_li, .Lfunc_end286-_ZL29rocblas_internal_gemmt_kernelIlLi16ELi32ELi8ELc67ELc84ELc76ELb1ELb0E19rocblas_complex_numIdES1_PKS1_PS1_EviT_T9_T10_S5_lS7_S5_lS6_T11_S5_li
                                        ; -- End function
	.set _ZL29rocblas_internal_gemmt_kernelIlLi16ELi32ELi8ELc67ELc84ELc76ELb1ELb0E19rocblas_complex_numIdES1_PKS1_PS1_EviT_T9_T10_S5_lS7_S5_lS6_T11_S5_li.num_vgpr, 64
	.set _ZL29rocblas_internal_gemmt_kernelIlLi16ELi32ELi8ELc67ELc84ELc76ELb1ELb0E19rocblas_complex_numIdES1_PKS1_PS1_EviT_T9_T10_S5_lS7_S5_lS6_T11_S5_li.num_agpr, 0
	.set _ZL29rocblas_internal_gemmt_kernelIlLi16ELi32ELi8ELc67ELc84ELc76ELb1ELb0E19rocblas_complex_numIdES1_PKS1_PS1_EviT_T9_T10_S5_lS7_S5_lS6_T11_S5_li.numbered_sgpr, 40
	.set _ZL29rocblas_internal_gemmt_kernelIlLi16ELi32ELi8ELc67ELc84ELc76ELb1ELb0E19rocblas_complex_numIdES1_PKS1_PS1_EviT_T9_T10_S5_lS7_S5_lS6_T11_S5_li.num_named_barrier, 0
	.set _ZL29rocblas_internal_gemmt_kernelIlLi16ELi32ELi8ELc67ELc84ELc76ELb1ELb0E19rocblas_complex_numIdES1_PKS1_PS1_EviT_T9_T10_S5_lS7_S5_lS6_T11_S5_li.private_seg_size, 0
	.set _ZL29rocblas_internal_gemmt_kernelIlLi16ELi32ELi8ELc67ELc84ELc76ELb1ELb0E19rocblas_complex_numIdES1_PKS1_PS1_EviT_T9_T10_S5_lS7_S5_lS6_T11_S5_li.uses_vcc, 1
	.set _ZL29rocblas_internal_gemmt_kernelIlLi16ELi32ELi8ELc67ELc84ELc76ELb1ELb0E19rocblas_complex_numIdES1_PKS1_PS1_EviT_T9_T10_S5_lS7_S5_lS6_T11_S5_li.uses_flat_scratch, 0
	.set _ZL29rocblas_internal_gemmt_kernelIlLi16ELi32ELi8ELc67ELc84ELc76ELb1ELb0E19rocblas_complex_numIdES1_PKS1_PS1_EviT_T9_T10_S5_lS7_S5_lS6_T11_S5_li.has_dyn_sized_stack, 0
	.set _ZL29rocblas_internal_gemmt_kernelIlLi16ELi32ELi8ELc67ELc84ELc76ELb1ELb0E19rocblas_complex_numIdES1_PKS1_PS1_EviT_T9_T10_S5_lS7_S5_lS6_T11_S5_li.has_recursion, 0
	.set _ZL29rocblas_internal_gemmt_kernelIlLi16ELi32ELi8ELc67ELc84ELc76ELb1ELb0E19rocblas_complex_numIdES1_PKS1_PS1_EviT_T9_T10_S5_lS7_S5_lS6_T11_S5_li.has_indirect_call, 0
	.section	.AMDGPU.csdata,"",@progbits
; Kernel info:
; codeLenInByte = 3140
; TotalNumSgprs: 46
; NumVgprs: 64
; NumAgprs: 0
; TotalNumVgprs: 64
; ScratchSize: 0
; MemoryBound: 1
; FloatMode: 240
; IeeeMode: 1
; LDSByteSize: 8192 bytes/workgroup (compile time only)
; SGPRBlocks: 5
; VGPRBlocks: 7
; NumSGPRsForWavesPerEU: 46
; NumVGPRsForWavesPerEU: 64
; AccumOffset: 64
; Occupancy: 8
; WaveLimiterHint : 0
; COMPUTE_PGM_RSRC2:SCRATCH_EN: 0
; COMPUTE_PGM_RSRC2:USER_SGPR: 2
; COMPUTE_PGM_RSRC2:TRAP_HANDLER: 0
; COMPUTE_PGM_RSRC2:TGID_X_EN: 1
; COMPUTE_PGM_RSRC2:TGID_Y_EN: 1
; COMPUTE_PGM_RSRC2:TGID_Z_EN: 1
; COMPUTE_PGM_RSRC2:TIDIG_COMP_CNT: 1
; COMPUTE_PGM_RSRC3_GFX90A:ACCUM_OFFSET: 15
; COMPUTE_PGM_RSRC3_GFX90A:TG_SPLIT: 0
	.section	.text._ZL29rocblas_internal_gemmt_kernelIlLi16ELi32ELi8ELc67ELc67ELc76ELb1ELb1E19rocblas_complex_numIdES1_PKS1_PS1_EviT_T9_T10_S5_lS7_S5_lS6_T11_S5_li,"axG",@progbits,_ZL29rocblas_internal_gemmt_kernelIlLi16ELi32ELi8ELc67ELc67ELc76ELb1ELb1E19rocblas_complex_numIdES1_PKS1_PS1_EviT_T9_T10_S5_lS7_S5_lS6_T11_S5_li,comdat
	.globl	_ZL29rocblas_internal_gemmt_kernelIlLi16ELi32ELi8ELc67ELc67ELc76ELb1ELb1E19rocblas_complex_numIdES1_PKS1_PS1_EviT_T9_T10_S5_lS7_S5_lS6_T11_S5_li ; -- Begin function _ZL29rocblas_internal_gemmt_kernelIlLi16ELi32ELi8ELc67ELc67ELc76ELb1ELb1E19rocblas_complex_numIdES1_PKS1_PS1_EviT_T9_T10_S5_lS7_S5_lS6_T11_S5_li
	.p2align	8
	.type	_ZL29rocblas_internal_gemmt_kernelIlLi16ELi32ELi8ELc67ELc67ELc76ELb1ELb1E19rocblas_complex_numIdES1_PKS1_PS1_EviT_T9_T10_S5_lS7_S5_lS6_T11_S5_li,@function
_ZL29rocblas_internal_gemmt_kernelIlLi16ELi32ELi8ELc67ELc67ELc76ELb1ELb1E19rocblas_complex_numIdES1_PKS1_PS1_EviT_T9_T10_S5_lS7_S5_lS6_T11_S5_li: ; @_ZL29rocblas_internal_gemmt_kernelIlLi16ELi32ELi8ELc67ELc67ELc76ELb1ELb1E19rocblas_complex_numIdES1_PKS1_PS1_EviT_T9_T10_S5_lS7_S5_lS6_T11_S5_li
; %bb.0:
	s_load_dwordx8 s[24:31], s[0:1], 0x48
	s_load_dwordx16 s[8:23], s[0:1], 0x8
	s_mov_b64 s[34:35], 0
	s_waitcnt lgkmcnt(0)
	v_cmp_eq_f64_e64 s[36:37], s[26:27], 1.0
	v_cmp_eq_f64_e64 s[6:7], s[28:29], 0
	s_and_b64 s[36:37], s[36:37], s[6:7]
	s_andn2_b64 vcc, exec, s[36:37]
	s_mov_b64 s[36:37], -1
	s_cbranch_vccnz .LBB287_4
; %bb.1:
	s_cmp_lg_u64 s[8:9], 0
	s_cbranch_scc0 .LBB287_3
; %bb.2:
	v_cmp_neq_f64_e64 s[34:35], s[10:11], 0
	v_cmp_neq_f64_e64 s[36:37], s[12:13], 0
	s_or_b64 s[34:35], s[34:35], s[36:37]
.LBB287_3:
	s_mov_b64 s[36:37], s[34:35]
.LBB287_4:
	s_and_b64 vcc, exec, s[36:37]
	s_cbranch_vccz .LBB287_30
; %bb.5:
	s_load_dwordx4 s[36:39], s[0:1], 0x68
	s_load_dword s33, s[0:1], 0x0
	s_lshl_b32 s5, s2, 5
	s_lshl_b32 s34, s3, 5
	v_cmp_eq_f64_e64 s[0:1], s[10:11], 0
	v_cmp_eq_f64_e64 s[2:3], s[12:13], 0
	s_and_b64 s[0:1], s[0:1], s[2:3]
	v_cmp_lt_i64_e64 s[2:3], s[8:9], 1
	s_or_b64 s[0:1], s[0:1], s[2:3]
	v_and_b32_e32 v5, 0x3ff, v0
	v_bfe_u32 v7, v0, 10, 10
	v_mov_b64_e32 v[26:27], 0
	s_and_b64 vcc, exec, s[0:1]
	v_mov_b64_e32 v[28:29], 0
	v_mov_b64_e32 v[22:23], 0
	;; [unrolled: 1-line block ×7, first 2 shown]
	s_cbranch_vccnz .LBB287_14
; %bb.6:
	s_mul_i32 s0, s25, s4
	s_mul_hi_u32 s1, s24, s4
	s_add_i32 s1, s1, s0
	s_mul_i32 s0, s24, s4
	s_lshl_b64 s[0:1], s[0:1], 4
	s_add_u32 s20, s20, s0
	s_addc_u32 s21, s21, s1
	s_mul_i32 s0, s19, s4
	s_mul_hi_u32 s1, s18, s4
	v_lshl_add_u32 v1, v7, 4, v5
	s_add_i32 s1, s1, s0
	s_mul_i32 s0, s18, s4
	v_lshrrev_b32_e32 v6, 5, v1
	v_lshrrev_b32_e32 v10, 3, v1
	v_and_b32_e32 v1, 31, v1
	s_lshl_b64 s[0:1], s[0:1], 4
	v_or_b32_e32 v2, s5, v1
	s_add_u32 s2, s14, s0
	v_lshlrev_b32_e32 v1, 4, v1
	s_addc_u32 s3, s15, s1
	s_waitcnt lgkmcnt(0)
	v_cmp_gt_i32_e64 s[0:1], s33, v2
	v_lshl_or_b32 v30, v6, 9, v1
	s_ashr_i32 s18, s5, 31
	v_mul_lo_u32 v1, s17, v2
	v_mad_u64_u32 v[2:3], s[14:15], s16, v2, 0
	v_and_b32_e32 v4, 7, v5
	s_mul_i32 s14, s16, s18
	v_add3_u32 v3, v3, s14, v1
	v_lshlrev_b32_e32 v1, 4, v4
	v_add_u32_e32 v0, s34, v10
	v_lshl_or_b32 v1, v10, 7, v1
	v_add_u32_e32 v31, 0x1000, v1
	v_ashrrev_i32_e32 v1, 31, v0
	v_lshl_add_u64 v[8:9], v[2:3], 4, s[2:3]
	v_cmp_gt_i32_e64 s[2:3], s33, v0
	v_lshl_add_u64 v[10:11], v[0:1], 4, s[20:21]
	v_mov_b32_e32 v0, 0x1000
	v_lshlrev_b32_e32 v32, 4, v5
	v_lshl_add_u32 v33, v7, 7, v0
	v_mov_b32_e32 v13, 0
	v_mov_b64_e32 v[14:15], 0
	s_mov_b64 s[14:15], 0
	v_mov_b64_e32 v[16:17], 0
	v_mov_b64_e32 v[20:21], 0
	;; [unrolled: 1-line block ×7, first 2 shown]
	s_branch .LBB287_8
.LBB287_7:                              ;   in Loop: Header=BB287_8 Depth=1
	s_or_b64 exec, exec, s[16:17]
	ds_write_b128 v31, v[0:3]
	s_waitcnt lgkmcnt(0)
	s_barrier
	ds_read_b128 v[0:3], v32
	ds_read_b128 v[34:37], v33
	ds_read_b128 v[38:41], v33 offset:16
	ds_read_b128 v[42:45], v33 offset:32
	;; [unrolled: 1-line block ×4, first 2 shown]
	s_waitcnt lgkmcnt(4)
	v_mul_f64 v[54:55], v[36:37], v[2:3]
	v_fma_f64 v[54:55], v[34:35], v[0:1], -v[54:55]
	v_mul_f64 v[56:57], v[34:35], v[2:3]
	v_fmac_f64_e32 v[56:57], v[36:37], v[0:1]
	v_add_f64 v[54:55], v[26:27], v[54:55]
	s_waitcnt lgkmcnt(0)
	v_mul_f64 v[26:27], v[36:37], v[52:53]
	v_add_f64 v[56:57], v[56:57], v[28:29]
	v_fma_f64 v[58:59], v[34:35], v[50:51], -v[26:27]
	ds_read_b128 v[26:29], v33 offset:2048
	v_mul_f64 v[34:35], v[34:35], v[52:53]
	v_fmac_f64_e32 v[34:35], v[36:37], v[50:51]
	v_add_f64 v[36:37], v[22:23], v[58:59]
	v_add_f64 v[34:35], v[34:35], v[24:25]
	ds_read_b128 v[22:25], v33 offset:2064
	s_waitcnt lgkmcnt(1)
	v_mul_f64 v[58:59], v[28:29], v[2:3]
	v_mul_f64 v[2:3], v[26:27], v[2:3]
	v_fma_f64 v[58:59], v[26:27], v[0:1], -v[58:59]
	v_fmac_f64_e32 v[2:3], v[28:29], v[0:1]
	v_mul_f64 v[0:1], v[28:29], v[52:53]
	v_add_f64 v[18:19], v[18:19], v[58:59]
	v_add_f64 v[20:21], v[2:3], v[20:21]
	v_fma_f64 v[58:59], v[26:27], v[50:51], -v[0:1]
	v_mul_f64 v[26:27], v[26:27], v[52:53]
	ds_read_b128 v[0:3], v32 offset:512
	v_fmac_f64_e32 v[26:27], v[28:29], v[50:51]
	v_add_f64 v[28:29], v[16:17], v[58:59]
	v_add_f64 v[26:27], v[26:27], v[14:15]
	ds_read_b128 v[14:17], v32 offset:768
	s_waitcnt lgkmcnt(1)
	v_mul_f64 v[50:51], v[40:41], v[2:3]
	v_fma_f64 v[50:51], v[38:39], v[0:1], -v[50:51]
	v_add_f64 v[50:51], v[54:55], v[50:51]
	v_mul_f64 v[52:53], v[38:39], v[2:3]
	s_waitcnt lgkmcnt(0)
	v_mul_f64 v[54:55], v[40:41], v[16:17]
	v_fma_f64 v[54:55], v[38:39], v[14:15], -v[54:55]
	v_mul_f64 v[38:39], v[38:39], v[16:17]
	v_fmac_f64_e32 v[38:39], v[40:41], v[14:15]
	v_add_f64 v[34:35], v[38:39], v[34:35]
	v_mul_f64 v[38:39], v[24:25], v[2:3]
	v_mul_f64 v[2:3], v[22:23], v[2:3]
	v_fmac_f64_e32 v[52:53], v[40:41], v[0:1]
	v_fma_f64 v[38:39], v[22:23], v[0:1], -v[38:39]
	v_fmac_f64_e32 v[2:3], v[24:25], v[0:1]
	v_mul_f64 v[0:1], v[24:25], v[16:17]
	v_add_f64 v[38:39], v[18:19], v[38:39]
	v_add_f64 v[40:41], v[2:3], v[20:21]
	v_fma_f64 v[18:19], v[22:23], v[14:15], -v[0:1]
	v_mul_f64 v[16:17], v[22:23], v[16:17]
	ds_read_b128 v[0:3], v32 offset:1024
	v_fmac_f64_e32 v[16:17], v[24:25], v[14:15]
	v_add_f64 v[26:27], v[16:17], v[26:27]
	ds_read_b128 v[14:17], v32 offset:1280
	v_add_f64 v[28:29], v[28:29], v[18:19]
	s_waitcnt lgkmcnt(1)
	v_mul_f64 v[18:19], v[44:45], v[2:3]
	v_fma_f64 v[18:19], v[42:43], v[0:1], -v[18:19]
	v_mul_f64 v[20:21], v[42:43], v[2:3]
	v_add_f64 v[52:53], v[52:53], v[56:57]
	v_fmac_f64_e32 v[20:21], v[44:45], v[0:1]
	v_add_f64 v[50:51], v[50:51], v[18:19]
	s_waitcnt lgkmcnt(0)
	v_mul_f64 v[18:19], v[44:45], v[16:17]
	v_add_f64 v[52:53], v[20:21], v[52:53]
	v_fma_f64 v[22:23], v[42:43], v[14:15], -v[18:19]
	ds_read_b128 v[18:21], v33 offset:2080
	v_mul_f64 v[24:25], v[42:43], v[16:17]
	v_add_f64 v[36:37], v[36:37], v[54:55]
	v_fmac_f64_e32 v[24:25], v[44:45], v[14:15]
	v_add_f64 v[36:37], v[36:37], v[22:23]
	v_add_f64 v[34:35], v[24:25], v[34:35]
	ds_read_b128 v[22:25], v33 offset:2096
	s_waitcnt lgkmcnt(1)
	v_mul_f64 v[42:43], v[20:21], v[2:3]
	v_mul_f64 v[2:3], v[18:19], v[2:3]
	v_fma_f64 v[42:43], v[18:19], v[0:1], -v[42:43]
	v_fmac_f64_e32 v[2:3], v[20:21], v[0:1]
	v_mul_f64 v[0:1], v[20:21], v[16:17]
	v_mul_f64 v[16:17], v[18:19], v[16:17]
	v_fmac_f64_e32 v[16:17], v[20:21], v[14:15]
	v_add_f64 v[38:39], v[38:39], v[42:43]
	v_add_f64 v[40:41], v[2:3], v[40:41]
	v_fma_f64 v[42:43], v[18:19], v[14:15], -v[0:1]
	ds_read_b128 v[0:3], v32 offset:1536
	v_add_f64 v[20:21], v[16:17], v[26:27]
	ds_read_b128 v[14:17], v32 offset:1792
	v_add_f64 v[18:19], v[28:29], v[42:43]
	s_add_u32 s14, s14, 8
	s_waitcnt lgkmcnt(1)
	v_mul_f64 v[26:27], v[48:49], v[2:3]
	v_mul_f64 v[28:29], v[46:47], v[2:3]
	s_waitcnt lgkmcnt(0)
	v_mul_f64 v[42:43], v[48:49], v[16:17]
	v_fma_f64 v[42:43], v[46:47], v[14:15], -v[42:43]
	v_add_f64 v[36:37], v[36:37], v[42:43]
	v_mul_f64 v[42:43], v[24:25], v[2:3]
	v_mul_f64 v[2:3], v[22:23], v[2:3]
	v_fma_f64 v[26:27], v[46:47], v[0:1], -v[26:27]
	v_fmac_f64_e32 v[28:29], v[48:49], v[0:1]
	v_fma_f64 v[42:43], v[22:23], v[0:1], -v[42:43]
	v_fmac_f64_e32 v[2:3], v[24:25], v[0:1]
	v_mul_f64 v[0:1], v[24:25], v[16:17]
	v_mul_f64 v[44:45], v[46:47], v[16:17]
	v_add_f64 v[38:39], v[38:39], v[42:43]
	v_fma_f64 v[42:43], v[22:23], v[14:15], -v[0:1]
	v_mul_f64 v[22:23], v[22:23], v[16:17]
	v_fmac_f64_e32 v[44:45], v[48:49], v[14:15]
	v_add_f64 v[40:41], v[2:3], v[40:41]
	v_fmac_f64_e32 v[22:23], v[24:25], v[14:15]
	ds_read_b128 v[0:3], v33 offset:64
	ds_read_b128 v[14:17], v32 offset:2048
	v_add_f64 v[34:35], v[44:45], v[34:35]
	v_add_f64 v[42:43], v[18:19], v[42:43]
	;; [unrolled: 1-line block ×3, first 2 shown]
	ds_read_b128 v[18:21], v32 offset:2304
	ds_read_b128 v[22:25], v33 offset:80
	s_waitcnt lgkmcnt(2)
	v_mul_f64 v[46:47], v[2:3], v[16:17]
	v_add_f64 v[26:27], v[50:51], v[26:27]
	v_fma_f64 v[46:47], v[0:1], v[14:15], -v[46:47]
	v_mul_f64 v[48:49], v[0:1], v[16:17]
	v_add_f64 v[28:29], v[28:29], v[52:53]
	v_fmac_f64_e32 v[48:49], v[2:3], v[14:15]
	v_add_f64 v[46:47], v[26:27], v[46:47]
	s_waitcnt lgkmcnt(1)
	v_mul_f64 v[26:27], v[2:3], v[20:21]
	v_add_f64 v[48:49], v[48:49], v[28:29]
	v_fma_f64 v[50:51], v[0:1], v[18:19], -v[26:27]
	ds_read_b128 v[26:29], v33 offset:2112
	v_mul_f64 v[0:1], v[0:1], v[20:21]
	v_fmac_f64_e32 v[0:1], v[2:3], v[18:19]
	v_add_f64 v[36:37], v[36:37], v[50:51]
	v_add_f64 v[34:35], v[0:1], v[34:35]
	ds_read_b128 v[0:3], v33 offset:2128
	s_waitcnt lgkmcnt(1)
	v_mul_f64 v[50:51], v[28:29], v[16:17]
	v_mul_f64 v[16:17], v[26:27], v[16:17]
	v_fma_f64 v[50:51], v[26:27], v[14:15], -v[50:51]
	v_fmac_f64_e32 v[16:17], v[28:29], v[14:15]
	v_mul_f64 v[14:15], v[28:29], v[20:21]
	v_add_f64 v[38:39], v[38:39], v[50:51]
	v_add_f64 v[40:41], v[16:17], v[40:41]
	v_fma_f64 v[50:51], v[26:27], v[18:19], -v[14:15]
	v_mul_f64 v[20:21], v[26:27], v[20:21]
	ds_read_b128 v[14:17], v32 offset:2560
	v_fmac_f64_e32 v[20:21], v[28:29], v[18:19]
	v_add_f64 v[28:29], v[20:21], v[44:45]
	ds_read_b128 v[18:21], v32 offset:2816
	v_add_f64 v[26:27], v[42:43], v[50:51]
	s_waitcnt lgkmcnt(1)
	v_mul_f64 v[42:43], v[24:25], v[16:17]
	v_fma_f64 v[42:43], v[22:23], v[14:15], -v[42:43]
	v_add_f64 v[42:43], v[46:47], v[42:43]
	s_waitcnt lgkmcnt(0)
	v_mul_f64 v[46:47], v[24:25], v[20:21]
	v_mul_f64 v[44:45], v[22:23], v[16:17]
	v_fma_f64 v[46:47], v[22:23], v[18:19], -v[46:47]
	v_mul_f64 v[22:23], v[22:23], v[20:21]
	v_fmac_f64_e32 v[22:23], v[24:25], v[18:19]
	v_add_f64 v[34:35], v[22:23], v[34:35]
	v_mul_f64 v[22:23], v[2:3], v[16:17]
	v_mul_f64 v[16:17], v[0:1], v[16:17]
	v_fmac_f64_e32 v[44:45], v[24:25], v[14:15]
	v_fma_f64 v[22:23], v[0:1], v[14:15], -v[22:23]
	v_fmac_f64_e32 v[16:17], v[2:3], v[14:15]
	v_mul_f64 v[14:15], v[2:3], v[20:21]
	v_mul_f64 v[20:21], v[0:1], v[20:21]
	v_add_f64 v[38:39], v[38:39], v[22:23]
	v_add_f64 v[40:41], v[16:17], v[40:41]
	v_fma_f64 v[22:23], v[0:1], v[18:19], -v[14:15]
	v_fmac_f64_e32 v[20:21], v[2:3], v[18:19]
	ds_read_b128 v[0:3], v33 offset:96
	ds_read_b128 v[14:17], v32 offset:3072
	v_add_f64 v[44:45], v[44:45], v[48:49]
	v_add_f64 v[36:37], v[36:37], v[46:47]
	;; [unrolled: 1-line block ×4, first 2 shown]
	ds_read_b128 v[18:21], v32 offset:3328
	ds_read_b128 v[22:25], v33 offset:112
	s_waitcnt lgkmcnt(2)
	v_mul_f64 v[26:27], v[2:3], v[16:17]
	v_fma_f64 v[26:27], v[0:1], v[14:15], -v[26:27]
	v_mul_f64 v[28:29], v[0:1], v[16:17]
	v_fmac_f64_e32 v[28:29], v[2:3], v[14:15]
	v_add_f64 v[42:43], v[42:43], v[26:27]
	s_waitcnt lgkmcnt(1)
	v_mul_f64 v[26:27], v[2:3], v[20:21]
	v_add_f64 v[44:45], v[28:29], v[44:45]
	v_fma_f64 v[50:51], v[0:1], v[18:19], -v[26:27]
	ds_read_b128 v[26:29], v33 offset:2144
	v_mul_f64 v[0:1], v[0:1], v[20:21]
	v_fmac_f64_e32 v[0:1], v[2:3], v[18:19]
	v_add_f64 v[52:53], v[0:1], v[34:35]
	ds_read_b128 v[0:3], v33 offset:2160
	s_waitcnt lgkmcnt(1)
	v_mul_f64 v[34:35], v[28:29], v[16:17]
	v_mul_f64 v[16:17], v[26:27], v[16:17]
	v_fma_f64 v[34:35], v[26:27], v[14:15], -v[34:35]
	v_fmac_f64_e32 v[16:17], v[28:29], v[14:15]
	v_mul_f64 v[14:15], v[28:29], v[20:21]
	v_add_f64 v[38:39], v[38:39], v[34:35]
	v_add_f64 v[40:41], v[16:17], v[40:41]
	v_fma_f64 v[34:35], v[26:27], v[18:19], -v[14:15]
	ds_read_b128 v[14:17], v32 offset:3584
	v_add_f64 v[50:51], v[36:37], v[50:51]
	v_add_f64 v[46:47], v[46:47], v[34:35]
	ds_read_b128 v[34:37], v32 offset:3840
	v_mul_f64 v[20:21], v[26:27], v[20:21]
	v_fmac_f64_e32 v[20:21], v[28:29], v[18:19]
	s_waitcnt lgkmcnt(1)
	v_mul_f64 v[18:19], v[24:25], v[16:17]
	v_fma_f64 v[18:19], v[22:23], v[14:15], -v[18:19]
	v_add_f64 v[48:49], v[20:21], v[48:49]
	v_mul_f64 v[20:21], v[22:23], v[16:17]
	v_add_f64 v[26:27], v[42:43], v[18:19]
	s_waitcnt lgkmcnt(0)
	v_mul_f64 v[18:19], v[24:25], v[36:37]
	v_fmac_f64_e32 v[20:21], v[24:25], v[14:15]
	v_fma_f64 v[18:19], v[22:23], v[34:35], -v[18:19]
	v_add_f64 v[28:29], v[20:21], v[44:45]
	v_mul_f64 v[20:21], v[22:23], v[36:37]
	v_add_f64 v[22:23], v[50:51], v[18:19]
	v_mul_f64 v[18:19], v[2:3], v[16:17]
	v_mul_f64 v[16:17], v[0:1], v[16:17]
	v_fma_f64 v[18:19], v[0:1], v[14:15], -v[18:19]
	v_fmac_f64_e32 v[16:17], v[2:3], v[14:15]
	v_mul_f64 v[14:15], v[2:3], v[36:37]
	v_fma_f64 v[14:15], v[0:1], v[34:35], -v[14:15]
	v_mul_f64 v[0:1], v[0:1], v[36:37]
	v_fmac_f64_e32 v[20:21], v[24:25], v[34:35]
	v_fmac_f64_e32 v[0:1], v[2:3], v[34:35]
	s_addc_u32 s15, s15, 0
	v_add_f64 v[24:25], v[20:21], v[52:53]
	v_add_f64 v[20:21], v[16:17], v[40:41]
	;; [unrolled: 1-line block ×4, first 2 shown]
	v_mov_b64_e32 v[0:1], s[14:15]
	v_cmp_gt_i64_e32 vcc, s[8:9], v[0:1]
	v_add_f64 v[18:19], v[38:39], v[18:19]
	s_barrier
	s_cbranch_vccz .LBB287_14
.LBB287_8:                              ; =>This Inner Loop Header: Depth=1
	v_mov_b64_e32 v[0:1], 0
	v_mov_b64_e32 v[2:3], 0
	s_and_saveexec_b64 s[16:17], s[0:1]
	s_cbranch_execz .LBB287_12
; %bb.9:                                ;   in Loop: Header=BB287_8 Depth=1
	v_add_u32_e32 v12, s14, v6
	v_cmp_gt_u64_e32 vcc, s[8:9], v[12:13]
	v_mov_b64_e32 v[2:3], 0
	v_mov_b64_e32 v[0:1], 0
	s_and_saveexec_b64 s[18:19], vcc
	s_cbranch_execz .LBB287_11
; %bb.10:                               ;   in Loop: Header=BB287_8 Depth=1
	v_lshl_add_u64 v[0:1], v[12:13], 4, v[8:9]
	global_load_dwordx4 v[0:3], v[0:1], off
	s_waitcnt vmcnt(0)
	v_xor_b32_e32 v3, 0x80000000, v3
.LBB287_11:                             ;   in Loop: Header=BB287_8 Depth=1
	s_or_b64 exec, exec, s[18:19]
.LBB287_12:                             ;   in Loop: Header=BB287_8 Depth=1
	s_or_b64 exec, exec, s[16:17]
	v_add_u32_e32 v12, s14, v4
	v_cmp_gt_u64_e32 vcc, s[8:9], v[12:13]
	ds_write_b128 v30, v[0:3]
	s_and_b64 s[18:19], vcc, s[2:3]
	v_mov_b64_e32 v[0:1], 0
	v_mov_b64_e32 v[2:3], 0
	s_and_saveexec_b64 s[16:17], s[18:19]
	s_cbranch_execz .LBB287_7
; %bb.13:                               ;   in Loop: Header=BB287_8 Depth=1
	v_mad_u64_u32 v[0:1], s[18:19], s22, v12, 0
	v_mov_b32_e32 v2, v1
	v_mad_u64_u32 v[2:3], s[18:19], s23, v12, v[2:3]
	v_mov_b32_e32 v1, v2
	v_lshl_add_u64 v[0:1], v[0:1], 4, v[10:11]
	global_load_dwordx4 v[0:3], v[0:1], off
	s_waitcnt vmcnt(0)
	v_xor_b32_e32 v3, 0x80000000, v3
	s_branch .LBB287_7
.LBB287_14:
	s_waitcnt lgkmcnt(0)
	s_mul_i32 s0, s39, s4
	s_mul_hi_u32 s1, s38, s4
	s_add_i32 s1, s1, s0
	s_mul_i32 s0, s38, s4
	s_lshl_b64 s[0:1], s[0:1], 4
	v_add_u32_e32 v10, s34, v7
	s_add_u32 s8, s30, s0
	v_ashrrev_i32_e32 v0, 31, v10
	s_addc_u32 s9, s31, s1
	v_add_u32_e32 v4, s5, v5
	v_cmp_neq_f64_e64 s[0:1], s[26:27], 0
	s_xor_b64 s[4:5], s[6:7], -1
	v_mul_lo_u32 v2, s36, v0
	v_mul_lo_u32 v3, s37, v10
	v_mad_u64_u32 v[0:1], s[2:3], s36, v10, 0
	v_add3_u32 v1, v1, v2, v3
	s_or_b64 s[0:1], s[0:1], s[4:5]
	v_lshl_add_u64 v[8:9], v[0:1], 4, s[8:9]
	v_cmp_le_i32_e32 vcc, v10, v4
	v_cmp_gt_i32_e64 s[2:3], s33, v4
	v_cndmask_b32_e64 v0, 0, 1, s[0:1]
	s_and_b64 s[6:7], vcc, s[2:3]
	v_ashrrev_i32_e32 v5, 31, v4
	v_cmp_ne_u32_e64 s[0:1], 1, v0
	s_and_saveexec_b64 s[4:5], s[6:7]
	s_cbranch_execz .LBB287_18
; %bb.15:
	v_mul_f64 v[0:1], s[12:13], v[28:29]
	v_mul_f64 v[2:3], s[10:11], v[28:29]
	v_fma_f64 v[0:1], s[10:11], v[26:27], -v[0:1]
	v_fmac_f64_e32 v[2:3], s[12:13], v[26:27]
	s_and_b64 vcc, exec, s[0:1]
	v_lshl_add_u64 v[6:7], v[4:5], 4, v[8:9]
	s_cbranch_vccnz .LBB287_17
; %bb.16:
	global_load_dwordx4 v[26:29], v[6:7], off
	s_waitcnt vmcnt(0)
	v_mul_f64 v[12:13], s[28:29], v[28:29]
	v_mul_f64 v[28:29], s[26:27], v[28:29]
	v_fma_f64 v[12:13], s[26:27], v[26:27], -v[12:13]
	v_fmac_f64_e32 v[28:29], s[28:29], v[26:27]
	v_add_f64 v[0:1], v[0:1], v[12:13]
	v_add_f64 v[2:3], v[2:3], v[28:29]
.LBB287_17:
	global_store_dwordx4 v[6:7], v[0:3], off
.LBB287_18:
	s_or_b64 exec, exec, s[4:5]
	v_add_u32_e32 v6, 16, v4
	v_cmp_le_i32_e32 vcc, v10, v6
	v_cmp_gt_i32_e64 s[4:5], s33, v6
	s_and_b64 s[14:15], vcc, s[4:5]
	v_ashrrev_i32_e32 v7, 31, v6
	s_and_saveexec_b64 s[6:7], s[14:15]
	s_cbranch_execz .LBB287_22
; %bb.19:
	v_mul_f64 v[0:1], s[12:13], v[24:25]
	v_mul_f64 v[2:3], s[10:11], v[24:25]
	v_fma_f64 v[0:1], s[10:11], v[22:23], -v[0:1]
	v_fmac_f64_e32 v[2:3], s[12:13], v[22:23]
	s_and_b64 vcc, exec, s[0:1]
	v_lshl_add_u64 v[8:9], v[6:7], 4, v[8:9]
	s_cbranch_vccnz .LBB287_21
; %bb.20:
	global_load_dwordx4 v[22:25], v[8:9], off
	s_waitcnt vmcnt(0)
	v_mul_f64 v[12:13], s[28:29], v[24:25]
	v_mul_f64 v[24:25], s[26:27], v[24:25]
	v_fma_f64 v[12:13], s[26:27], v[22:23], -v[12:13]
	v_fmac_f64_e32 v[24:25], s[28:29], v[22:23]
	v_add_f64 v[0:1], v[0:1], v[12:13]
	v_add_f64 v[2:3], v[2:3], v[24:25]
.LBB287_21:
	global_store_dwordx4 v[8:9], v[0:3], off
.LBB287_22:
	s_or_b64 exec, exec, s[6:7]
	v_add_u32_e32 v10, 16, v10
	v_ashrrev_i32_e32 v0, 31, v10
	v_mul_lo_u32 v2, s36, v0
	v_mul_lo_u32 v3, s37, v10
	v_mad_u64_u32 v[0:1], s[6:7], s36, v10, 0
	v_add3_u32 v1, v1, v2, v3
	v_cmp_le_i32_e32 vcc, v10, v4
	v_lshl_add_u64 v[8:9], v[0:1], 4, s[8:9]
	s_and_b64 s[6:7], vcc, s[2:3]
	s_and_saveexec_b64 s[2:3], s[6:7]
	s_cbranch_execz .LBB287_26
; %bb.23:
	v_mul_f64 v[0:1], s[12:13], v[20:21]
	v_mul_f64 v[2:3], s[10:11], v[20:21]
	v_fma_f64 v[0:1], s[10:11], v[18:19], -v[0:1]
	v_fmac_f64_e32 v[2:3], s[12:13], v[18:19]
	s_and_b64 vcc, exec, s[0:1]
	v_lshl_add_u64 v[4:5], v[4:5], 4, v[8:9]
	s_cbranch_vccnz .LBB287_25
; %bb.24:
	global_load_dwordx4 v[18:21], v[4:5], off
	s_waitcnt vmcnt(0)
	v_mul_f64 v[12:13], s[28:29], v[20:21]
	v_mul_f64 v[20:21], s[26:27], v[20:21]
	v_fma_f64 v[12:13], s[26:27], v[18:19], -v[12:13]
	v_fmac_f64_e32 v[20:21], s[28:29], v[18:19]
	v_add_f64 v[0:1], v[0:1], v[12:13]
	v_add_f64 v[2:3], v[2:3], v[20:21]
.LBB287_25:
	global_store_dwordx4 v[4:5], v[0:3], off
.LBB287_26:
	s_or_b64 exec, exec, s[2:3]
	v_cmp_le_i32_e32 vcc, v10, v6
	s_and_b64 s[2:3], vcc, s[4:5]
	s_and_saveexec_b64 s[4:5], s[2:3]
	s_cbranch_execz .LBB287_30
; %bb.27:
	v_mul_f64 v[0:1], s[12:13], v[14:15]
	v_mul_f64 v[2:3], s[10:11], v[14:15]
	v_fma_f64 v[0:1], s[10:11], v[16:17], -v[0:1]
	v_fmac_f64_e32 v[2:3], s[12:13], v[16:17]
	s_and_b64 vcc, exec, s[0:1]
	v_lshl_add_u64 v[4:5], v[6:7], 4, v[8:9]
	s_cbranch_vccnz .LBB287_29
; %bb.28:
	global_load_dwordx4 v[6:9], v[4:5], off
	s_waitcnt vmcnt(0)
	v_mul_f64 v[10:11], s[28:29], v[8:9]
	v_mul_f64 v[8:9], s[26:27], v[8:9]
	v_fma_f64 v[10:11], s[26:27], v[6:7], -v[10:11]
	v_fmac_f64_e32 v[8:9], s[28:29], v[6:7]
	v_add_f64 v[0:1], v[0:1], v[10:11]
	v_add_f64 v[2:3], v[2:3], v[8:9]
.LBB287_29:
	global_store_dwordx4 v[4:5], v[0:3], off
.LBB287_30:
	s_endpgm
	.section	.rodata,"a",@progbits
	.p2align	6, 0x0
	.amdhsa_kernel _ZL29rocblas_internal_gemmt_kernelIlLi16ELi32ELi8ELc67ELc67ELc76ELb1ELb1E19rocblas_complex_numIdES1_PKS1_PS1_EviT_T9_T10_S5_lS7_S5_lS6_T11_S5_li
		.amdhsa_group_segment_fixed_size 8192
		.amdhsa_private_segment_fixed_size 0
		.amdhsa_kernarg_size 124
		.amdhsa_user_sgpr_count 2
		.amdhsa_user_sgpr_dispatch_ptr 0
		.amdhsa_user_sgpr_queue_ptr 0
		.amdhsa_user_sgpr_kernarg_segment_ptr 1
		.amdhsa_user_sgpr_dispatch_id 0
		.amdhsa_user_sgpr_kernarg_preload_length 0
		.amdhsa_user_sgpr_kernarg_preload_offset 0
		.amdhsa_user_sgpr_private_segment_size 0
		.amdhsa_uses_dynamic_stack 0
		.amdhsa_enable_private_segment 0
		.amdhsa_system_sgpr_workgroup_id_x 1
		.amdhsa_system_sgpr_workgroup_id_y 1
		.amdhsa_system_sgpr_workgroup_id_z 1
		.amdhsa_system_sgpr_workgroup_info 0
		.amdhsa_system_vgpr_workitem_id 1
		.amdhsa_next_free_vgpr 60
		.amdhsa_next_free_sgpr 40
		.amdhsa_accum_offset 60
		.amdhsa_reserve_vcc 1
		.amdhsa_float_round_mode_32 0
		.amdhsa_float_round_mode_16_64 0
		.amdhsa_float_denorm_mode_32 3
		.amdhsa_float_denorm_mode_16_64 3
		.amdhsa_dx10_clamp 1
		.amdhsa_ieee_mode 1
		.amdhsa_fp16_overflow 0
		.amdhsa_tg_split 0
		.amdhsa_exception_fp_ieee_invalid_op 0
		.amdhsa_exception_fp_denorm_src 0
		.amdhsa_exception_fp_ieee_div_zero 0
		.amdhsa_exception_fp_ieee_overflow 0
		.amdhsa_exception_fp_ieee_underflow 0
		.amdhsa_exception_fp_ieee_inexact 0
		.amdhsa_exception_int_div_zero 0
	.end_amdhsa_kernel
	.section	.text._ZL29rocblas_internal_gemmt_kernelIlLi16ELi32ELi8ELc67ELc67ELc76ELb1ELb1E19rocblas_complex_numIdES1_PKS1_PS1_EviT_T9_T10_S5_lS7_S5_lS6_T11_S5_li,"axG",@progbits,_ZL29rocblas_internal_gemmt_kernelIlLi16ELi32ELi8ELc67ELc67ELc76ELb1ELb1E19rocblas_complex_numIdES1_PKS1_PS1_EviT_T9_T10_S5_lS7_S5_lS6_T11_S5_li,comdat
.Lfunc_end287:
	.size	_ZL29rocblas_internal_gemmt_kernelIlLi16ELi32ELi8ELc67ELc67ELc76ELb1ELb1E19rocblas_complex_numIdES1_PKS1_PS1_EviT_T9_T10_S5_lS7_S5_lS6_T11_S5_li, .Lfunc_end287-_ZL29rocblas_internal_gemmt_kernelIlLi16ELi32ELi8ELc67ELc67ELc76ELb1ELb1E19rocblas_complex_numIdES1_PKS1_PS1_EviT_T9_T10_S5_lS7_S5_lS6_T11_S5_li
                                        ; -- End function
	.set _ZL29rocblas_internal_gemmt_kernelIlLi16ELi32ELi8ELc67ELc67ELc76ELb1ELb1E19rocblas_complex_numIdES1_PKS1_PS1_EviT_T9_T10_S5_lS7_S5_lS6_T11_S5_li.num_vgpr, 60
	.set _ZL29rocblas_internal_gemmt_kernelIlLi16ELi32ELi8ELc67ELc67ELc76ELb1ELb1E19rocblas_complex_numIdES1_PKS1_PS1_EviT_T9_T10_S5_lS7_S5_lS6_T11_S5_li.num_agpr, 0
	.set _ZL29rocblas_internal_gemmt_kernelIlLi16ELi32ELi8ELc67ELc67ELc76ELb1ELb1E19rocblas_complex_numIdES1_PKS1_PS1_EviT_T9_T10_S5_lS7_S5_lS6_T11_S5_li.numbered_sgpr, 40
	.set _ZL29rocblas_internal_gemmt_kernelIlLi16ELi32ELi8ELc67ELc67ELc76ELb1ELb1E19rocblas_complex_numIdES1_PKS1_PS1_EviT_T9_T10_S5_lS7_S5_lS6_T11_S5_li.num_named_barrier, 0
	.set _ZL29rocblas_internal_gemmt_kernelIlLi16ELi32ELi8ELc67ELc67ELc76ELb1ELb1E19rocblas_complex_numIdES1_PKS1_PS1_EviT_T9_T10_S5_lS7_S5_lS6_T11_S5_li.private_seg_size, 0
	.set _ZL29rocblas_internal_gemmt_kernelIlLi16ELi32ELi8ELc67ELc67ELc76ELb1ELb1E19rocblas_complex_numIdES1_PKS1_PS1_EviT_T9_T10_S5_lS7_S5_lS6_T11_S5_li.uses_vcc, 1
	.set _ZL29rocblas_internal_gemmt_kernelIlLi16ELi32ELi8ELc67ELc67ELc76ELb1ELb1E19rocblas_complex_numIdES1_PKS1_PS1_EviT_T9_T10_S5_lS7_S5_lS6_T11_S5_li.uses_flat_scratch, 0
	.set _ZL29rocblas_internal_gemmt_kernelIlLi16ELi32ELi8ELc67ELc67ELc76ELb1ELb1E19rocblas_complex_numIdES1_PKS1_PS1_EviT_T9_T10_S5_lS7_S5_lS6_T11_S5_li.has_dyn_sized_stack, 0
	.set _ZL29rocblas_internal_gemmt_kernelIlLi16ELi32ELi8ELc67ELc67ELc76ELb1ELb1E19rocblas_complex_numIdES1_PKS1_PS1_EviT_T9_T10_S5_lS7_S5_lS6_T11_S5_li.has_recursion, 0
	.set _ZL29rocblas_internal_gemmt_kernelIlLi16ELi32ELi8ELc67ELc67ELc76ELb1ELb1E19rocblas_complex_numIdES1_PKS1_PS1_EviT_T9_T10_S5_lS7_S5_lS6_T11_S5_li.has_indirect_call, 0
	.section	.AMDGPU.csdata,"",@progbits
; Kernel info:
; codeLenInByte = 3124
; TotalNumSgprs: 46
; NumVgprs: 60
; NumAgprs: 0
; TotalNumVgprs: 60
; ScratchSize: 0
; MemoryBound: 1
; FloatMode: 240
; IeeeMode: 1
; LDSByteSize: 8192 bytes/workgroup (compile time only)
; SGPRBlocks: 5
; VGPRBlocks: 7
; NumSGPRsForWavesPerEU: 46
; NumVGPRsForWavesPerEU: 60
; AccumOffset: 60
; Occupancy: 8
; WaveLimiterHint : 0
; COMPUTE_PGM_RSRC2:SCRATCH_EN: 0
; COMPUTE_PGM_RSRC2:USER_SGPR: 2
; COMPUTE_PGM_RSRC2:TRAP_HANDLER: 0
; COMPUTE_PGM_RSRC2:TGID_X_EN: 1
; COMPUTE_PGM_RSRC2:TGID_Y_EN: 1
; COMPUTE_PGM_RSRC2:TGID_Z_EN: 1
; COMPUTE_PGM_RSRC2:TIDIG_COMP_CNT: 1
; COMPUTE_PGM_RSRC3_GFX90A:ACCUM_OFFSET: 14
; COMPUTE_PGM_RSRC3_GFX90A:TG_SPLIT: 0
	.section	.text._ZL29rocblas_internal_gemmt_kernelIiLi16ELi32ELi8ELc78ELc78ELc85ELb0ELb0EfPKfPKS1_PKPfEviT_T9_T10_S7_lS9_S7_lS8_T11_S7_li,"axG",@progbits,_ZL29rocblas_internal_gemmt_kernelIiLi16ELi32ELi8ELc78ELc78ELc85ELb0ELb0EfPKfPKS1_PKPfEviT_T9_T10_S7_lS9_S7_lS8_T11_S7_li,comdat
	.globl	_ZL29rocblas_internal_gemmt_kernelIiLi16ELi32ELi8ELc78ELc78ELc85ELb0ELb0EfPKfPKS1_PKPfEviT_T9_T10_S7_lS9_S7_lS8_T11_S7_li ; -- Begin function _ZL29rocblas_internal_gemmt_kernelIiLi16ELi32ELi8ELc78ELc78ELc85ELb0ELb0EfPKfPKS1_PKPfEviT_T9_T10_S7_lS9_S7_lS8_T11_S7_li
	.p2align	8
	.type	_ZL29rocblas_internal_gemmt_kernelIiLi16ELi32ELi8ELc78ELc78ELc85ELb0ELb0EfPKfPKS1_PKPfEviT_T9_T10_S7_lS9_S7_lS8_T11_S7_li,@function
_ZL29rocblas_internal_gemmt_kernelIiLi16ELi32ELi8ELc78ELc78ELc85ELb0ELb0EfPKfPKS1_PKPfEviT_T9_T10_S7_lS9_S7_lS8_T11_S7_li: ; @_ZL29rocblas_internal_gemmt_kernelIiLi16ELi32ELi8ELc78ELc78ELc85ELb0ELb0EfPKfPKS1_PKPfEviT_T9_T10_S7_lS9_S7_lS8_T11_S7_li
; %bb.0:
	s_load_dwordx4 s[8:11], s[0:1], 0x38
	s_load_dwordx4 s[12:15], s[0:1], 0x8
	s_waitcnt lgkmcnt(0)
	s_load_dword s18, s[10:11], 0x0
	s_load_dwordx2 s[16:17], s[0:1], 0x0
	s_load_dword s19, s[12:13], 0x0
	s_waitcnt lgkmcnt(0)
	v_cmp_neq_f32_e64 s[6:7], s18, 1.0
	s_and_b64 vcc, exec, s[6:7]
	s_cbranch_vccnz .LBB288_2
; %bb.1:
	s_cmp_lg_u32 s17, 0
	s_cselect_b64 s[6:7], -1, 0
	v_cmp_neq_f32_e64 s[10:11], s19, 0
	s_and_b64 s[6:7], s[6:7], s[10:11]
.LBB288_2:
	s_andn2_b64 vcc, exec, s[6:7]
	s_cbranch_vccnz .LBB288_26
; %bb.3:
	s_load_dwordx2 s[10:11], s[0:1], 0x48
	s_mov_b32 s5, 0
	s_lshl_b64 s[6:7], s[4:5], 3
	v_mov_b32_e32 v3, 0
	v_and_b32_e32 v8, 0x3ff, v0
	s_waitcnt lgkmcnt(0)
	s_add_u32 s10, s10, s6
	s_addc_u32 s11, s11, s7
	s_load_dwordx2 s[10:11], s[10:11], 0x0
	s_lshl_b32 s4, s2, 5
	s_lshl_b32 s20, s3, 5
	s_cmp_lt_i32 s17, 1
	v_cmp_eq_f32_e64 s[2:3], s19, 0
	s_cselect_b64 s[12:13], -1, 0
	s_or_b64 s[2:3], s[2:3], s[12:13]
	v_bfe_u32 v9, v0, 10, 10
	s_and_b64 vcc, exec, s[2:3]
	v_mov_b32_e32 v2, v3
	v_mov_b32_e32 v1, v3
	;; [unrolled: 1-line block ×3, first 2 shown]
	s_cbranch_vccnz .LBB288_10
; %bb.4:
	s_load_dword s12, s[0:1], 0x18
	s_load_dwordx4 s[24:27], s[0:1], 0x20
	s_load_dword s21, s[0:1], 0x30
	v_lshl_add_u32 v0, v9, 4, v8
	v_lshrrev_b32_e32 v11, 5, v0
	v_and_b32_e32 v4, 31, v0
	s_waitcnt lgkmcnt(0)
	s_ashr_i32 s13, s12, 31
	s_add_u32 s2, s26, s6
	s_addc_u32 s3, s27, s7
	s_load_dwordx2 s[22:23], s[2:3], 0x0
	s_add_u32 s2, s14, s6
	s_addc_u32 s3, s15, s7
	s_load_dwordx2 s[6:7], s[2:3], 0x0
	v_lshrrev_b32_e32 v1, 3, v0
	v_or_b32_e32 v0, s4, v4
	v_mad_i64_i32 v[2:3], s[14:15], v11, s12, 0
	v_cmp_gt_i32_e32 vcc, s16, v0
	v_lshlrev_b32_e32 v0, 2, v4
	s_lshl_b64 s[14:15], s[24:25], 2
	v_add_u32_e32 v4, s4, v4
	v_and_b32_e32 v10, 7, v8
	v_lshl_add_u64 v[2:3], v[2:3], 2, s[14:15]
	v_ashrrev_i32_e32 v5, 31, v4
	v_add_u32_e32 v6, s20, v1
	v_lshl_or_b32 v12, v11, 7, v0
	v_lshlrev_b32_e32 v0, 2, v10
	v_lshl_add_u64 v[2:3], v[4:5], 2, v[2:3]
	v_lshl_or_b32 v1, v1, 5, v0
	s_waitcnt lgkmcnt(0)
	v_lshl_add_u64 v[4:5], s[6:7], 0, v[2:3]
	v_mad_i64_i32 v[2:3], s[6:7], s21, v6, 0
	v_add_u32_e32 v13, 0x400, v1
	v_mov_b32_e32 v1, 0x400
	s_lshl_b64 s[6:7], s[8:9], 2
	v_lshl_add_u32 v15, v9, 5, v1
	v_lshl_add_u64 v[2:3], v[2:3], 2, s[6:7]
	v_mov_b32_e32 v1, 0
	v_lshl_add_u64 v[2:3], v[2:3], 0, v[0:1]
	v_cmp_gt_i32_e64 s[2:3], s16, v6
	v_lshlrev_b32_e32 v14, 2, v8
	s_lshl_b64 s[12:13], s[12:13], 5
	v_lshl_add_u64 v[6:7], s[22:23], 0, v[2:3]
	v_mov_b32_e32 v0, v1
	v_mov_b32_e32 v2, v1
	;; [unrolled: 1-line block ×3, first 2 shown]
	s_branch .LBB288_6
.LBB288_5:                              ;   in Loop: Header=BB288_6 Depth=1
	s_or_b64 exec, exec, s[6:7]
	s_waitcnt vmcnt(0) lgkmcnt(0)
	ds_write_b32 v13, v16
	s_waitcnt lgkmcnt(0)
	s_barrier
	ds_read_b128 v[16:19], v15
	ds_read_b128 v[20:23], v15 offset:16
	ds_read2_b32 v[32:33], v14 offset1:16
	ds_read2_b32 v[34:35], v14 offset0:32 offset1:48
	ds_read2_b32 v[36:37], v14 offset0:64 offset1:80
	;; [unrolled: 1-line block ×4, first 2 shown]
	ds_read_b128 v[24:27], v15 offset:512
	ds_read_b128 v[28:31], v15 offset:528
	ds_read2_b32 v[42:43], v14 offset0:160 offset1:176
	ds_read2_b32 v[44:45], v14 offset0:192 offset1:208
	;; [unrolled: 1-line block ×3, first 2 shown]
	s_waitcnt lgkmcnt(9)
	v_pk_fma_f32 v[2:3], v[32:33], v[16:17], v[2:3] op_sel_hi:[1,0,1]
	s_waitcnt lgkmcnt(4)
	v_pk_fma_f32 v[0:1], v[32:33], v[24:25], v[0:1] op_sel_hi:[1,0,1]
	v_pk_fma_f32 v[2:3], v[34:35], v[16:17], v[2:3] op_sel:[0,1,0]
	v_mov_b32_e32 v16, v19
	v_pk_fma_f32 v[2:3], v[36:37], v[18:19], v[2:3] op_sel_hi:[1,0,1]
	v_pk_fma_f32 v[0:1], v[34:35], v[24:25], v[0:1] op_sel:[0,1,0]
	v_pk_fma_f32 v[2:3], v[38:39], v[16:17], v[2:3] op_sel_hi:[1,0,1]
	v_mov_b32_e32 v16, v23
	v_pk_fma_f32 v[2:3], v[40:41], v[20:21], v[2:3] op_sel_hi:[1,0,1]
	v_pk_fma_f32 v[0:1], v[36:37], v[26:27], v[0:1] op_sel_hi:[1,0,1]
	s_waitcnt lgkmcnt(2)
	v_pk_fma_f32 v[2:3], v[42:43], v[20:21], v[2:3] op_sel:[0,1,0]
	s_add_i32 s5, s5, 8
	s_waitcnt lgkmcnt(1)
	v_pk_fma_f32 v[2:3], v[44:45], v[22:23], v[2:3] op_sel_hi:[1,0,1]
	v_lshl_add_u64 v[4:5], v[4:5], 0, s[12:13]
	s_waitcnt lgkmcnt(0)
	v_pk_fma_f32 v[2:3], v[46:47], v[16:17], v[2:3] op_sel_hi:[1,0,1]
	v_mov_b32_e32 v16, v27
	v_pk_fma_f32 v[0:1], v[38:39], v[16:17], v[0:1] op_sel_hi:[1,0,1]
	v_mov_b32_e32 v16, v31
	v_pk_fma_f32 v[0:1], v[40:41], v[28:29], v[0:1] op_sel_hi:[1,0,1]
	s_cmp_lt_i32 s5, s17
	v_pk_fma_f32 v[0:1], v[42:43], v[28:29], v[0:1] op_sel:[0,1,0]
	v_lshl_add_u64 v[6:7], v[6:7], 0, 32
	v_pk_fma_f32 v[0:1], v[44:45], v[30:31], v[0:1] op_sel_hi:[1,0,1]
	s_nop 0
	v_pk_fma_f32 v[0:1], v[46:47], v[16:17], v[0:1] op_sel_hi:[1,0,1]
	s_barrier
	s_cbranch_scc0 .LBB288_10
.LBB288_6:                              ; =>This Inner Loop Header: Depth=1
	v_add_u32_e32 v16, s5, v11
	v_cmp_gt_i32_e64 s[6:7], s17, v16
	s_and_b64 s[8:9], vcc, s[6:7]
	v_mov_b32_e32 v16, 0
	s_and_saveexec_b64 s[6:7], s[8:9]
	s_cbranch_execz .LBB288_8
; %bb.7:                                ;   in Loop: Header=BB288_6 Depth=1
	flat_load_dword v16, v[4:5]
.LBB288_8:                              ;   in Loop: Header=BB288_6 Depth=1
	s_or_b64 exec, exec, s[6:7]
	s_waitcnt vmcnt(0) lgkmcnt(0)
	ds_write_b32 v12, v16
	v_add_u32_e32 v16, s5, v10
	v_cmp_gt_i32_e64 s[6:7], s17, v16
	s_and_b64 s[8:9], s[6:7], s[2:3]
	v_mov_b32_e32 v16, 0
	s_and_saveexec_b64 s[6:7], s[8:9]
	s_cbranch_execz .LBB288_5
; %bb.9:                                ;   in Loop: Header=BB288_6 Depth=1
	flat_load_dword v16, v[6:7]
	s_branch .LBB288_5
.LBB288_10:
	s_load_dwordx2 s[6:7], s[0:1], 0x58
	s_load_dword s8, s[0:1], 0x50
	v_add_u32_e32 v4, s4, v8
	v_add_u32_e32 v10, s20, v9
	v_cmp_gt_i32_e64 s[2:3], s16, v10
	s_waitcnt lgkmcnt(0)
	s_lshl_b64 s[0:1], s[6:7], 2
	s_add_u32 s4, s10, s0
	s_addc_u32 s5, s11, s1
	v_mad_i64_i32 v[6:7], s[0:1], v10, s8, 0
	v_cmp_neq_f32_e64 s[0:1], s18, 0
	v_lshl_add_u64 v[8:9], v[6:7], 2, s[4:5]
	v_cmp_le_i32_e32 vcc, v4, v10
	v_cndmask_b32_e64 v6, 0, 1, s[0:1]
	s_and_b64 s[10:11], s[2:3], vcc
	v_ashrrev_i32_e32 v5, 31, v4
	v_cmp_ne_u32_e64 s[0:1], 1, v6
	s_and_saveexec_b64 s[6:7], s[10:11]
	s_cbranch_execz .LBB288_14
; %bb.11:
	v_mul_f32_e32 v2, s19, v2
	s_and_b64 vcc, exec, s[0:1]
	v_lshl_add_u64 v[6:7], v[4:5], 2, v[8:9]
	s_cbranch_vccnz .LBB288_13
; %bb.12:
	flat_load_dword v11, v[6:7]
	s_waitcnt vmcnt(0) lgkmcnt(0)
	v_fmac_f32_e32 v2, s18, v11
.LBB288_13:
	flat_store_dword v[6:7], v2
.LBB288_14:
	s_or_b64 exec, exec, s[6:7]
	v_add_u32_e32 v6, 16, v4
	v_cmp_le_i32_e32 vcc, v6, v10
	s_and_b64 s[6:7], s[2:3], vcc
	v_ashrrev_i32_e32 v7, 31, v6
	s_and_saveexec_b64 s[2:3], s[6:7]
	s_cbranch_execz .LBB288_18
; %bb.15:
	v_mul_f32_e32 v11, s19, v3
	s_and_b64 vcc, exec, s[0:1]
	v_lshl_add_u64 v[2:3], v[6:7], 2, v[8:9]
	s_cbranch_vccnz .LBB288_17
; %bb.16:
	flat_load_dword v8, v[2:3]
	s_waitcnt vmcnt(0) lgkmcnt(0)
	v_fmac_f32_e32 v11, s18, v8
.LBB288_17:
	flat_store_dword v[2:3], v11
.LBB288_18:
	s_or_b64 exec, exec, s[2:3]
	v_add_u32_e32 v8, 16, v10
	v_cmp_gt_i32_e64 s[2:3], s16, v8
	v_mad_i64_i32 v[2:3], s[6:7], v8, s8, 0
	v_cmp_le_i32_e32 vcc, v4, v8
	v_lshl_add_u64 v[2:3], v[2:3], 2, s[4:5]
	s_and_b64 s[6:7], s[2:3], vcc
	s_and_saveexec_b64 s[4:5], s[6:7]
	s_cbranch_execz .LBB288_22
; %bb.19:
	v_mul_f32_e32 v0, s19, v0
	s_and_b64 vcc, exec, s[0:1]
	v_lshl_add_u64 v[4:5], v[4:5], 2, v[2:3]
	s_cbranch_vccnz .LBB288_21
; %bb.20:
	flat_load_dword v9, v[4:5]
	s_waitcnt vmcnt(0) lgkmcnt(0)
	v_fmac_f32_e32 v0, s18, v9
.LBB288_21:
	flat_store_dword v[4:5], v0
.LBB288_22:
	s_or_b64 exec, exec, s[4:5]
	v_cmp_le_i32_e32 vcc, v6, v8
	s_and_b64 s[2:3], s[2:3], vcc
	s_and_saveexec_b64 s[4:5], s[2:3]
	s_cbranch_execz .LBB288_26
; %bb.23:
	v_mul_f32_e32 v4, s19, v1
	s_and_b64 vcc, exec, s[0:1]
	v_lshl_add_u64 v[0:1], v[6:7], 2, v[2:3]
	s_cbranch_vccnz .LBB288_25
; %bb.24:
	flat_load_dword v2, v[0:1]
	s_waitcnt vmcnt(0) lgkmcnt(0)
	v_fmac_f32_e32 v4, s18, v2
.LBB288_25:
	flat_store_dword v[0:1], v4
.LBB288_26:
	s_endpgm
	.section	.rodata,"a",@progbits
	.p2align	6, 0x0
	.amdhsa_kernel _ZL29rocblas_internal_gemmt_kernelIiLi16ELi32ELi8ELc78ELc78ELc85ELb0ELb0EfPKfPKS1_PKPfEviT_T9_T10_S7_lS9_S7_lS8_T11_S7_li
		.amdhsa_group_segment_fixed_size 2048
		.amdhsa_private_segment_fixed_size 0
		.amdhsa_kernarg_size 100
		.amdhsa_user_sgpr_count 2
		.amdhsa_user_sgpr_dispatch_ptr 0
		.amdhsa_user_sgpr_queue_ptr 0
		.amdhsa_user_sgpr_kernarg_segment_ptr 1
		.amdhsa_user_sgpr_dispatch_id 0
		.amdhsa_user_sgpr_kernarg_preload_length 0
		.amdhsa_user_sgpr_kernarg_preload_offset 0
		.amdhsa_user_sgpr_private_segment_size 0
		.amdhsa_uses_dynamic_stack 0
		.amdhsa_enable_private_segment 0
		.amdhsa_system_sgpr_workgroup_id_x 1
		.amdhsa_system_sgpr_workgroup_id_y 1
		.amdhsa_system_sgpr_workgroup_id_z 1
		.amdhsa_system_sgpr_workgroup_info 0
		.amdhsa_system_vgpr_workitem_id 1
		.amdhsa_next_free_vgpr 48
		.amdhsa_next_free_sgpr 28
		.amdhsa_accum_offset 48
		.amdhsa_reserve_vcc 1
		.amdhsa_float_round_mode_32 0
		.amdhsa_float_round_mode_16_64 0
		.amdhsa_float_denorm_mode_32 3
		.amdhsa_float_denorm_mode_16_64 3
		.amdhsa_dx10_clamp 1
		.amdhsa_ieee_mode 1
		.amdhsa_fp16_overflow 0
		.amdhsa_tg_split 0
		.amdhsa_exception_fp_ieee_invalid_op 0
		.amdhsa_exception_fp_denorm_src 0
		.amdhsa_exception_fp_ieee_div_zero 0
		.amdhsa_exception_fp_ieee_overflow 0
		.amdhsa_exception_fp_ieee_underflow 0
		.amdhsa_exception_fp_ieee_inexact 0
		.amdhsa_exception_int_div_zero 0
	.end_amdhsa_kernel
	.section	.text._ZL29rocblas_internal_gemmt_kernelIiLi16ELi32ELi8ELc78ELc78ELc85ELb0ELb0EfPKfPKS1_PKPfEviT_T9_T10_S7_lS9_S7_lS8_T11_S7_li,"axG",@progbits,_ZL29rocblas_internal_gemmt_kernelIiLi16ELi32ELi8ELc78ELc78ELc85ELb0ELb0EfPKfPKS1_PKPfEviT_T9_T10_S7_lS9_S7_lS8_T11_S7_li,comdat
.Lfunc_end288:
	.size	_ZL29rocblas_internal_gemmt_kernelIiLi16ELi32ELi8ELc78ELc78ELc85ELb0ELb0EfPKfPKS1_PKPfEviT_T9_T10_S7_lS9_S7_lS8_T11_S7_li, .Lfunc_end288-_ZL29rocblas_internal_gemmt_kernelIiLi16ELi32ELi8ELc78ELc78ELc85ELb0ELb0EfPKfPKS1_PKPfEviT_T9_T10_S7_lS9_S7_lS8_T11_S7_li
                                        ; -- End function
	.set _ZL29rocblas_internal_gemmt_kernelIiLi16ELi32ELi8ELc78ELc78ELc85ELb0ELb0EfPKfPKS1_PKPfEviT_T9_T10_S7_lS9_S7_lS8_T11_S7_li.num_vgpr, 48
	.set _ZL29rocblas_internal_gemmt_kernelIiLi16ELi32ELi8ELc78ELc78ELc85ELb0ELb0EfPKfPKS1_PKPfEviT_T9_T10_S7_lS9_S7_lS8_T11_S7_li.num_agpr, 0
	.set _ZL29rocblas_internal_gemmt_kernelIiLi16ELi32ELi8ELc78ELc78ELc85ELb0ELb0EfPKfPKS1_PKPfEviT_T9_T10_S7_lS9_S7_lS8_T11_S7_li.numbered_sgpr, 28
	.set _ZL29rocblas_internal_gemmt_kernelIiLi16ELi32ELi8ELc78ELc78ELc85ELb0ELb0EfPKfPKS1_PKPfEviT_T9_T10_S7_lS9_S7_lS8_T11_S7_li.num_named_barrier, 0
	.set _ZL29rocblas_internal_gemmt_kernelIiLi16ELi32ELi8ELc78ELc78ELc85ELb0ELb0EfPKfPKS1_PKPfEviT_T9_T10_S7_lS9_S7_lS8_T11_S7_li.private_seg_size, 0
	.set _ZL29rocblas_internal_gemmt_kernelIiLi16ELi32ELi8ELc78ELc78ELc85ELb0ELb0EfPKfPKS1_PKPfEviT_T9_T10_S7_lS9_S7_lS8_T11_S7_li.uses_vcc, 1
	.set _ZL29rocblas_internal_gemmt_kernelIiLi16ELi32ELi8ELc78ELc78ELc85ELb0ELb0EfPKfPKS1_PKPfEviT_T9_T10_S7_lS9_S7_lS8_T11_S7_li.uses_flat_scratch, 0
	.set _ZL29rocblas_internal_gemmt_kernelIiLi16ELi32ELi8ELc78ELc78ELc85ELb0ELb0EfPKfPKS1_PKPfEviT_T9_T10_S7_lS9_S7_lS8_T11_S7_li.has_dyn_sized_stack, 0
	.set _ZL29rocblas_internal_gemmt_kernelIiLi16ELi32ELi8ELc78ELc78ELc85ELb0ELb0EfPKfPKS1_PKPfEviT_T9_T10_S7_lS9_S7_lS8_T11_S7_li.has_recursion, 0
	.set _ZL29rocblas_internal_gemmt_kernelIiLi16ELi32ELi8ELc78ELc78ELc85ELb0ELb0EfPKfPKS1_PKPfEviT_T9_T10_S7_lS9_S7_lS8_T11_S7_li.has_indirect_call, 0
	.section	.AMDGPU.csdata,"",@progbits
; Kernel info:
; codeLenInByte = 1260
; TotalNumSgprs: 34
; NumVgprs: 48
; NumAgprs: 0
; TotalNumVgprs: 48
; ScratchSize: 0
; MemoryBound: 0
; FloatMode: 240
; IeeeMode: 1
; LDSByteSize: 2048 bytes/workgroup (compile time only)
; SGPRBlocks: 4
; VGPRBlocks: 5
; NumSGPRsForWavesPerEU: 34
; NumVGPRsForWavesPerEU: 48
; AccumOffset: 48
; Occupancy: 8
; WaveLimiterHint : 1
; COMPUTE_PGM_RSRC2:SCRATCH_EN: 0
; COMPUTE_PGM_RSRC2:USER_SGPR: 2
; COMPUTE_PGM_RSRC2:TRAP_HANDLER: 0
; COMPUTE_PGM_RSRC2:TGID_X_EN: 1
; COMPUTE_PGM_RSRC2:TGID_Y_EN: 1
; COMPUTE_PGM_RSRC2:TGID_Z_EN: 1
; COMPUTE_PGM_RSRC2:TIDIG_COMP_CNT: 1
; COMPUTE_PGM_RSRC3_GFX90A:ACCUM_OFFSET: 11
; COMPUTE_PGM_RSRC3_GFX90A:TG_SPLIT: 0
	.section	.text._ZL29rocblas_internal_gemmt_kernelIiLi16ELi32ELi8ELc78ELc84ELc85ELb0ELb0EfPKfPKS1_PKPfEviT_T9_T10_S7_lS9_S7_lS8_T11_S7_li,"axG",@progbits,_ZL29rocblas_internal_gemmt_kernelIiLi16ELi32ELi8ELc78ELc84ELc85ELb0ELb0EfPKfPKS1_PKPfEviT_T9_T10_S7_lS9_S7_lS8_T11_S7_li,comdat
	.globl	_ZL29rocblas_internal_gemmt_kernelIiLi16ELi32ELi8ELc78ELc84ELc85ELb0ELb0EfPKfPKS1_PKPfEviT_T9_T10_S7_lS9_S7_lS8_T11_S7_li ; -- Begin function _ZL29rocblas_internal_gemmt_kernelIiLi16ELi32ELi8ELc78ELc84ELc85ELb0ELb0EfPKfPKS1_PKPfEviT_T9_T10_S7_lS9_S7_lS8_T11_S7_li
	.p2align	8
	.type	_ZL29rocblas_internal_gemmt_kernelIiLi16ELi32ELi8ELc78ELc84ELc85ELb0ELb0EfPKfPKS1_PKPfEviT_T9_T10_S7_lS9_S7_lS8_T11_S7_li,@function
_ZL29rocblas_internal_gemmt_kernelIiLi16ELi32ELi8ELc78ELc84ELc85ELb0ELb0EfPKfPKS1_PKPfEviT_T9_T10_S7_lS9_S7_lS8_T11_S7_li: ; @_ZL29rocblas_internal_gemmt_kernelIiLi16ELi32ELi8ELc78ELc84ELc85ELb0ELb0EfPKfPKS1_PKPfEviT_T9_T10_S7_lS9_S7_lS8_T11_S7_li
; %bb.0:
	s_load_dwordx4 s[8:11], s[0:1], 0x38
	s_load_dwordx4 s[12:15], s[0:1], 0x8
	s_waitcnt lgkmcnt(0)
	s_load_dword s18, s[10:11], 0x0
	s_load_dwordx2 s[16:17], s[0:1], 0x0
	s_load_dword s19, s[12:13], 0x0
	s_waitcnt lgkmcnt(0)
	v_cmp_neq_f32_e64 s[6:7], s18, 1.0
	s_and_b64 vcc, exec, s[6:7]
	s_cbranch_vccnz .LBB289_2
; %bb.1:
	s_cmp_lg_u32 s17, 0
	s_cselect_b64 s[6:7], -1, 0
	v_cmp_neq_f32_e64 s[10:11], s19, 0
	s_and_b64 s[6:7], s[6:7], s[10:11]
.LBB289_2:
	s_andn2_b64 vcc, exec, s[6:7]
	s_cbranch_vccnz .LBB289_26
; %bb.3:
	s_load_dwordx2 s[10:11], s[0:1], 0x48
	s_mov_b32 s5, 0
	s_lshl_b64 s[6:7], s[4:5], 3
	v_mov_b32_e32 v3, 0
	v_and_b32_e32 v8, 0x3ff, v0
	s_waitcnt lgkmcnt(0)
	s_add_u32 s10, s10, s6
	s_addc_u32 s11, s11, s7
	s_load_dwordx2 s[10:11], s[10:11], 0x0
	s_lshl_b32 s4, s2, 5
	s_lshl_b32 s20, s3, 5
	s_cmp_lt_i32 s17, 1
	v_cmp_eq_f32_e64 s[2:3], s19, 0
	s_cselect_b64 s[12:13], -1, 0
	s_or_b64 s[2:3], s[2:3], s[12:13]
	v_bfe_u32 v9, v0, 10, 10
	s_and_b64 vcc, exec, s[2:3]
	v_mov_b32_e32 v2, v3
	v_mov_b32_e32 v1, v3
	;; [unrolled: 1-line block ×3, first 2 shown]
	s_cbranch_vccnz .LBB289_10
; %bb.4:
	s_load_dword s12, s[0:1], 0x18
	s_load_dwordx4 s[24:27], s[0:1], 0x20
	s_load_dword s22, s[0:1], 0x30
	v_lshl_add_u32 v1, v9, 4, v8
	v_and_b32_e32 v4, 31, v1
	s_waitcnt lgkmcnt(0)
	s_ashr_i32 s13, s12, 31
	v_lshrrev_b32_e32 v11, 5, v1
	s_ashr_i32 s23, s22, 31
	s_add_u32 s2, s26, s6
	v_lshrrev_b32_e32 v2, 3, v1
	v_or_b32_e32 v1, s4, v4
	s_addc_u32 s3, s27, s7
	v_and_b32_e32 v10, 7, v8
	s_load_dwordx2 s[26:27], s[2:3], 0x0
	s_add_u32 s2, s14, s6
	v_cmp_gt_i32_e32 vcc, s16, v1
	v_lshlrev_b32_e32 v1, 2, v4
	s_addc_u32 s3, s15, s7
	v_lshl_or_b32 v12, v11, 7, v1
	v_lshlrev_b32_e32 v1, 2, v10
	v_add_u32_e32 v0, s20, v2
	s_load_dwordx2 s[6:7], s[2:3], 0x0
	v_lshl_or_b32 v1, v2, 5, v1
	v_mov_b32_e32 v2, 0x400
	v_lshl_add_u32 v15, v9, 5, v2
	v_mad_i64_i32 v[2:3], s[14:15], v11, s12, 0
	s_lshl_b64 s[14:15], s[24:25], 2
	v_add_u32_e32 v4, s4, v4
	v_lshl_add_u64 v[2:3], v[2:3], 2, s[14:15]
	v_ashrrev_i32_e32 v5, 31, v4
	v_lshl_add_u64 v[2:3], v[4:5], 2, v[2:3]
	s_waitcnt lgkmcnt(0)
	v_lshl_add_u64 v[4:5], s[6:7], 0, v[2:3]
	v_mad_i64_i32 v[2:3], s[6:7], s22, v10, 0
	s_lshl_b64 s[6:7], s[8:9], 2
	v_add_u32_e32 v13, 0x400, v1
	v_ashrrev_i32_e32 v1, 31, v0
	v_lshl_add_u64 v[2:3], v[2:3], 2, s[6:7]
	v_cmp_gt_i32_e64 s[2:3], s16, v0
	v_lshl_add_u64 v[0:1], v[0:1], 2, v[2:3]
	v_lshl_add_u64 v[6:7], s[26:27], 0, v[0:1]
	v_mov_b32_e32 v0, 0
	v_lshlrev_b32_e32 v14, 2, v8
	s_lshl_b64 s[12:13], s[12:13], 5
	s_lshl_b64 s[8:9], s[22:23], 5
	v_mov_b32_e32 v1, v0
	v_mov_b32_e32 v2, v0
	;; [unrolled: 1-line block ×3, first 2 shown]
	s_branch .LBB289_6
.LBB289_5:                              ;   in Loop: Header=BB289_6 Depth=1
	s_or_b64 exec, exec, s[6:7]
	s_waitcnt vmcnt(0) lgkmcnt(0)
	ds_write_b32 v13, v16
	s_waitcnt lgkmcnt(0)
	s_barrier
	ds_read_b128 v[16:19], v15
	ds_read_b128 v[20:23], v15 offset:16
	ds_read2_b32 v[32:33], v14 offset1:16
	ds_read2_b32 v[34:35], v14 offset0:32 offset1:48
	ds_read2_b32 v[36:37], v14 offset0:64 offset1:80
	ds_read2_b32 v[38:39], v14 offset0:96 offset1:112
	ds_read2_b32 v[40:41], v14 offset0:128 offset1:144
	ds_read_b128 v[24:27], v15 offset:512
	ds_read_b128 v[28:31], v15 offset:528
	ds_read2_b32 v[42:43], v14 offset0:160 offset1:176
	ds_read2_b32 v[44:45], v14 offset0:192 offset1:208
	;; [unrolled: 1-line block ×3, first 2 shown]
	s_waitcnt lgkmcnt(9)
	v_pk_fma_f32 v[2:3], v[32:33], v[16:17], v[2:3] op_sel_hi:[1,0,1]
	s_waitcnt lgkmcnt(4)
	v_pk_fma_f32 v[0:1], v[32:33], v[24:25], v[0:1] op_sel_hi:[1,0,1]
	v_pk_fma_f32 v[2:3], v[34:35], v[16:17], v[2:3] op_sel:[0,1,0]
	v_mov_b32_e32 v16, v19
	v_pk_fma_f32 v[2:3], v[36:37], v[18:19], v[2:3] op_sel_hi:[1,0,1]
	v_pk_fma_f32 v[0:1], v[34:35], v[24:25], v[0:1] op_sel:[0,1,0]
	v_pk_fma_f32 v[2:3], v[38:39], v[16:17], v[2:3] op_sel_hi:[1,0,1]
	v_mov_b32_e32 v16, v23
	v_pk_fma_f32 v[2:3], v[40:41], v[20:21], v[2:3] op_sel_hi:[1,0,1]
	v_pk_fma_f32 v[0:1], v[36:37], v[26:27], v[0:1] op_sel_hi:[1,0,1]
	s_waitcnt lgkmcnt(2)
	v_pk_fma_f32 v[2:3], v[42:43], v[20:21], v[2:3] op_sel:[0,1,0]
	s_add_i32 s5, s5, 8
	s_waitcnt lgkmcnt(1)
	v_pk_fma_f32 v[2:3], v[44:45], v[22:23], v[2:3] op_sel_hi:[1,0,1]
	v_lshl_add_u64 v[4:5], v[4:5], 0, s[12:13]
	s_waitcnt lgkmcnt(0)
	v_pk_fma_f32 v[2:3], v[46:47], v[16:17], v[2:3] op_sel_hi:[1,0,1]
	v_mov_b32_e32 v16, v27
	v_pk_fma_f32 v[0:1], v[38:39], v[16:17], v[0:1] op_sel_hi:[1,0,1]
	v_mov_b32_e32 v16, v31
	v_pk_fma_f32 v[0:1], v[40:41], v[28:29], v[0:1] op_sel_hi:[1,0,1]
	s_cmp_lt_i32 s5, s17
	v_pk_fma_f32 v[0:1], v[42:43], v[28:29], v[0:1] op_sel:[0,1,0]
	v_lshl_add_u64 v[6:7], v[6:7], 0, s[8:9]
	v_pk_fma_f32 v[0:1], v[44:45], v[30:31], v[0:1] op_sel_hi:[1,0,1]
	s_nop 0
	v_pk_fma_f32 v[0:1], v[46:47], v[16:17], v[0:1] op_sel_hi:[1,0,1]
	s_barrier
	s_cbranch_scc0 .LBB289_10
.LBB289_6:                              ; =>This Inner Loop Header: Depth=1
	v_add_u32_e32 v16, s5, v11
	v_cmp_gt_i32_e64 s[6:7], s17, v16
	s_and_b64 s[14:15], vcc, s[6:7]
	v_mov_b32_e32 v16, 0
	s_and_saveexec_b64 s[6:7], s[14:15]
	s_cbranch_execz .LBB289_8
; %bb.7:                                ;   in Loop: Header=BB289_6 Depth=1
	flat_load_dword v16, v[4:5]
.LBB289_8:                              ;   in Loop: Header=BB289_6 Depth=1
	s_or_b64 exec, exec, s[6:7]
	s_waitcnt vmcnt(0) lgkmcnt(0)
	ds_write_b32 v12, v16
	v_add_u32_e32 v16, s5, v10
	v_cmp_gt_i32_e64 s[6:7], s17, v16
	s_and_b64 s[14:15], s[6:7], s[2:3]
	v_mov_b32_e32 v16, 0
	s_and_saveexec_b64 s[6:7], s[14:15]
	s_cbranch_execz .LBB289_5
; %bb.9:                                ;   in Loop: Header=BB289_6 Depth=1
	flat_load_dword v16, v[6:7]
	s_branch .LBB289_5
.LBB289_10:
	s_load_dwordx2 s[6:7], s[0:1], 0x58
	s_load_dword s8, s[0:1], 0x50
	v_add_u32_e32 v4, s4, v8
	v_add_u32_e32 v10, s20, v9
	v_cmp_gt_i32_e64 s[2:3], s16, v10
	s_waitcnt lgkmcnt(0)
	s_lshl_b64 s[0:1], s[6:7], 2
	s_add_u32 s4, s10, s0
	s_addc_u32 s5, s11, s1
	v_mad_i64_i32 v[6:7], s[0:1], v10, s8, 0
	v_cmp_neq_f32_e64 s[0:1], s18, 0
	v_lshl_add_u64 v[8:9], v[6:7], 2, s[4:5]
	v_cmp_le_i32_e32 vcc, v4, v10
	v_cndmask_b32_e64 v6, 0, 1, s[0:1]
	s_and_b64 s[10:11], s[2:3], vcc
	v_ashrrev_i32_e32 v5, 31, v4
	v_cmp_ne_u32_e64 s[0:1], 1, v6
	s_and_saveexec_b64 s[6:7], s[10:11]
	s_cbranch_execz .LBB289_14
; %bb.11:
	v_mul_f32_e32 v2, s19, v2
	s_and_b64 vcc, exec, s[0:1]
	v_lshl_add_u64 v[6:7], v[4:5], 2, v[8:9]
	s_cbranch_vccnz .LBB289_13
; %bb.12:
	flat_load_dword v11, v[6:7]
	s_waitcnt vmcnt(0) lgkmcnt(0)
	v_fmac_f32_e32 v2, s18, v11
.LBB289_13:
	flat_store_dword v[6:7], v2
.LBB289_14:
	s_or_b64 exec, exec, s[6:7]
	v_add_u32_e32 v6, 16, v4
	v_cmp_le_i32_e32 vcc, v6, v10
	s_and_b64 s[6:7], s[2:3], vcc
	v_ashrrev_i32_e32 v7, 31, v6
	s_and_saveexec_b64 s[2:3], s[6:7]
	s_cbranch_execz .LBB289_18
; %bb.15:
	v_mul_f32_e32 v11, s19, v3
	s_and_b64 vcc, exec, s[0:1]
	v_lshl_add_u64 v[2:3], v[6:7], 2, v[8:9]
	s_cbranch_vccnz .LBB289_17
; %bb.16:
	flat_load_dword v8, v[2:3]
	s_waitcnt vmcnt(0) lgkmcnt(0)
	v_fmac_f32_e32 v11, s18, v8
.LBB289_17:
	flat_store_dword v[2:3], v11
.LBB289_18:
	s_or_b64 exec, exec, s[2:3]
	v_add_u32_e32 v8, 16, v10
	v_cmp_gt_i32_e64 s[2:3], s16, v8
	v_mad_i64_i32 v[2:3], s[6:7], v8, s8, 0
	v_cmp_le_i32_e32 vcc, v4, v8
	v_lshl_add_u64 v[2:3], v[2:3], 2, s[4:5]
	s_and_b64 s[6:7], s[2:3], vcc
	s_and_saveexec_b64 s[4:5], s[6:7]
	s_cbranch_execz .LBB289_22
; %bb.19:
	v_mul_f32_e32 v0, s19, v0
	s_and_b64 vcc, exec, s[0:1]
	v_lshl_add_u64 v[4:5], v[4:5], 2, v[2:3]
	s_cbranch_vccnz .LBB289_21
; %bb.20:
	flat_load_dword v9, v[4:5]
	s_waitcnt vmcnt(0) lgkmcnt(0)
	v_fmac_f32_e32 v0, s18, v9
.LBB289_21:
	flat_store_dword v[4:5], v0
.LBB289_22:
	s_or_b64 exec, exec, s[4:5]
	v_cmp_le_i32_e32 vcc, v6, v8
	s_and_b64 s[2:3], s[2:3], vcc
	s_and_saveexec_b64 s[4:5], s[2:3]
	s_cbranch_execz .LBB289_26
; %bb.23:
	v_mul_f32_e32 v4, s19, v1
	s_and_b64 vcc, exec, s[0:1]
	v_lshl_add_u64 v[0:1], v[6:7], 2, v[2:3]
	s_cbranch_vccnz .LBB289_25
; %bb.24:
	flat_load_dword v2, v[0:1]
	s_waitcnt vmcnt(0) lgkmcnt(0)
	v_fmac_f32_e32 v4, s18, v2
.LBB289_25:
	flat_store_dword v[0:1], v4
.LBB289_26:
	s_endpgm
	.section	.rodata,"a",@progbits
	.p2align	6, 0x0
	.amdhsa_kernel _ZL29rocblas_internal_gemmt_kernelIiLi16ELi32ELi8ELc78ELc84ELc85ELb0ELb0EfPKfPKS1_PKPfEviT_T9_T10_S7_lS9_S7_lS8_T11_S7_li
		.amdhsa_group_segment_fixed_size 2048
		.amdhsa_private_segment_fixed_size 0
		.amdhsa_kernarg_size 100
		.amdhsa_user_sgpr_count 2
		.amdhsa_user_sgpr_dispatch_ptr 0
		.amdhsa_user_sgpr_queue_ptr 0
		.amdhsa_user_sgpr_kernarg_segment_ptr 1
		.amdhsa_user_sgpr_dispatch_id 0
		.amdhsa_user_sgpr_kernarg_preload_length 0
		.amdhsa_user_sgpr_kernarg_preload_offset 0
		.amdhsa_user_sgpr_private_segment_size 0
		.amdhsa_uses_dynamic_stack 0
		.amdhsa_enable_private_segment 0
		.amdhsa_system_sgpr_workgroup_id_x 1
		.amdhsa_system_sgpr_workgroup_id_y 1
		.amdhsa_system_sgpr_workgroup_id_z 1
		.amdhsa_system_sgpr_workgroup_info 0
		.amdhsa_system_vgpr_workitem_id 1
		.amdhsa_next_free_vgpr 48
		.amdhsa_next_free_sgpr 28
		.amdhsa_accum_offset 48
		.amdhsa_reserve_vcc 1
		.amdhsa_float_round_mode_32 0
		.amdhsa_float_round_mode_16_64 0
		.amdhsa_float_denorm_mode_32 3
		.amdhsa_float_denorm_mode_16_64 3
		.amdhsa_dx10_clamp 1
		.amdhsa_ieee_mode 1
		.amdhsa_fp16_overflow 0
		.amdhsa_tg_split 0
		.amdhsa_exception_fp_ieee_invalid_op 0
		.amdhsa_exception_fp_denorm_src 0
		.amdhsa_exception_fp_ieee_div_zero 0
		.amdhsa_exception_fp_ieee_overflow 0
		.amdhsa_exception_fp_ieee_underflow 0
		.amdhsa_exception_fp_ieee_inexact 0
		.amdhsa_exception_int_div_zero 0
	.end_amdhsa_kernel
	.section	.text._ZL29rocblas_internal_gemmt_kernelIiLi16ELi32ELi8ELc78ELc84ELc85ELb0ELb0EfPKfPKS1_PKPfEviT_T9_T10_S7_lS9_S7_lS8_T11_S7_li,"axG",@progbits,_ZL29rocblas_internal_gemmt_kernelIiLi16ELi32ELi8ELc78ELc84ELc85ELb0ELb0EfPKfPKS1_PKPfEviT_T9_T10_S7_lS9_S7_lS8_T11_S7_li,comdat
.Lfunc_end289:
	.size	_ZL29rocblas_internal_gemmt_kernelIiLi16ELi32ELi8ELc78ELc84ELc85ELb0ELb0EfPKfPKS1_PKPfEviT_T9_T10_S7_lS9_S7_lS8_T11_S7_li, .Lfunc_end289-_ZL29rocblas_internal_gemmt_kernelIiLi16ELi32ELi8ELc78ELc84ELc85ELb0ELb0EfPKfPKS1_PKPfEviT_T9_T10_S7_lS9_S7_lS8_T11_S7_li
                                        ; -- End function
	.set _ZL29rocblas_internal_gemmt_kernelIiLi16ELi32ELi8ELc78ELc84ELc85ELb0ELb0EfPKfPKS1_PKPfEviT_T9_T10_S7_lS9_S7_lS8_T11_S7_li.num_vgpr, 48
	.set _ZL29rocblas_internal_gemmt_kernelIiLi16ELi32ELi8ELc78ELc84ELc85ELb0ELb0EfPKfPKS1_PKPfEviT_T9_T10_S7_lS9_S7_lS8_T11_S7_li.num_agpr, 0
	.set _ZL29rocblas_internal_gemmt_kernelIiLi16ELi32ELi8ELc78ELc84ELc85ELb0ELb0EfPKfPKS1_PKPfEviT_T9_T10_S7_lS9_S7_lS8_T11_S7_li.numbered_sgpr, 28
	.set _ZL29rocblas_internal_gemmt_kernelIiLi16ELi32ELi8ELc78ELc84ELc85ELb0ELb0EfPKfPKS1_PKPfEviT_T9_T10_S7_lS9_S7_lS8_T11_S7_li.num_named_barrier, 0
	.set _ZL29rocblas_internal_gemmt_kernelIiLi16ELi32ELi8ELc78ELc84ELc85ELb0ELb0EfPKfPKS1_PKPfEviT_T9_T10_S7_lS9_S7_lS8_T11_S7_li.private_seg_size, 0
	.set _ZL29rocblas_internal_gemmt_kernelIiLi16ELi32ELi8ELc78ELc84ELc85ELb0ELb0EfPKfPKS1_PKPfEviT_T9_T10_S7_lS9_S7_lS8_T11_S7_li.uses_vcc, 1
	.set _ZL29rocblas_internal_gemmt_kernelIiLi16ELi32ELi8ELc78ELc84ELc85ELb0ELb0EfPKfPKS1_PKPfEviT_T9_T10_S7_lS9_S7_lS8_T11_S7_li.uses_flat_scratch, 0
	.set _ZL29rocblas_internal_gemmt_kernelIiLi16ELi32ELi8ELc78ELc84ELc85ELb0ELb0EfPKfPKS1_PKPfEviT_T9_T10_S7_lS9_S7_lS8_T11_S7_li.has_dyn_sized_stack, 0
	.set _ZL29rocblas_internal_gemmt_kernelIiLi16ELi32ELi8ELc78ELc84ELc85ELb0ELb0EfPKfPKS1_PKPfEviT_T9_T10_S7_lS9_S7_lS8_T11_S7_li.has_recursion, 0
	.set _ZL29rocblas_internal_gemmt_kernelIiLi16ELi32ELi8ELc78ELc84ELc85ELb0ELb0EfPKfPKS1_PKPfEviT_T9_T10_S7_lS9_S7_lS8_T11_S7_li.has_indirect_call, 0
	.section	.AMDGPU.csdata,"",@progbits
; Kernel info:
; codeLenInByte = 1272
; TotalNumSgprs: 34
; NumVgprs: 48
; NumAgprs: 0
; TotalNumVgprs: 48
; ScratchSize: 0
; MemoryBound: 0
; FloatMode: 240
; IeeeMode: 1
; LDSByteSize: 2048 bytes/workgroup (compile time only)
; SGPRBlocks: 4
; VGPRBlocks: 5
; NumSGPRsForWavesPerEU: 34
; NumVGPRsForWavesPerEU: 48
; AccumOffset: 48
; Occupancy: 8
; WaveLimiterHint : 1
; COMPUTE_PGM_RSRC2:SCRATCH_EN: 0
; COMPUTE_PGM_RSRC2:USER_SGPR: 2
; COMPUTE_PGM_RSRC2:TRAP_HANDLER: 0
; COMPUTE_PGM_RSRC2:TGID_X_EN: 1
; COMPUTE_PGM_RSRC2:TGID_Y_EN: 1
; COMPUTE_PGM_RSRC2:TGID_Z_EN: 1
; COMPUTE_PGM_RSRC2:TIDIG_COMP_CNT: 1
; COMPUTE_PGM_RSRC3_GFX90A:ACCUM_OFFSET: 11
; COMPUTE_PGM_RSRC3_GFX90A:TG_SPLIT: 0
	.section	.text._ZL29rocblas_internal_gemmt_kernelIiLi16ELi32ELi8ELc78ELc67ELc85ELb0ELb0EfPKfPKS1_PKPfEviT_T9_T10_S7_lS9_S7_lS8_T11_S7_li,"axG",@progbits,_ZL29rocblas_internal_gemmt_kernelIiLi16ELi32ELi8ELc78ELc67ELc85ELb0ELb0EfPKfPKS1_PKPfEviT_T9_T10_S7_lS9_S7_lS8_T11_S7_li,comdat
	.globl	_ZL29rocblas_internal_gemmt_kernelIiLi16ELi32ELi8ELc78ELc67ELc85ELb0ELb0EfPKfPKS1_PKPfEviT_T9_T10_S7_lS9_S7_lS8_T11_S7_li ; -- Begin function _ZL29rocblas_internal_gemmt_kernelIiLi16ELi32ELi8ELc78ELc67ELc85ELb0ELb0EfPKfPKS1_PKPfEviT_T9_T10_S7_lS9_S7_lS8_T11_S7_li
	.p2align	8
	.type	_ZL29rocblas_internal_gemmt_kernelIiLi16ELi32ELi8ELc78ELc67ELc85ELb0ELb0EfPKfPKS1_PKPfEviT_T9_T10_S7_lS9_S7_lS8_T11_S7_li,@function
_ZL29rocblas_internal_gemmt_kernelIiLi16ELi32ELi8ELc78ELc67ELc85ELb0ELb0EfPKfPKS1_PKPfEviT_T9_T10_S7_lS9_S7_lS8_T11_S7_li: ; @_ZL29rocblas_internal_gemmt_kernelIiLi16ELi32ELi8ELc78ELc67ELc85ELb0ELb0EfPKfPKS1_PKPfEviT_T9_T10_S7_lS9_S7_lS8_T11_S7_li
; %bb.0:
	s_load_dwordx4 s[8:11], s[0:1], 0x38
	s_load_dwordx4 s[12:15], s[0:1], 0x8
	s_waitcnt lgkmcnt(0)
	s_load_dword s18, s[10:11], 0x0
	s_load_dwordx2 s[16:17], s[0:1], 0x0
	s_load_dword s19, s[12:13], 0x0
	s_waitcnt lgkmcnt(0)
	v_cmp_neq_f32_e64 s[6:7], s18, 1.0
	s_and_b64 vcc, exec, s[6:7]
	s_cbranch_vccnz .LBB290_2
; %bb.1:
	s_cmp_lg_u32 s17, 0
	s_cselect_b64 s[6:7], -1, 0
	v_cmp_neq_f32_e64 s[10:11], s19, 0
	s_and_b64 s[6:7], s[6:7], s[10:11]
.LBB290_2:
	s_andn2_b64 vcc, exec, s[6:7]
	s_cbranch_vccnz .LBB290_26
; %bb.3:
	s_load_dwordx2 s[10:11], s[0:1], 0x48
	s_mov_b32 s5, 0
	s_lshl_b64 s[6:7], s[4:5], 3
	v_mov_b32_e32 v3, 0
	v_and_b32_e32 v8, 0x3ff, v0
	s_waitcnt lgkmcnt(0)
	s_add_u32 s10, s10, s6
	s_addc_u32 s11, s11, s7
	s_load_dwordx2 s[10:11], s[10:11], 0x0
	s_lshl_b32 s4, s2, 5
	s_lshl_b32 s20, s3, 5
	s_cmp_lt_i32 s17, 1
	v_cmp_eq_f32_e64 s[2:3], s19, 0
	s_cselect_b64 s[12:13], -1, 0
	s_or_b64 s[2:3], s[2:3], s[12:13]
	v_bfe_u32 v9, v0, 10, 10
	s_and_b64 vcc, exec, s[2:3]
	v_mov_b32_e32 v2, v3
	v_mov_b32_e32 v1, v3
	;; [unrolled: 1-line block ×3, first 2 shown]
	s_cbranch_vccnz .LBB290_10
; %bb.4:
	s_load_dword s12, s[0:1], 0x18
	s_load_dwordx4 s[24:27], s[0:1], 0x20
	s_load_dword s22, s[0:1], 0x30
	v_lshl_add_u32 v1, v9, 4, v8
	v_and_b32_e32 v4, 31, v1
	s_waitcnt lgkmcnt(0)
	s_ashr_i32 s13, s12, 31
	v_lshrrev_b32_e32 v11, 5, v1
	s_ashr_i32 s23, s22, 31
	s_add_u32 s2, s26, s6
	v_lshrrev_b32_e32 v2, 3, v1
	v_or_b32_e32 v1, s4, v4
	s_addc_u32 s3, s27, s7
	v_and_b32_e32 v10, 7, v8
	s_load_dwordx2 s[26:27], s[2:3], 0x0
	s_add_u32 s2, s14, s6
	v_cmp_gt_i32_e32 vcc, s16, v1
	v_lshlrev_b32_e32 v1, 2, v4
	s_addc_u32 s3, s15, s7
	v_lshl_or_b32 v12, v11, 7, v1
	v_lshlrev_b32_e32 v1, 2, v10
	v_add_u32_e32 v0, s20, v2
	s_load_dwordx2 s[6:7], s[2:3], 0x0
	v_lshl_or_b32 v1, v2, 5, v1
	v_mov_b32_e32 v2, 0x400
	v_lshl_add_u32 v15, v9, 5, v2
	v_mad_i64_i32 v[2:3], s[14:15], v11, s12, 0
	s_lshl_b64 s[14:15], s[24:25], 2
	v_add_u32_e32 v4, s4, v4
	v_lshl_add_u64 v[2:3], v[2:3], 2, s[14:15]
	v_ashrrev_i32_e32 v5, 31, v4
	v_lshl_add_u64 v[2:3], v[4:5], 2, v[2:3]
	s_waitcnt lgkmcnt(0)
	v_lshl_add_u64 v[4:5], s[6:7], 0, v[2:3]
	v_mad_i64_i32 v[2:3], s[6:7], s22, v10, 0
	s_lshl_b64 s[6:7], s[8:9], 2
	v_add_u32_e32 v13, 0x400, v1
	v_ashrrev_i32_e32 v1, 31, v0
	v_lshl_add_u64 v[2:3], v[2:3], 2, s[6:7]
	v_cmp_gt_i32_e64 s[2:3], s16, v0
	v_lshl_add_u64 v[0:1], v[0:1], 2, v[2:3]
	v_lshl_add_u64 v[6:7], s[26:27], 0, v[0:1]
	v_mov_b32_e32 v0, 0
	v_lshlrev_b32_e32 v14, 2, v8
	s_lshl_b64 s[12:13], s[12:13], 5
	s_lshl_b64 s[8:9], s[22:23], 5
	v_mov_b32_e32 v1, v0
	v_mov_b32_e32 v2, v0
	;; [unrolled: 1-line block ×3, first 2 shown]
	s_branch .LBB290_6
.LBB290_5:                              ;   in Loop: Header=BB290_6 Depth=1
	s_or_b64 exec, exec, s[6:7]
	s_waitcnt vmcnt(0) lgkmcnt(0)
	ds_write_b32 v13, v16
	s_waitcnt lgkmcnt(0)
	s_barrier
	ds_read_b128 v[16:19], v15
	ds_read_b128 v[20:23], v15 offset:16
	ds_read2_b32 v[32:33], v14 offset1:16
	ds_read2_b32 v[34:35], v14 offset0:32 offset1:48
	ds_read2_b32 v[36:37], v14 offset0:64 offset1:80
	;; [unrolled: 1-line block ×4, first 2 shown]
	ds_read_b128 v[24:27], v15 offset:512
	ds_read_b128 v[28:31], v15 offset:528
	ds_read2_b32 v[42:43], v14 offset0:160 offset1:176
	ds_read2_b32 v[44:45], v14 offset0:192 offset1:208
	;; [unrolled: 1-line block ×3, first 2 shown]
	s_waitcnt lgkmcnt(9)
	v_pk_fma_f32 v[2:3], v[32:33], v[16:17], v[2:3] op_sel_hi:[1,0,1]
	s_waitcnt lgkmcnt(4)
	v_pk_fma_f32 v[0:1], v[32:33], v[24:25], v[0:1] op_sel_hi:[1,0,1]
	v_pk_fma_f32 v[2:3], v[34:35], v[16:17], v[2:3] op_sel:[0,1,0]
	v_mov_b32_e32 v16, v19
	v_pk_fma_f32 v[2:3], v[36:37], v[18:19], v[2:3] op_sel_hi:[1,0,1]
	v_pk_fma_f32 v[0:1], v[34:35], v[24:25], v[0:1] op_sel:[0,1,0]
	v_pk_fma_f32 v[2:3], v[38:39], v[16:17], v[2:3] op_sel_hi:[1,0,1]
	v_mov_b32_e32 v16, v23
	v_pk_fma_f32 v[2:3], v[40:41], v[20:21], v[2:3] op_sel_hi:[1,0,1]
	v_pk_fma_f32 v[0:1], v[36:37], v[26:27], v[0:1] op_sel_hi:[1,0,1]
	s_waitcnt lgkmcnt(2)
	v_pk_fma_f32 v[2:3], v[42:43], v[20:21], v[2:3] op_sel:[0,1,0]
	s_add_i32 s5, s5, 8
	s_waitcnt lgkmcnt(1)
	v_pk_fma_f32 v[2:3], v[44:45], v[22:23], v[2:3] op_sel_hi:[1,0,1]
	v_lshl_add_u64 v[4:5], v[4:5], 0, s[12:13]
	s_waitcnt lgkmcnt(0)
	v_pk_fma_f32 v[2:3], v[46:47], v[16:17], v[2:3] op_sel_hi:[1,0,1]
	v_mov_b32_e32 v16, v27
	v_pk_fma_f32 v[0:1], v[38:39], v[16:17], v[0:1] op_sel_hi:[1,0,1]
	v_mov_b32_e32 v16, v31
	v_pk_fma_f32 v[0:1], v[40:41], v[28:29], v[0:1] op_sel_hi:[1,0,1]
	s_cmp_lt_i32 s5, s17
	v_pk_fma_f32 v[0:1], v[42:43], v[28:29], v[0:1] op_sel:[0,1,0]
	v_lshl_add_u64 v[6:7], v[6:7], 0, s[8:9]
	v_pk_fma_f32 v[0:1], v[44:45], v[30:31], v[0:1] op_sel_hi:[1,0,1]
	s_nop 0
	v_pk_fma_f32 v[0:1], v[46:47], v[16:17], v[0:1] op_sel_hi:[1,0,1]
	s_barrier
	s_cbranch_scc0 .LBB290_10
.LBB290_6:                              ; =>This Inner Loop Header: Depth=1
	v_add_u32_e32 v16, s5, v11
	v_cmp_gt_i32_e64 s[6:7], s17, v16
	s_and_b64 s[14:15], vcc, s[6:7]
	v_mov_b32_e32 v16, 0
	s_and_saveexec_b64 s[6:7], s[14:15]
	s_cbranch_execz .LBB290_8
; %bb.7:                                ;   in Loop: Header=BB290_6 Depth=1
	flat_load_dword v16, v[4:5]
.LBB290_8:                              ;   in Loop: Header=BB290_6 Depth=1
	s_or_b64 exec, exec, s[6:7]
	s_waitcnt vmcnt(0) lgkmcnt(0)
	ds_write_b32 v12, v16
	v_add_u32_e32 v16, s5, v10
	v_cmp_gt_i32_e64 s[6:7], s17, v16
	s_and_b64 s[14:15], s[6:7], s[2:3]
	v_mov_b32_e32 v16, 0
	s_and_saveexec_b64 s[6:7], s[14:15]
	s_cbranch_execz .LBB290_5
; %bb.9:                                ;   in Loop: Header=BB290_6 Depth=1
	flat_load_dword v16, v[6:7]
	s_branch .LBB290_5
.LBB290_10:
	s_load_dwordx2 s[6:7], s[0:1], 0x58
	s_load_dword s8, s[0:1], 0x50
	v_add_u32_e32 v4, s4, v8
	v_add_u32_e32 v10, s20, v9
	v_cmp_gt_i32_e64 s[2:3], s16, v10
	s_waitcnt lgkmcnt(0)
	s_lshl_b64 s[0:1], s[6:7], 2
	s_add_u32 s4, s10, s0
	s_addc_u32 s5, s11, s1
	v_mad_i64_i32 v[6:7], s[0:1], v10, s8, 0
	v_cmp_neq_f32_e64 s[0:1], s18, 0
	v_lshl_add_u64 v[8:9], v[6:7], 2, s[4:5]
	v_cmp_le_i32_e32 vcc, v4, v10
	v_cndmask_b32_e64 v6, 0, 1, s[0:1]
	s_and_b64 s[10:11], s[2:3], vcc
	v_ashrrev_i32_e32 v5, 31, v4
	v_cmp_ne_u32_e64 s[0:1], 1, v6
	s_and_saveexec_b64 s[6:7], s[10:11]
	s_cbranch_execz .LBB290_14
; %bb.11:
	v_mul_f32_e32 v2, s19, v2
	s_and_b64 vcc, exec, s[0:1]
	v_lshl_add_u64 v[6:7], v[4:5], 2, v[8:9]
	s_cbranch_vccnz .LBB290_13
; %bb.12:
	flat_load_dword v11, v[6:7]
	s_waitcnt vmcnt(0) lgkmcnt(0)
	v_fmac_f32_e32 v2, s18, v11
.LBB290_13:
	flat_store_dword v[6:7], v2
.LBB290_14:
	s_or_b64 exec, exec, s[6:7]
	v_add_u32_e32 v6, 16, v4
	v_cmp_le_i32_e32 vcc, v6, v10
	s_and_b64 s[6:7], s[2:3], vcc
	v_ashrrev_i32_e32 v7, 31, v6
	s_and_saveexec_b64 s[2:3], s[6:7]
	s_cbranch_execz .LBB290_18
; %bb.15:
	v_mul_f32_e32 v11, s19, v3
	s_and_b64 vcc, exec, s[0:1]
	v_lshl_add_u64 v[2:3], v[6:7], 2, v[8:9]
	s_cbranch_vccnz .LBB290_17
; %bb.16:
	flat_load_dword v8, v[2:3]
	s_waitcnt vmcnt(0) lgkmcnt(0)
	v_fmac_f32_e32 v11, s18, v8
.LBB290_17:
	flat_store_dword v[2:3], v11
.LBB290_18:
	s_or_b64 exec, exec, s[2:3]
	v_add_u32_e32 v8, 16, v10
	v_cmp_gt_i32_e64 s[2:3], s16, v8
	v_mad_i64_i32 v[2:3], s[6:7], v8, s8, 0
	v_cmp_le_i32_e32 vcc, v4, v8
	v_lshl_add_u64 v[2:3], v[2:3], 2, s[4:5]
	s_and_b64 s[6:7], s[2:3], vcc
	s_and_saveexec_b64 s[4:5], s[6:7]
	s_cbranch_execz .LBB290_22
; %bb.19:
	v_mul_f32_e32 v0, s19, v0
	s_and_b64 vcc, exec, s[0:1]
	v_lshl_add_u64 v[4:5], v[4:5], 2, v[2:3]
	s_cbranch_vccnz .LBB290_21
; %bb.20:
	flat_load_dword v9, v[4:5]
	s_waitcnt vmcnt(0) lgkmcnt(0)
	v_fmac_f32_e32 v0, s18, v9
.LBB290_21:
	flat_store_dword v[4:5], v0
.LBB290_22:
	s_or_b64 exec, exec, s[4:5]
	v_cmp_le_i32_e32 vcc, v6, v8
	s_and_b64 s[2:3], s[2:3], vcc
	s_and_saveexec_b64 s[4:5], s[2:3]
	s_cbranch_execz .LBB290_26
; %bb.23:
	v_mul_f32_e32 v4, s19, v1
	s_and_b64 vcc, exec, s[0:1]
	v_lshl_add_u64 v[0:1], v[6:7], 2, v[2:3]
	s_cbranch_vccnz .LBB290_25
; %bb.24:
	flat_load_dword v2, v[0:1]
	s_waitcnt vmcnt(0) lgkmcnt(0)
	v_fmac_f32_e32 v4, s18, v2
.LBB290_25:
	flat_store_dword v[0:1], v4
.LBB290_26:
	s_endpgm
	.section	.rodata,"a",@progbits
	.p2align	6, 0x0
	.amdhsa_kernel _ZL29rocblas_internal_gemmt_kernelIiLi16ELi32ELi8ELc78ELc67ELc85ELb0ELb0EfPKfPKS1_PKPfEviT_T9_T10_S7_lS9_S7_lS8_T11_S7_li
		.amdhsa_group_segment_fixed_size 2048
		.amdhsa_private_segment_fixed_size 0
		.amdhsa_kernarg_size 100
		.amdhsa_user_sgpr_count 2
		.amdhsa_user_sgpr_dispatch_ptr 0
		.amdhsa_user_sgpr_queue_ptr 0
		.amdhsa_user_sgpr_kernarg_segment_ptr 1
		.amdhsa_user_sgpr_dispatch_id 0
		.amdhsa_user_sgpr_kernarg_preload_length 0
		.amdhsa_user_sgpr_kernarg_preload_offset 0
		.amdhsa_user_sgpr_private_segment_size 0
		.amdhsa_uses_dynamic_stack 0
		.amdhsa_enable_private_segment 0
		.amdhsa_system_sgpr_workgroup_id_x 1
		.amdhsa_system_sgpr_workgroup_id_y 1
		.amdhsa_system_sgpr_workgroup_id_z 1
		.amdhsa_system_sgpr_workgroup_info 0
		.amdhsa_system_vgpr_workitem_id 1
		.amdhsa_next_free_vgpr 48
		.amdhsa_next_free_sgpr 28
		.amdhsa_accum_offset 48
		.amdhsa_reserve_vcc 1
		.amdhsa_float_round_mode_32 0
		.amdhsa_float_round_mode_16_64 0
		.amdhsa_float_denorm_mode_32 3
		.amdhsa_float_denorm_mode_16_64 3
		.amdhsa_dx10_clamp 1
		.amdhsa_ieee_mode 1
		.amdhsa_fp16_overflow 0
		.amdhsa_tg_split 0
		.amdhsa_exception_fp_ieee_invalid_op 0
		.amdhsa_exception_fp_denorm_src 0
		.amdhsa_exception_fp_ieee_div_zero 0
		.amdhsa_exception_fp_ieee_overflow 0
		.amdhsa_exception_fp_ieee_underflow 0
		.amdhsa_exception_fp_ieee_inexact 0
		.amdhsa_exception_int_div_zero 0
	.end_amdhsa_kernel
	.section	.text._ZL29rocblas_internal_gemmt_kernelIiLi16ELi32ELi8ELc78ELc67ELc85ELb0ELb0EfPKfPKS1_PKPfEviT_T9_T10_S7_lS9_S7_lS8_T11_S7_li,"axG",@progbits,_ZL29rocblas_internal_gemmt_kernelIiLi16ELi32ELi8ELc78ELc67ELc85ELb0ELb0EfPKfPKS1_PKPfEviT_T9_T10_S7_lS9_S7_lS8_T11_S7_li,comdat
.Lfunc_end290:
	.size	_ZL29rocblas_internal_gemmt_kernelIiLi16ELi32ELi8ELc78ELc67ELc85ELb0ELb0EfPKfPKS1_PKPfEviT_T9_T10_S7_lS9_S7_lS8_T11_S7_li, .Lfunc_end290-_ZL29rocblas_internal_gemmt_kernelIiLi16ELi32ELi8ELc78ELc67ELc85ELb0ELb0EfPKfPKS1_PKPfEviT_T9_T10_S7_lS9_S7_lS8_T11_S7_li
                                        ; -- End function
	.set _ZL29rocblas_internal_gemmt_kernelIiLi16ELi32ELi8ELc78ELc67ELc85ELb0ELb0EfPKfPKS1_PKPfEviT_T9_T10_S7_lS9_S7_lS8_T11_S7_li.num_vgpr, 48
	.set _ZL29rocblas_internal_gemmt_kernelIiLi16ELi32ELi8ELc78ELc67ELc85ELb0ELb0EfPKfPKS1_PKPfEviT_T9_T10_S7_lS9_S7_lS8_T11_S7_li.num_agpr, 0
	.set _ZL29rocblas_internal_gemmt_kernelIiLi16ELi32ELi8ELc78ELc67ELc85ELb0ELb0EfPKfPKS1_PKPfEviT_T9_T10_S7_lS9_S7_lS8_T11_S7_li.numbered_sgpr, 28
	.set _ZL29rocblas_internal_gemmt_kernelIiLi16ELi32ELi8ELc78ELc67ELc85ELb0ELb0EfPKfPKS1_PKPfEviT_T9_T10_S7_lS9_S7_lS8_T11_S7_li.num_named_barrier, 0
	.set _ZL29rocblas_internal_gemmt_kernelIiLi16ELi32ELi8ELc78ELc67ELc85ELb0ELb0EfPKfPKS1_PKPfEviT_T9_T10_S7_lS9_S7_lS8_T11_S7_li.private_seg_size, 0
	.set _ZL29rocblas_internal_gemmt_kernelIiLi16ELi32ELi8ELc78ELc67ELc85ELb0ELb0EfPKfPKS1_PKPfEviT_T9_T10_S7_lS9_S7_lS8_T11_S7_li.uses_vcc, 1
	.set _ZL29rocblas_internal_gemmt_kernelIiLi16ELi32ELi8ELc78ELc67ELc85ELb0ELb0EfPKfPKS1_PKPfEviT_T9_T10_S7_lS9_S7_lS8_T11_S7_li.uses_flat_scratch, 0
	.set _ZL29rocblas_internal_gemmt_kernelIiLi16ELi32ELi8ELc78ELc67ELc85ELb0ELb0EfPKfPKS1_PKPfEviT_T9_T10_S7_lS9_S7_lS8_T11_S7_li.has_dyn_sized_stack, 0
	.set _ZL29rocblas_internal_gemmt_kernelIiLi16ELi32ELi8ELc78ELc67ELc85ELb0ELb0EfPKfPKS1_PKPfEviT_T9_T10_S7_lS9_S7_lS8_T11_S7_li.has_recursion, 0
	.set _ZL29rocblas_internal_gemmt_kernelIiLi16ELi32ELi8ELc78ELc67ELc85ELb0ELb0EfPKfPKS1_PKPfEviT_T9_T10_S7_lS9_S7_lS8_T11_S7_li.has_indirect_call, 0
	.section	.AMDGPU.csdata,"",@progbits
; Kernel info:
; codeLenInByte = 1272
; TotalNumSgprs: 34
; NumVgprs: 48
; NumAgprs: 0
; TotalNumVgprs: 48
; ScratchSize: 0
; MemoryBound: 0
; FloatMode: 240
; IeeeMode: 1
; LDSByteSize: 2048 bytes/workgroup (compile time only)
; SGPRBlocks: 4
; VGPRBlocks: 5
; NumSGPRsForWavesPerEU: 34
; NumVGPRsForWavesPerEU: 48
; AccumOffset: 48
; Occupancy: 8
; WaveLimiterHint : 1
; COMPUTE_PGM_RSRC2:SCRATCH_EN: 0
; COMPUTE_PGM_RSRC2:USER_SGPR: 2
; COMPUTE_PGM_RSRC2:TRAP_HANDLER: 0
; COMPUTE_PGM_RSRC2:TGID_X_EN: 1
; COMPUTE_PGM_RSRC2:TGID_Y_EN: 1
; COMPUTE_PGM_RSRC2:TGID_Z_EN: 1
; COMPUTE_PGM_RSRC2:TIDIG_COMP_CNT: 1
; COMPUTE_PGM_RSRC3_GFX90A:ACCUM_OFFSET: 11
; COMPUTE_PGM_RSRC3_GFX90A:TG_SPLIT: 0
	.section	.text._ZL29rocblas_internal_gemmt_kernelIiLi16ELi32ELi8ELc84ELc78ELc85ELb0ELb0EfPKfPKS1_PKPfEviT_T9_T10_S7_lS9_S7_lS8_T11_S7_li,"axG",@progbits,_ZL29rocblas_internal_gemmt_kernelIiLi16ELi32ELi8ELc84ELc78ELc85ELb0ELb0EfPKfPKS1_PKPfEviT_T9_T10_S7_lS9_S7_lS8_T11_S7_li,comdat
	.globl	_ZL29rocblas_internal_gemmt_kernelIiLi16ELi32ELi8ELc84ELc78ELc85ELb0ELb0EfPKfPKS1_PKPfEviT_T9_T10_S7_lS9_S7_lS8_T11_S7_li ; -- Begin function _ZL29rocblas_internal_gemmt_kernelIiLi16ELi32ELi8ELc84ELc78ELc85ELb0ELb0EfPKfPKS1_PKPfEviT_T9_T10_S7_lS9_S7_lS8_T11_S7_li
	.p2align	8
	.type	_ZL29rocblas_internal_gemmt_kernelIiLi16ELi32ELi8ELc84ELc78ELc85ELb0ELb0EfPKfPKS1_PKPfEviT_T9_T10_S7_lS9_S7_lS8_T11_S7_li,@function
_ZL29rocblas_internal_gemmt_kernelIiLi16ELi32ELi8ELc84ELc78ELc85ELb0ELb0EfPKfPKS1_PKPfEviT_T9_T10_S7_lS9_S7_lS8_T11_S7_li: ; @_ZL29rocblas_internal_gemmt_kernelIiLi16ELi32ELi8ELc84ELc78ELc85ELb0ELb0EfPKfPKS1_PKPfEviT_T9_T10_S7_lS9_S7_lS8_T11_S7_li
; %bb.0:
	s_load_dwordx4 s[8:11], s[0:1], 0x38
	s_load_dwordx4 s[12:15], s[0:1], 0x8
	s_waitcnt lgkmcnt(0)
	s_load_dword s18, s[10:11], 0x0
	s_load_dwordx2 s[16:17], s[0:1], 0x0
	s_load_dword s19, s[12:13], 0x0
	s_waitcnt lgkmcnt(0)
	v_cmp_neq_f32_e64 s[6:7], s18, 1.0
	s_and_b64 vcc, exec, s[6:7]
	s_cbranch_vccnz .LBB291_2
; %bb.1:
	s_cmp_lg_u32 s17, 0
	s_cselect_b64 s[6:7], -1, 0
	v_cmp_neq_f32_e64 s[10:11], s19, 0
	s_and_b64 s[6:7], s[6:7], s[10:11]
.LBB291_2:
	s_andn2_b64 vcc, exec, s[6:7]
	s_cbranch_vccnz .LBB291_26
; %bb.3:
	s_load_dwordx2 s[10:11], s[0:1], 0x48
	s_mov_b32 s5, 0
	s_lshl_b64 s[6:7], s[4:5], 3
	v_mov_b32_e32 v3, 0
	v_and_b32_e32 v8, 0x3ff, v0
	s_waitcnt lgkmcnt(0)
	s_add_u32 s10, s10, s6
	s_addc_u32 s11, s11, s7
	s_load_dwordx2 s[10:11], s[10:11], 0x0
	s_lshl_b32 s4, s2, 5
	s_lshl_b32 s12, s3, 5
	s_cmp_lt_i32 s17, 1
	v_cmp_eq_f32_e64 s[2:3], s19, 0
	s_cselect_b64 s[20:21], -1, 0
	s_or_b64 s[2:3], s[2:3], s[20:21]
	v_bfe_u32 v9, v0, 10, 10
	s_and_b64 vcc, exec, s[2:3]
	v_mov_b32_e32 v2, v3
	v_mov_b32_e32 v1, v3
	;; [unrolled: 1-line block ×3, first 2 shown]
	s_cbranch_vccnz .LBB291_10
; %bb.4:
	s_load_dword s13, s[0:1], 0x18
	s_load_dwordx4 s[20:23], s[0:1], 0x20
	s_load_dword s24, s[0:1], 0x30
	v_lshl_add_u32 v0, v9, 4, v8
	v_lshrrev_b32_e32 v11, 5, v0
	v_lshrrev_b32_e32 v1, 3, v0
	v_and_b32_e32 v0, 31, v0
	v_or_b32_e32 v2, s4, v0
	s_waitcnt lgkmcnt(0)
	s_add_u32 s2, s22, s6
	v_and_b32_e32 v10, 7, v8
	s_addc_u32 s3, s23, s7
	v_cmp_gt_i32_e32 vcc, s16, v2
	v_lshlrev_b32_e32 v2, 2, v0
	s_load_dwordx2 s[22:23], s[2:3], 0x0
	s_add_u32 s2, s14, s6
	v_lshl_or_b32 v12, v11, 7, v2
	v_lshlrev_b32_e32 v2, 2, v10
	v_add_u32_e32 v3, s12, v1
	s_addc_u32 s3, s15, s7
	v_lshl_or_b32 v1, v1, 5, v2
	s_load_dwordx2 s[6:7], s[2:3], 0x0
	v_add_u32_e32 v13, 0x400, v1
	v_mov_b32_e32 v1, 0x400
	v_add_u32_e32 v0, s4, v0
	v_lshl_add_u32 v15, v9, 5, v1
	v_mad_i64_i32 v[0:1], s[14:15], s13, v0, 0
	s_lshl_b64 s[14:15], s[20:21], 2
	s_nop 0
	v_lshl_add_u64 v[4:5], v[0:1], 2, s[14:15]
	v_lshlrev_b32_e32 v0, 2, v11
	v_mov_b32_e32 v1, 0
	v_lshl_add_u64 v[4:5], v[4:5], 0, v[0:1]
	s_waitcnt lgkmcnt(0)
	v_lshl_add_u64 v[4:5], s[6:7], 0, v[4:5]
	v_mad_i64_i32 v[6:7], s[6:7], s24, v3, 0
	s_lshl_b64 s[6:7], s[8:9], 2
	v_cmp_gt_i32_e64 s[2:3], s16, v3
	v_lshl_add_u64 v[6:7], v[6:7], 2, s[6:7]
	v_mov_b32_e32 v3, v1
	v_lshl_add_u64 v[2:3], v[6:7], 0, v[2:3]
	v_lshlrev_b32_e32 v14, 2, v8
	v_lshl_add_u64 v[6:7], s[22:23], 0, v[2:3]
	v_mov_b32_e32 v0, v1
	v_mov_b32_e32 v2, v1
	;; [unrolled: 1-line block ×3, first 2 shown]
	s_branch .LBB291_6
.LBB291_5:                              ;   in Loop: Header=BB291_6 Depth=1
	s_or_b64 exec, exec, s[6:7]
	s_waitcnt vmcnt(0) lgkmcnt(0)
	ds_write_b32 v13, v16
	s_waitcnt lgkmcnt(0)
	s_barrier
	ds_read_b128 v[16:19], v15
	ds_read_b128 v[20:23], v15 offset:16
	ds_read2_b32 v[32:33], v14 offset1:16
	ds_read2_b32 v[34:35], v14 offset0:32 offset1:48
	ds_read2_b32 v[36:37], v14 offset0:64 offset1:80
	ds_read2_b32 v[38:39], v14 offset0:96 offset1:112
	ds_read2_b32 v[40:41], v14 offset0:128 offset1:144
	ds_read_b128 v[24:27], v15 offset:512
	ds_read_b128 v[28:31], v15 offset:528
	ds_read2_b32 v[42:43], v14 offset0:160 offset1:176
	ds_read2_b32 v[44:45], v14 offset0:192 offset1:208
	;; [unrolled: 1-line block ×3, first 2 shown]
	s_waitcnt lgkmcnt(9)
	v_pk_fma_f32 v[2:3], v[32:33], v[16:17], v[2:3] op_sel_hi:[1,0,1]
	s_waitcnt lgkmcnt(4)
	v_pk_fma_f32 v[0:1], v[32:33], v[24:25], v[0:1] op_sel_hi:[1,0,1]
	v_pk_fma_f32 v[2:3], v[34:35], v[16:17], v[2:3] op_sel:[0,1,0]
	v_mov_b32_e32 v16, v19
	v_pk_fma_f32 v[2:3], v[36:37], v[18:19], v[2:3] op_sel_hi:[1,0,1]
	v_pk_fma_f32 v[0:1], v[34:35], v[24:25], v[0:1] op_sel:[0,1,0]
	v_pk_fma_f32 v[2:3], v[38:39], v[16:17], v[2:3] op_sel_hi:[1,0,1]
	v_mov_b32_e32 v16, v23
	v_pk_fma_f32 v[2:3], v[40:41], v[20:21], v[2:3] op_sel_hi:[1,0,1]
	v_pk_fma_f32 v[0:1], v[36:37], v[26:27], v[0:1] op_sel_hi:[1,0,1]
	s_waitcnt lgkmcnt(2)
	v_pk_fma_f32 v[2:3], v[42:43], v[20:21], v[2:3] op_sel:[0,1,0]
	s_add_i32 s5, s5, 8
	s_waitcnt lgkmcnt(1)
	v_pk_fma_f32 v[2:3], v[44:45], v[22:23], v[2:3] op_sel_hi:[1,0,1]
	v_lshl_add_u64 v[4:5], v[4:5], 0, 32
	s_waitcnt lgkmcnt(0)
	v_pk_fma_f32 v[2:3], v[46:47], v[16:17], v[2:3] op_sel_hi:[1,0,1]
	v_mov_b32_e32 v16, v27
	v_pk_fma_f32 v[0:1], v[38:39], v[16:17], v[0:1] op_sel_hi:[1,0,1]
	v_mov_b32_e32 v16, v31
	v_pk_fma_f32 v[0:1], v[40:41], v[28:29], v[0:1] op_sel_hi:[1,0,1]
	s_cmp_lt_i32 s5, s17
	v_pk_fma_f32 v[0:1], v[42:43], v[28:29], v[0:1] op_sel:[0,1,0]
	v_lshl_add_u64 v[6:7], v[6:7], 0, 32
	v_pk_fma_f32 v[0:1], v[44:45], v[30:31], v[0:1] op_sel_hi:[1,0,1]
	s_nop 0
	v_pk_fma_f32 v[0:1], v[46:47], v[16:17], v[0:1] op_sel_hi:[1,0,1]
	s_barrier
	s_cbranch_scc0 .LBB291_10
.LBB291_6:                              ; =>This Inner Loop Header: Depth=1
	v_add_u32_e32 v16, s5, v11
	v_cmp_gt_i32_e64 s[6:7], s17, v16
	s_and_b64 s[8:9], vcc, s[6:7]
	v_mov_b32_e32 v16, 0
	s_and_saveexec_b64 s[6:7], s[8:9]
	s_cbranch_execz .LBB291_8
; %bb.7:                                ;   in Loop: Header=BB291_6 Depth=1
	flat_load_dword v16, v[4:5]
.LBB291_8:                              ;   in Loop: Header=BB291_6 Depth=1
	s_or_b64 exec, exec, s[6:7]
	s_waitcnt vmcnt(0) lgkmcnt(0)
	ds_write_b32 v12, v16
	v_add_u32_e32 v16, s5, v10
	v_cmp_gt_i32_e64 s[6:7], s17, v16
	s_and_b64 s[8:9], s[6:7], s[2:3]
	v_mov_b32_e32 v16, 0
	s_and_saveexec_b64 s[6:7], s[8:9]
	s_cbranch_execz .LBB291_5
; %bb.9:                                ;   in Loop: Header=BB291_6 Depth=1
	flat_load_dword v16, v[6:7]
	s_branch .LBB291_5
.LBB291_10:
	s_load_dwordx2 s[6:7], s[0:1], 0x58
	s_load_dword s8, s[0:1], 0x50
	v_add_u32_e32 v4, s4, v8
	v_add_u32_e32 v10, s12, v9
	v_cmp_gt_i32_e64 s[2:3], s16, v10
	s_waitcnt lgkmcnt(0)
	s_lshl_b64 s[0:1], s[6:7], 2
	s_add_u32 s4, s10, s0
	s_addc_u32 s5, s11, s1
	v_mad_i64_i32 v[6:7], s[0:1], v10, s8, 0
	v_cmp_neq_f32_e64 s[0:1], s18, 0
	v_lshl_add_u64 v[8:9], v[6:7], 2, s[4:5]
	v_cmp_le_i32_e32 vcc, v4, v10
	v_cndmask_b32_e64 v6, 0, 1, s[0:1]
	s_and_b64 s[10:11], s[2:3], vcc
	v_ashrrev_i32_e32 v5, 31, v4
	v_cmp_ne_u32_e64 s[0:1], 1, v6
	s_and_saveexec_b64 s[6:7], s[10:11]
	s_cbranch_execz .LBB291_14
; %bb.11:
	v_mul_f32_e32 v2, s19, v2
	s_and_b64 vcc, exec, s[0:1]
	v_lshl_add_u64 v[6:7], v[4:5], 2, v[8:9]
	s_cbranch_vccnz .LBB291_13
; %bb.12:
	flat_load_dword v11, v[6:7]
	s_waitcnt vmcnt(0) lgkmcnt(0)
	v_fmac_f32_e32 v2, s18, v11
.LBB291_13:
	flat_store_dword v[6:7], v2
.LBB291_14:
	s_or_b64 exec, exec, s[6:7]
	v_add_u32_e32 v6, 16, v4
	v_cmp_le_i32_e32 vcc, v6, v10
	s_and_b64 s[6:7], s[2:3], vcc
	v_ashrrev_i32_e32 v7, 31, v6
	s_and_saveexec_b64 s[2:3], s[6:7]
	s_cbranch_execz .LBB291_18
; %bb.15:
	v_mul_f32_e32 v11, s19, v3
	s_and_b64 vcc, exec, s[0:1]
	v_lshl_add_u64 v[2:3], v[6:7], 2, v[8:9]
	s_cbranch_vccnz .LBB291_17
; %bb.16:
	flat_load_dword v8, v[2:3]
	s_waitcnt vmcnt(0) lgkmcnt(0)
	v_fmac_f32_e32 v11, s18, v8
.LBB291_17:
	flat_store_dword v[2:3], v11
.LBB291_18:
	s_or_b64 exec, exec, s[2:3]
	v_add_u32_e32 v8, 16, v10
	v_cmp_gt_i32_e64 s[2:3], s16, v8
	v_mad_i64_i32 v[2:3], s[6:7], v8, s8, 0
	v_cmp_le_i32_e32 vcc, v4, v8
	v_lshl_add_u64 v[2:3], v[2:3], 2, s[4:5]
	s_and_b64 s[6:7], s[2:3], vcc
	s_and_saveexec_b64 s[4:5], s[6:7]
	s_cbranch_execz .LBB291_22
; %bb.19:
	v_mul_f32_e32 v0, s19, v0
	s_and_b64 vcc, exec, s[0:1]
	v_lshl_add_u64 v[4:5], v[4:5], 2, v[2:3]
	s_cbranch_vccnz .LBB291_21
; %bb.20:
	flat_load_dword v9, v[4:5]
	s_waitcnt vmcnt(0) lgkmcnt(0)
	v_fmac_f32_e32 v0, s18, v9
.LBB291_21:
	flat_store_dword v[4:5], v0
.LBB291_22:
	s_or_b64 exec, exec, s[4:5]
	v_cmp_le_i32_e32 vcc, v6, v8
	s_and_b64 s[2:3], s[2:3], vcc
	s_and_saveexec_b64 s[4:5], s[2:3]
	s_cbranch_execz .LBB291_26
; %bb.23:
	v_mul_f32_e32 v4, s19, v1
	s_and_b64 vcc, exec, s[0:1]
	v_lshl_add_u64 v[0:1], v[6:7], 2, v[2:3]
	s_cbranch_vccnz .LBB291_25
; %bb.24:
	flat_load_dword v2, v[0:1]
	s_waitcnt vmcnt(0) lgkmcnt(0)
	v_fmac_f32_e32 v4, s18, v2
.LBB291_25:
	flat_store_dword v[0:1], v4
.LBB291_26:
	s_endpgm
	.section	.rodata,"a",@progbits
	.p2align	6, 0x0
	.amdhsa_kernel _ZL29rocblas_internal_gemmt_kernelIiLi16ELi32ELi8ELc84ELc78ELc85ELb0ELb0EfPKfPKS1_PKPfEviT_T9_T10_S7_lS9_S7_lS8_T11_S7_li
		.amdhsa_group_segment_fixed_size 2048
		.amdhsa_private_segment_fixed_size 0
		.amdhsa_kernarg_size 100
		.amdhsa_user_sgpr_count 2
		.amdhsa_user_sgpr_dispatch_ptr 0
		.amdhsa_user_sgpr_queue_ptr 0
		.amdhsa_user_sgpr_kernarg_segment_ptr 1
		.amdhsa_user_sgpr_dispatch_id 0
		.amdhsa_user_sgpr_kernarg_preload_length 0
		.amdhsa_user_sgpr_kernarg_preload_offset 0
		.amdhsa_user_sgpr_private_segment_size 0
		.amdhsa_uses_dynamic_stack 0
		.amdhsa_enable_private_segment 0
		.amdhsa_system_sgpr_workgroup_id_x 1
		.amdhsa_system_sgpr_workgroup_id_y 1
		.amdhsa_system_sgpr_workgroup_id_z 1
		.amdhsa_system_sgpr_workgroup_info 0
		.amdhsa_system_vgpr_workitem_id 1
		.amdhsa_next_free_vgpr 48
		.amdhsa_next_free_sgpr 25
		.amdhsa_accum_offset 48
		.amdhsa_reserve_vcc 1
		.amdhsa_float_round_mode_32 0
		.amdhsa_float_round_mode_16_64 0
		.amdhsa_float_denorm_mode_32 3
		.amdhsa_float_denorm_mode_16_64 3
		.amdhsa_dx10_clamp 1
		.amdhsa_ieee_mode 1
		.amdhsa_fp16_overflow 0
		.amdhsa_tg_split 0
		.amdhsa_exception_fp_ieee_invalid_op 0
		.amdhsa_exception_fp_denorm_src 0
		.amdhsa_exception_fp_ieee_div_zero 0
		.amdhsa_exception_fp_ieee_overflow 0
		.amdhsa_exception_fp_ieee_underflow 0
		.amdhsa_exception_fp_ieee_inexact 0
		.amdhsa_exception_int_div_zero 0
	.end_amdhsa_kernel
	.section	.text._ZL29rocblas_internal_gemmt_kernelIiLi16ELi32ELi8ELc84ELc78ELc85ELb0ELb0EfPKfPKS1_PKPfEviT_T9_T10_S7_lS9_S7_lS8_T11_S7_li,"axG",@progbits,_ZL29rocblas_internal_gemmt_kernelIiLi16ELi32ELi8ELc84ELc78ELc85ELb0ELb0EfPKfPKS1_PKPfEviT_T9_T10_S7_lS9_S7_lS8_T11_S7_li,comdat
.Lfunc_end291:
	.size	_ZL29rocblas_internal_gemmt_kernelIiLi16ELi32ELi8ELc84ELc78ELc85ELb0ELb0EfPKfPKS1_PKPfEviT_T9_T10_S7_lS9_S7_lS8_T11_S7_li, .Lfunc_end291-_ZL29rocblas_internal_gemmt_kernelIiLi16ELi32ELi8ELc84ELc78ELc85ELb0ELb0EfPKfPKS1_PKPfEviT_T9_T10_S7_lS9_S7_lS8_T11_S7_li
                                        ; -- End function
	.set _ZL29rocblas_internal_gemmt_kernelIiLi16ELi32ELi8ELc84ELc78ELc85ELb0ELb0EfPKfPKS1_PKPfEviT_T9_T10_S7_lS9_S7_lS8_T11_S7_li.num_vgpr, 48
	.set _ZL29rocblas_internal_gemmt_kernelIiLi16ELi32ELi8ELc84ELc78ELc85ELb0ELb0EfPKfPKS1_PKPfEviT_T9_T10_S7_lS9_S7_lS8_T11_S7_li.num_agpr, 0
	.set _ZL29rocblas_internal_gemmt_kernelIiLi16ELi32ELi8ELc84ELc78ELc85ELb0ELb0EfPKfPKS1_PKPfEviT_T9_T10_S7_lS9_S7_lS8_T11_S7_li.numbered_sgpr, 25
	.set _ZL29rocblas_internal_gemmt_kernelIiLi16ELi32ELi8ELc84ELc78ELc85ELb0ELb0EfPKfPKS1_PKPfEviT_T9_T10_S7_lS9_S7_lS8_T11_S7_li.num_named_barrier, 0
	.set _ZL29rocblas_internal_gemmt_kernelIiLi16ELi32ELi8ELc84ELc78ELc85ELb0ELb0EfPKfPKS1_PKPfEviT_T9_T10_S7_lS9_S7_lS8_T11_S7_li.private_seg_size, 0
	.set _ZL29rocblas_internal_gemmt_kernelIiLi16ELi32ELi8ELc84ELc78ELc85ELb0ELb0EfPKfPKS1_PKPfEviT_T9_T10_S7_lS9_S7_lS8_T11_S7_li.uses_vcc, 1
	.set _ZL29rocblas_internal_gemmt_kernelIiLi16ELi32ELi8ELc84ELc78ELc85ELb0ELb0EfPKfPKS1_PKPfEviT_T9_T10_S7_lS9_S7_lS8_T11_S7_li.uses_flat_scratch, 0
	.set _ZL29rocblas_internal_gemmt_kernelIiLi16ELi32ELi8ELc84ELc78ELc85ELb0ELb0EfPKfPKS1_PKPfEviT_T9_T10_S7_lS9_S7_lS8_T11_S7_li.has_dyn_sized_stack, 0
	.set _ZL29rocblas_internal_gemmt_kernelIiLi16ELi32ELi8ELc84ELc78ELc85ELb0ELb0EfPKfPKS1_PKPfEviT_T9_T10_S7_lS9_S7_lS8_T11_S7_li.has_recursion, 0
	.set _ZL29rocblas_internal_gemmt_kernelIiLi16ELi32ELi8ELc84ELc78ELc85ELb0ELb0EfPKfPKS1_PKPfEviT_T9_T10_S7_lS9_S7_lS8_T11_S7_li.has_indirect_call, 0
	.section	.AMDGPU.csdata,"",@progbits
; Kernel info:
; codeLenInByte = 1260
; TotalNumSgprs: 31
; NumVgprs: 48
; NumAgprs: 0
; TotalNumVgprs: 48
; ScratchSize: 0
; MemoryBound: 0
; FloatMode: 240
; IeeeMode: 1
; LDSByteSize: 2048 bytes/workgroup (compile time only)
; SGPRBlocks: 3
; VGPRBlocks: 5
; NumSGPRsForWavesPerEU: 31
; NumVGPRsForWavesPerEU: 48
; AccumOffset: 48
; Occupancy: 8
; WaveLimiterHint : 1
; COMPUTE_PGM_RSRC2:SCRATCH_EN: 0
; COMPUTE_PGM_RSRC2:USER_SGPR: 2
; COMPUTE_PGM_RSRC2:TRAP_HANDLER: 0
; COMPUTE_PGM_RSRC2:TGID_X_EN: 1
; COMPUTE_PGM_RSRC2:TGID_Y_EN: 1
; COMPUTE_PGM_RSRC2:TGID_Z_EN: 1
; COMPUTE_PGM_RSRC2:TIDIG_COMP_CNT: 1
; COMPUTE_PGM_RSRC3_GFX90A:ACCUM_OFFSET: 11
; COMPUTE_PGM_RSRC3_GFX90A:TG_SPLIT: 0
	.section	.text._ZL29rocblas_internal_gemmt_kernelIiLi16ELi32ELi8ELc84ELc84ELc85ELb0ELb0EfPKfPKS1_PKPfEviT_T9_T10_S7_lS9_S7_lS8_T11_S7_li,"axG",@progbits,_ZL29rocblas_internal_gemmt_kernelIiLi16ELi32ELi8ELc84ELc84ELc85ELb0ELb0EfPKfPKS1_PKPfEviT_T9_T10_S7_lS9_S7_lS8_T11_S7_li,comdat
	.globl	_ZL29rocblas_internal_gemmt_kernelIiLi16ELi32ELi8ELc84ELc84ELc85ELb0ELb0EfPKfPKS1_PKPfEviT_T9_T10_S7_lS9_S7_lS8_T11_S7_li ; -- Begin function _ZL29rocblas_internal_gemmt_kernelIiLi16ELi32ELi8ELc84ELc84ELc85ELb0ELb0EfPKfPKS1_PKPfEviT_T9_T10_S7_lS9_S7_lS8_T11_S7_li
	.p2align	8
	.type	_ZL29rocblas_internal_gemmt_kernelIiLi16ELi32ELi8ELc84ELc84ELc85ELb0ELb0EfPKfPKS1_PKPfEviT_T9_T10_S7_lS9_S7_lS8_T11_S7_li,@function
_ZL29rocblas_internal_gemmt_kernelIiLi16ELi32ELi8ELc84ELc84ELc85ELb0ELb0EfPKfPKS1_PKPfEviT_T9_T10_S7_lS9_S7_lS8_T11_S7_li: ; @_ZL29rocblas_internal_gemmt_kernelIiLi16ELi32ELi8ELc84ELc84ELc85ELb0ELb0EfPKfPKS1_PKPfEviT_T9_T10_S7_lS9_S7_lS8_T11_S7_li
; %bb.0:
	s_load_dwordx4 s[8:11], s[0:1], 0x38
	s_load_dwordx4 s[12:15], s[0:1], 0x8
	s_waitcnt lgkmcnt(0)
	s_load_dword s18, s[10:11], 0x0
	s_load_dwordx2 s[16:17], s[0:1], 0x0
	s_load_dword s19, s[12:13], 0x0
	s_waitcnt lgkmcnt(0)
	v_cmp_neq_f32_e64 s[6:7], s18, 1.0
	s_and_b64 vcc, exec, s[6:7]
	s_cbranch_vccnz .LBB292_2
; %bb.1:
	s_cmp_lg_u32 s17, 0
	s_cselect_b64 s[6:7], -1, 0
	v_cmp_neq_f32_e64 s[10:11], s19, 0
	s_and_b64 s[6:7], s[6:7], s[10:11]
.LBB292_2:
	s_andn2_b64 vcc, exec, s[6:7]
	s_cbranch_vccnz .LBB292_26
; %bb.3:
	s_load_dwordx2 s[10:11], s[0:1], 0x48
	s_mov_b32 s5, 0
	s_lshl_b64 s[6:7], s[4:5], 3
	v_mov_b32_e32 v3, 0
	v_and_b32_e32 v8, 0x3ff, v0
	s_waitcnt lgkmcnt(0)
	s_add_u32 s10, s10, s6
	s_addc_u32 s11, s11, s7
	s_load_dwordx2 s[10:11], s[10:11], 0x0
	s_lshl_b32 s4, s2, 5
	s_lshl_b32 s12, s3, 5
	s_cmp_lt_i32 s17, 1
	v_cmp_eq_f32_e64 s[2:3], s19, 0
	s_cselect_b64 s[20:21], -1, 0
	s_or_b64 s[2:3], s[2:3], s[20:21]
	v_bfe_u32 v9, v0, 10, 10
	s_and_b64 vcc, exec, s[2:3]
	v_mov_b32_e32 v2, v3
	v_mov_b32_e32 v1, v3
	;; [unrolled: 1-line block ×3, first 2 shown]
	s_cbranch_vccnz .LBB292_10
; %bb.4:
	s_load_dword s13, s[0:1], 0x18
	s_load_dword s24, s[0:1], 0x30
	s_load_dwordx4 s[20:23], s[0:1], 0x20
	v_lshl_add_u32 v0, v9, 4, v8
	v_lshrrev_b32_e32 v11, 5, v0
	v_lshrrev_b32_e32 v1, 3, v0
	s_waitcnt lgkmcnt(0)
	s_ashr_i32 s25, s24, 31
	v_and_b32_e32 v0, 31, v0
	v_or_b32_e32 v3, s4, v0
	s_add_u32 s2, s22, s6
	v_and_b32_e32 v10, 7, v8
	s_addc_u32 s3, s23, s7
	v_cmp_gt_i32_e32 vcc, s16, v3
	v_lshlrev_b32_e32 v3, 2, v0
	s_load_dwordx2 s[22:23], s[2:3], 0x0
	s_add_u32 s2, s14, s6
	v_lshl_or_b32 v12, v11, 7, v3
	v_lshlrev_b32_e32 v3, 2, v10
	v_add_u32_e32 v2, s12, v1
	s_addc_u32 s3, s15, s7
	v_lshl_or_b32 v1, v1, 5, v3
	s_load_dwordx2 s[6:7], s[2:3], 0x0
	v_add_u32_e32 v13, 0x400, v1
	v_mov_b32_e32 v1, 0x400
	v_add_u32_e32 v0, s4, v0
	v_lshl_add_u32 v15, v9, 5, v1
	v_mad_i64_i32 v[0:1], s[14:15], s13, v0, 0
	s_lshl_b64 s[14:15], s[20:21], 2
	s_nop 0
	v_lshl_add_u64 v[4:5], v[0:1], 2, s[14:15]
	v_lshlrev_b32_e32 v0, 2, v11
	v_mov_b32_e32 v1, 0
	v_lshl_add_u64 v[4:5], v[4:5], 0, v[0:1]
	s_waitcnt lgkmcnt(0)
	v_lshl_add_u64 v[4:5], s[6:7], 0, v[4:5]
	v_mad_i64_i32 v[6:7], s[6:7], s24, v10, 0
	s_lshl_b64 s[6:7], s[8:9], 2
	v_ashrrev_i32_e32 v3, 31, v2
	v_lshl_add_u64 v[6:7], v[6:7], 2, s[6:7]
	v_cmp_gt_i32_e64 s[2:3], s16, v2
	v_lshl_add_u64 v[2:3], v[2:3], 2, v[6:7]
	v_lshlrev_b32_e32 v14, 2, v8
	v_lshl_add_u64 v[6:7], s[22:23], 0, v[2:3]
	s_lshl_b64 s[8:9], s[24:25], 5
	v_mov_b32_e32 v0, v1
	v_mov_b32_e32 v2, v1
	;; [unrolled: 1-line block ×3, first 2 shown]
	s_branch .LBB292_6
.LBB292_5:                              ;   in Loop: Header=BB292_6 Depth=1
	s_or_b64 exec, exec, s[6:7]
	s_waitcnt vmcnt(0) lgkmcnt(0)
	ds_write_b32 v13, v16
	s_waitcnt lgkmcnt(0)
	s_barrier
	ds_read_b128 v[16:19], v15
	ds_read_b128 v[20:23], v15 offset:16
	ds_read2_b32 v[32:33], v14 offset1:16
	ds_read2_b32 v[34:35], v14 offset0:32 offset1:48
	ds_read2_b32 v[36:37], v14 offset0:64 offset1:80
	;; [unrolled: 1-line block ×4, first 2 shown]
	ds_read_b128 v[24:27], v15 offset:512
	ds_read_b128 v[28:31], v15 offset:528
	ds_read2_b32 v[42:43], v14 offset0:160 offset1:176
	ds_read2_b32 v[44:45], v14 offset0:192 offset1:208
	;; [unrolled: 1-line block ×3, first 2 shown]
	s_waitcnt lgkmcnt(9)
	v_pk_fma_f32 v[2:3], v[32:33], v[16:17], v[2:3] op_sel_hi:[1,0,1]
	s_waitcnt lgkmcnt(4)
	v_pk_fma_f32 v[0:1], v[32:33], v[24:25], v[0:1] op_sel_hi:[1,0,1]
	v_pk_fma_f32 v[2:3], v[34:35], v[16:17], v[2:3] op_sel:[0,1,0]
	v_mov_b32_e32 v16, v19
	v_pk_fma_f32 v[2:3], v[36:37], v[18:19], v[2:3] op_sel_hi:[1,0,1]
	v_pk_fma_f32 v[0:1], v[34:35], v[24:25], v[0:1] op_sel:[0,1,0]
	v_pk_fma_f32 v[2:3], v[38:39], v[16:17], v[2:3] op_sel_hi:[1,0,1]
	v_mov_b32_e32 v16, v23
	v_pk_fma_f32 v[2:3], v[40:41], v[20:21], v[2:3] op_sel_hi:[1,0,1]
	v_pk_fma_f32 v[0:1], v[36:37], v[26:27], v[0:1] op_sel_hi:[1,0,1]
	s_waitcnt lgkmcnt(2)
	v_pk_fma_f32 v[2:3], v[42:43], v[20:21], v[2:3] op_sel:[0,1,0]
	s_add_i32 s5, s5, 8
	s_waitcnt lgkmcnt(1)
	v_pk_fma_f32 v[2:3], v[44:45], v[22:23], v[2:3] op_sel_hi:[1,0,1]
	v_lshl_add_u64 v[4:5], v[4:5], 0, 32
	s_waitcnt lgkmcnt(0)
	v_pk_fma_f32 v[2:3], v[46:47], v[16:17], v[2:3] op_sel_hi:[1,0,1]
	v_mov_b32_e32 v16, v27
	v_pk_fma_f32 v[0:1], v[38:39], v[16:17], v[0:1] op_sel_hi:[1,0,1]
	v_mov_b32_e32 v16, v31
	v_pk_fma_f32 v[0:1], v[40:41], v[28:29], v[0:1] op_sel_hi:[1,0,1]
	s_cmp_lt_i32 s5, s17
	v_pk_fma_f32 v[0:1], v[42:43], v[28:29], v[0:1] op_sel:[0,1,0]
	v_lshl_add_u64 v[6:7], v[6:7], 0, s[8:9]
	v_pk_fma_f32 v[0:1], v[44:45], v[30:31], v[0:1] op_sel_hi:[1,0,1]
	s_nop 0
	v_pk_fma_f32 v[0:1], v[46:47], v[16:17], v[0:1] op_sel_hi:[1,0,1]
	s_barrier
	s_cbranch_scc0 .LBB292_10
.LBB292_6:                              ; =>This Inner Loop Header: Depth=1
	v_add_u32_e32 v16, s5, v11
	v_cmp_gt_i32_e64 s[6:7], s17, v16
	s_and_b64 s[14:15], vcc, s[6:7]
	v_mov_b32_e32 v16, 0
	s_and_saveexec_b64 s[6:7], s[14:15]
	s_cbranch_execz .LBB292_8
; %bb.7:                                ;   in Loop: Header=BB292_6 Depth=1
	flat_load_dword v16, v[4:5]
.LBB292_8:                              ;   in Loop: Header=BB292_6 Depth=1
	s_or_b64 exec, exec, s[6:7]
	s_waitcnt vmcnt(0) lgkmcnt(0)
	ds_write_b32 v12, v16
	v_add_u32_e32 v16, s5, v10
	v_cmp_gt_i32_e64 s[6:7], s17, v16
	s_and_b64 s[14:15], s[6:7], s[2:3]
	v_mov_b32_e32 v16, 0
	s_and_saveexec_b64 s[6:7], s[14:15]
	s_cbranch_execz .LBB292_5
; %bb.9:                                ;   in Loop: Header=BB292_6 Depth=1
	flat_load_dword v16, v[6:7]
	s_branch .LBB292_5
.LBB292_10:
	s_load_dwordx2 s[6:7], s[0:1], 0x58
	s_load_dword s8, s[0:1], 0x50
	v_add_u32_e32 v4, s4, v8
	v_add_u32_e32 v10, s12, v9
	v_cmp_gt_i32_e64 s[2:3], s16, v10
	s_waitcnt lgkmcnt(0)
	s_lshl_b64 s[0:1], s[6:7], 2
	s_add_u32 s4, s10, s0
	s_addc_u32 s5, s11, s1
	v_mad_i64_i32 v[6:7], s[0:1], v10, s8, 0
	v_cmp_neq_f32_e64 s[0:1], s18, 0
	v_lshl_add_u64 v[8:9], v[6:7], 2, s[4:5]
	v_cmp_le_i32_e32 vcc, v4, v10
	v_cndmask_b32_e64 v6, 0, 1, s[0:1]
	s_and_b64 s[10:11], s[2:3], vcc
	v_ashrrev_i32_e32 v5, 31, v4
	v_cmp_ne_u32_e64 s[0:1], 1, v6
	s_and_saveexec_b64 s[6:7], s[10:11]
	s_cbranch_execz .LBB292_14
; %bb.11:
	v_mul_f32_e32 v2, s19, v2
	s_and_b64 vcc, exec, s[0:1]
	v_lshl_add_u64 v[6:7], v[4:5], 2, v[8:9]
	s_cbranch_vccnz .LBB292_13
; %bb.12:
	flat_load_dword v11, v[6:7]
	s_waitcnt vmcnt(0) lgkmcnt(0)
	v_fmac_f32_e32 v2, s18, v11
.LBB292_13:
	flat_store_dword v[6:7], v2
.LBB292_14:
	s_or_b64 exec, exec, s[6:7]
	v_add_u32_e32 v6, 16, v4
	v_cmp_le_i32_e32 vcc, v6, v10
	s_and_b64 s[6:7], s[2:3], vcc
	v_ashrrev_i32_e32 v7, 31, v6
	s_and_saveexec_b64 s[2:3], s[6:7]
	s_cbranch_execz .LBB292_18
; %bb.15:
	v_mul_f32_e32 v11, s19, v3
	s_and_b64 vcc, exec, s[0:1]
	v_lshl_add_u64 v[2:3], v[6:7], 2, v[8:9]
	s_cbranch_vccnz .LBB292_17
; %bb.16:
	flat_load_dword v8, v[2:3]
	s_waitcnt vmcnt(0) lgkmcnt(0)
	v_fmac_f32_e32 v11, s18, v8
.LBB292_17:
	flat_store_dword v[2:3], v11
.LBB292_18:
	s_or_b64 exec, exec, s[2:3]
	v_add_u32_e32 v8, 16, v10
	v_cmp_gt_i32_e64 s[2:3], s16, v8
	v_mad_i64_i32 v[2:3], s[6:7], v8, s8, 0
	v_cmp_le_i32_e32 vcc, v4, v8
	v_lshl_add_u64 v[2:3], v[2:3], 2, s[4:5]
	s_and_b64 s[6:7], s[2:3], vcc
	s_and_saveexec_b64 s[4:5], s[6:7]
	s_cbranch_execz .LBB292_22
; %bb.19:
	v_mul_f32_e32 v0, s19, v0
	s_and_b64 vcc, exec, s[0:1]
	v_lshl_add_u64 v[4:5], v[4:5], 2, v[2:3]
	s_cbranch_vccnz .LBB292_21
; %bb.20:
	flat_load_dword v9, v[4:5]
	s_waitcnt vmcnt(0) lgkmcnt(0)
	v_fmac_f32_e32 v0, s18, v9
.LBB292_21:
	flat_store_dword v[4:5], v0
.LBB292_22:
	s_or_b64 exec, exec, s[4:5]
	v_cmp_le_i32_e32 vcc, v6, v8
	s_and_b64 s[2:3], s[2:3], vcc
	s_and_saveexec_b64 s[4:5], s[2:3]
	s_cbranch_execz .LBB292_26
; %bb.23:
	v_mul_f32_e32 v4, s19, v1
	s_and_b64 vcc, exec, s[0:1]
	v_lshl_add_u64 v[0:1], v[6:7], 2, v[2:3]
	s_cbranch_vccnz .LBB292_25
; %bb.24:
	flat_load_dword v2, v[0:1]
	s_waitcnt vmcnt(0) lgkmcnt(0)
	v_fmac_f32_e32 v4, s18, v2
.LBB292_25:
	flat_store_dword v[0:1], v4
.LBB292_26:
	s_endpgm
	.section	.rodata,"a",@progbits
	.p2align	6, 0x0
	.amdhsa_kernel _ZL29rocblas_internal_gemmt_kernelIiLi16ELi32ELi8ELc84ELc84ELc85ELb0ELb0EfPKfPKS1_PKPfEviT_T9_T10_S7_lS9_S7_lS8_T11_S7_li
		.amdhsa_group_segment_fixed_size 2048
		.amdhsa_private_segment_fixed_size 0
		.amdhsa_kernarg_size 100
		.amdhsa_user_sgpr_count 2
		.amdhsa_user_sgpr_dispatch_ptr 0
		.amdhsa_user_sgpr_queue_ptr 0
		.amdhsa_user_sgpr_kernarg_segment_ptr 1
		.amdhsa_user_sgpr_dispatch_id 0
		.amdhsa_user_sgpr_kernarg_preload_length 0
		.amdhsa_user_sgpr_kernarg_preload_offset 0
		.amdhsa_user_sgpr_private_segment_size 0
		.amdhsa_uses_dynamic_stack 0
		.amdhsa_enable_private_segment 0
		.amdhsa_system_sgpr_workgroup_id_x 1
		.amdhsa_system_sgpr_workgroup_id_y 1
		.amdhsa_system_sgpr_workgroup_id_z 1
		.amdhsa_system_sgpr_workgroup_info 0
		.amdhsa_system_vgpr_workitem_id 1
		.amdhsa_next_free_vgpr 48
		.amdhsa_next_free_sgpr 26
		.amdhsa_accum_offset 48
		.amdhsa_reserve_vcc 1
		.amdhsa_float_round_mode_32 0
		.amdhsa_float_round_mode_16_64 0
		.amdhsa_float_denorm_mode_32 3
		.amdhsa_float_denorm_mode_16_64 3
		.amdhsa_dx10_clamp 1
		.amdhsa_ieee_mode 1
		.amdhsa_fp16_overflow 0
		.amdhsa_tg_split 0
		.amdhsa_exception_fp_ieee_invalid_op 0
		.amdhsa_exception_fp_denorm_src 0
		.amdhsa_exception_fp_ieee_div_zero 0
		.amdhsa_exception_fp_ieee_overflow 0
		.amdhsa_exception_fp_ieee_underflow 0
		.amdhsa_exception_fp_ieee_inexact 0
		.amdhsa_exception_int_div_zero 0
	.end_amdhsa_kernel
	.section	.text._ZL29rocblas_internal_gemmt_kernelIiLi16ELi32ELi8ELc84ELc84ELc85ELb0ELb0EfPKfPKS1_PKPfEviT_T9_T10_S7_lS9_S7_lS8_T11_S7_li,"axG",@progbits,_ZL29rocblas_internal_gemmt_kernelIiLi16ELi32ELi8ELc84ELc84ELc85ELb0ELb0EfPKfPKS1_PKPfEviT_T9_T10_S7_lS9_S7_lS8_T11_S7_li,comdat
.Lfunc_end292:
	.size	_ZL29rocblas_internal_gemmt_kernelIiLi16ELi32ELi8ELc84ELc84ELc85ELb0ELb0EfPKfPKS1_PKPfEviT_T9_T10_S7_lS9_S7_lS8_T11_S7_li, .Lfunc_end292-_ZL29rocblas_internal_gemmt_kernelIiLi16ELi32ELi8ELc84ELc84ELc85ELb0ELb0EfPKfPKS1_PKPfEviT_T9_T10_S7_lS9_S7_lS8_T11_S7_li
                                        ; -- End function
	.set _ZL29rocblas_internal_gemmt_kernelIiLi16ELi32ELi8ELc84ELc84ELc85ELb0ELb0EfPKfPKS1_PKPfEviT_T9_T10_S7_lS9_S7_lS8_T11_S7_li.num_vgpr, 48
	.set _ZL29rocblas_internal_gemmt_kernelIiLi16ELi32ELi8ELc84ELc84ELc85ELb0ELb0EfPKfPKS1_PKPfEviT_T9_T10_S7_lS9_S7_lS8_T11_S7_li.num_agpr, 0
	.set _ZL29rocblas_internal_gemmt_kernelIiLi16ELi32ELi8ELc84ELc84ELc85ELb0ELb0EfPKfPKS1_PKPfEviT_T9_T10_S7_lS9_S7_lS8_T11_S7_li.numbered_sgpr, 26
	.set _ZL29rocblas_internal_gemmt_kernelIiLi16ELi32ELi8ELc84ELc84ELc85ELb0ELb0EfPKfPKS1_PKPfEviT_T9_T10_S7_lS9_S7_lS8_T11_S7_li.num_named_barrier, 0
	.set _ZL29rocblas_internal_gemmt_kernelIiLi16ELi32ELi8ELc84ELc84ELc85ELb0ELb0EfPKfPKS1_PKPfEviT_T9_T10_S7_lS9_S7_lS8_T11_S7_li.private_seg_size, 0
	.set _ZL29rocblas_internal_gemmt_kernelIiLi16ELi32ELi8ELc84ELc84ELc85ELb0ELb0EfPKfPKS1_PKPfEviT_T9_T10_S7_lS9_S7_lS8_T11_S7_li.uses_vcc, 1
	.set _ZL29rocblas_internal_gemmt_kernelIiLi16ELi32ELi8ELc84ELc84ELc85ELb0ELb0EfPKfPKS1_PKPfEviT_T9_T10_S7_lS9_S7_lS8_T11_S7_li.uses_flat_scratch, 0
	.set _ZL29rocblas_internal_gemmt_kernelIiLi16ELi32ELi8ELc84ELc84ELc85ELb0ELb0EfPKfPKS1_PKPfEviT_T9_T10_S7_lS9_S7_lS8_T11_S7_li.has_dyn_sized_stack, 0
	.set _ZL29rocblas_internal_gemmt_kernelIiLi16ELi32ELi8ELc84ELc84ELc85ELb0ELb0EfPKfPKS1_PKPfEviT_T9_T10_S7_lS9_S7_lS8_T11_S7_li.has_recursion, 0
	.set _ZL29rocblas_internal_gemmt_kernelIiLi16ELi32ELi8ELc84ELc84ELc85ELb0ELb0EfPKfPKS1_PKPfEviT_T9_T10_S7_lS9_S7_lS8_T11_S7_li.has_indirect_call, 0
	.section	.AMDGPU.csdata,"",@progbits
; Kernel info:
; codeLenInByte = 1268
; TotalNumSgprs: 32
; NumVgprs: 48
; NumAgprs: 0
; TotalNumVgprs: 48
; ScratchSize: 0
; MemoryBound: 0
; FloatMode: 240
; IeeeMode: 1
; LDSByteSize: 2048 bytes/workgroup (compile time only)
; SGPRBlocks: 3
; VGPRBlocks: 5
; NumSGPRsForWavesPerEU: 32
; NumVGPRsForWavesPerEU: 48
; AccumOffset: 48
; Occupancy: 8
; WaveLimiterHint : 1
; COMPUTE_PGM_RSRC2:SCRATCH_EN: 0
; COMPUTE_PGM_RSRC2:USER_SGPR: 2
; COMPUTE_PGM_RSRC2:TRAP_HANDLER: 0
; COMPUTE_PGM_RSRC2:TGID_X_EN: 1
; COMPUTE_PGM_RSRC2:TGID_Y_EN: 1
; COMPUTE_PGM_RSRC2:TGID_Z_EN: 1
; COMPUTE_PGM_RSRC2:TIDIG_COMP_CNT: 1
; COMPUTE_PGM_RSRC3_GFX90A:ACCUM_OFFSET: 11
; COMPUTE_PGM_RSRC3_GFX90A:TG_SPLIT: 0
	.section	.text._ZL29rocblas_internal_gemmt_kernelIiLi16ELi32ELi8ELc84ELc67ELc85ELb0ELb0EfPKfPKS1_PKPfEviT_T9_T10_S7_lS9_S7_lS8_T11_S7_li,"axG",@progbits,_ZL29rocblas_internal_gemmt_kernelIiLi16ELi32ELi8ELc84ELc67ELc85ELb0ELb0EfPKfPKS1_PKPfEviT_T9_T10_S7_lS9_S7_lS8_T11_S7_li,comdat
	.globl	_ZL29rocblas_internal_gemmt_kernelIiLi16ELi32ELi8ELc84ELc67ELc85ELb0ELb0EfPKfPKS1_PKPfEviT_T9_T10_S7_lS9_S7_lS8_T11_S7_li ; -- Begin function _ZL29rocblas_internal_gemmt_kernelIiLi16ELi32ELi8ELc84ELc67ELc85ELb0ELb0EfPKfPKS1_PKPfEviT_T9_T10_S7_lS9_S7_lS8_T11_S7_li
	.p2align	8
	.type	_ZL29rocblas_internal_gemmt_kernelIiLi16ELi32ELi8ELc84ELc67ELc85ELb0ELb0EfPKfPKS1_PKPfEviT_T9_T10_S7_lS9_S7_lS8_T11_S7_li,@function
_ZL29rocblas_internal_gemmt_kernelIiLi16ELi32ELi8ELc84ELc67ELc85ELb0ELb0EfPKfPKS1_PKPfEviT_T9_T10_S7_lS9_S7_lS8_T11_S7_li: ; @_ZL29rocblas_internal_gemmt_kernelIiLi16ELi32ELi8ELc84ELc67ELc85ELb0ELb0EfPKfPKS1_PKPfEviT_T9_T10_S7_lS9_S7_lS8_T11_S7_li
; %bb.0:
	s_load_dwordx4 s[8:11], s[0:1], 0x38
	s_load_dwordx4 s[12:15], s[0:1], 0x8
	s_waitcnt lgkmcnt(0)
	s_load_dword s18, s[10:11], 0x0
	s_load_dwordx2 s[16:17], s[0:1], 0x0
	s_load_dword s19, s[12:13], 0x0
	s_waitcnt lgkmcnt(0)
	v_cmp_neq_f32_e64 s[6:7], s18, 1.0
	s_and_b64 vcc, exec, s[6:7]
	s_cbranch_vccnz .LBB293_2
; %bb.1:
	s_cmp_lg_u32 s17, 0
	s_cselect_b64 s[6:7], -1, 0
	v_cmp_neq_f32_e64 s[10:11], s19, 0
	s_and_b64 s[6:7], s[6:7], s[10:11]
.LBB293_2:
	s_andn2_b64 vcc, exec, s[6:7]
	s_cbranch_vccnz .LBB293_26
; %bb.3:
	s_load_dwordx2 s[10:11], s[0:1], 0x48
	s_mov_b32 s5, 0
	s_lshl_b64 s[6:7], s[4:5], 3
	v_mov_b32_e32 v3, 0
	v_and_b32_e32 v8, 0x3ff, v0
	s_waitcnt lgkmcnt(0)
	s_add_u32 s10, s10, s6
	s_addc_u32 s11, s11, s7
	s_load_dwordx2 s[10:11], s[10:11], 0x0
	s_lshl_b32 s4, s2, 5
	s_lshl_b32 s12, s3, 5
	s_cmp_lt_i32 s17, 1
	v_cmp_eq_f32_e64 s[2:3], s19, 0
	s_cselect_b64 s[20:21], -1, 0
	s_or_b64 s[2:3], s[2:3], s[20:21]
	v_bfe_u32 v9, v0, 10, 10
	s_and_b64 vcc, exec, s[2:3]
	v_mov_b32_e32 v2, v3
	v_mov_b32_e32 v1, v3
	v_mov_b32_e32 v0, v3
	s_cbranch_vccnz .LBB293_10
; %bb.4:
	s_load_dword s13, s[0:1], 0x18
	s_load_dword s24, s[0:1], 0x30
	s_load_dwordx4 s[20:23], s[0:1], 0x20
	v_lshl_add_u32 v0, v9, 4, v8
	v_lshrrev_b32_e32 v11, 5, v0
	v_lshrrev_b32_e32 v1, 3, v0
	s_waitcnt lgkmcnt(0)
	s_ashr_i32 s25, s24, 31
	v_and_b32_e32 v0, 31, v0
	v_or_b32_e32 v3, s4, v0
	s_add_u32 s2, s22, s6
	v_and_b32_e32 v10, 7, v8
	s_addc_u32 s3, s23, s7
	v_cmp_gt_i32_e32 vcc, s16, v3
	v_lshlrev_b32_e32 v3, 2, v0
	s_load_dwordx2 s[22:23], s[2:3], 0x0
	s_add_u32 s2, s14, s6
	v_lshl_or_b32 v12, v11, 7, v3
	v_lshlrev_b32_e32 v3, 2, v10
	v_add_u32_e32 v2, s12, v1
	s_addc_u32 s3, s15, s7
	v_lshl_or_b32 v1, v1, 5, v3
	s_load_dwordx2 s[6:7], s[2:3], 0x0
	v_add_u32_e32 v13, 0x400, v1
	v_mov_b32_e32 v1, 0x400
	v_add_u32_e32 v0, s4, v0
	v_lshl_add_u32 v15, v9, 5, v1
	v_mad_i64_i32 v[0:1], s[14:15], s13, v0, 0
	s_lshl_b64 s[14:15], s[20:21], 2
	s_nop 0
	v_lshl_add_u64 v[4:5], v[0:1], 2, s[14:15]
	v_lshlrev_b32_e32 v0, 2, v11
	v_mov_b32_e32 v1, 0
	v_lshl_add_u64 v[4:5], v[4:5], 0, v[0:1]
	s_waitcnt lgkmcnt(0)
	v_lshl_add_u64 v[4:5], s[6:7], 0, v[4:5]
	v_mad_i64_i32 v[6:7], s[6:7], s24, v10, 0
	s_lshl_b64 s[6:7], s[8:9], 2
	v_ashrrev_i32_e32 v3, 31, v2
	v_lshl_add_u64 v[6:7], v[6:7], 2, s[6:7]
	v_cmp_gt_i32_e64 s[2:3], s16, v2
	v_lshl_add_u64 v[2:3], v[2:3], 2, v[6:7]
	v_lshlrev_b32_e32 v14, 2, v8
	v_lshl_add_u64 v[6:7], s[22:23], 0, v[2:3]
	s_lshl_b64 s[8:9], s[24:25], 5
	v_mov_b32_e32 v0, v1
	v_mov_b32_e32 v2, v1
	;; [unrolled: 1-line block ×3, first 2 shown]
	s_branch .LBB293_6
.LBB293_5:                              ;   in Loop: Header=BB293_6 Depth=1
	s_or_b64 exec, exec, s[6:7]
	s_waitcnt vmcnt(0) lgkmcnt(0)
	ds_write_b32 v13, v16
	s_waitcnt lgkmcnt(0)
	s_barrier
	ds_read_b128 v[16:19], v15
	ds_read_b128 v[20:23], v15 offset:16
	ds_read2_b32 v[32:33], v14 offset1:16
	ds_read2_b32 v[34:35], v14 offset0:32 offset1:48
	ds_read2_b32 v[36:37], v14 offset0:64 offset1:80
	;; [unrolled: 1-line block ×4, first 2 shown]
	ds_read_b128 v[24:27], v15 offset:512
	ds_read_b128 v[28:31], v15 offset:528
	ds_read2_b32 v[42:43], v14 offset0:160 offset1:176
	ds_read2_b32 v[44:45], v14 offset0:192 offset1:208
	;; [unrolled: 1-line block ×3, first 2 shown]
	s_waitcnt lgkmcnt(9)
	v_pk_fma_f32 v[2:3], v[32:33], v[16:17], v[2:3] op_sel_hi:[1,0,1]
	s_waitcnt lgkmcnt(4)
	v_pk_fma_f32 v[0:1], v[32:33], v[24:25], v[0:1] op_sel_hi:[1,0,1]
	v_pk_fma_f32 v[2:3], v[34:35], v[16:17], v[2:3] op_sel:[0,1,0]
	v_mov_b32_e32 v16, v19
	v_pk_fma_f32 v[2:3], v[36:37], v[18:19], v[2:3] op_sel_hi:[1,0,1]
	v_pk_fma_f32 v[0:1], v[34:35], v[24:25], v[0:1] op_sel:[0,1,0]
	v_pk_fma_f32 v[2:3], v[38:39], v[16:17], v[2:3] op_sel_hi:[1,0,1]
	v_mov_b32_e32 v16, v23
	v_pk_fma_f32 v[2:3], v[40:41], v[20:21], v[2:3] op_sel_hi:[1,0,1]
	v_pk_fma_f32 v[0:1], v[36:37], v[26:27], v[0:1] op_sel_hi:[1,0,1]
	s_waitcnt lgkmcnt(2)
	v_pk_fma_f32 v[2:3], v[42:43], v[20:21], v[2:3] op_sel:[0,1,0]
	s_add_i32 s5, s5, 8
	s_waitcnt lgkmcnt(1)
	v_pk_fma_f32 v[2:3], v[44:45], v[22:23], v[2:3] op_sel_hi:[1,0,1]
	v_lshl_add_u64 v[4:5], v[4:5], 0, 32
	s_waitcnt lgkmcnt(0)
	v_pk_fma_f32 v[2:3], v[46:47], v[16:17], v[2:3] op_sel_hi:[1,0,1]
	v_mov_b32_e32 v16, v27
	v_pk_fma_f32 v[0:1], v[38:39], v[16:17], v[0:1] op_sel_hi:[1,0,1]
	v_mov_b32_e32 v16, v31
	v_pk_fma_f32 v[0:1], v[40:41], v[28:29], v[0:1] op_sel_hi:[1,0,1]
	s_cmp_lt_i32 s5, s17
	v_pk_fma_f32 v[0:1], v[42:43], v[28:29], v[0:1] op_sel:[0,1,0]
	v_lshl_add_u64 v[6:7], v[6:7], 0, s[8:9]
	v_pk_fma_f32 v[0:1], v[44:45], v[30:31], v[0:1] op_sel_hi:[1,0,1]
	s_nop 0
	v_pk_fma_f32 v[0:1], v[46:47], v[16:17], v[0:1] op_sel_hi:[1,0,1]
	s_barrier
	s_cbranch_scc0 .LBB293_10
.LBB293_6:                              ; =>This Inner Loop Header: Depth=1
	v_add_u32_e32 v16, s5, v11
	v_cmp_gt_i32_e64 s[6:7], s17, v16
	s_and_b64 s[14:15], vcc, s[6:7]
	v_mov_b32_e32 v16, 0
	s_and_saveexec_b64 s[6:7], s[14:15]
	s_cbranch_execz .LBB293_8
; %bb.7:                                ;   in Loop: Header=BB293_6 Depth=1
	flat_load_dword v16, v[4:5]
.LBB293_8:                              ;   in Loop: Header=BB293_6 Depth=1
	s_or_b64 exec, exec, s[6:7]
	s_waitcnt vmcnt(0) lgkmcnt(0)
	ds_write_b32 v12, v16
	v_add_u32_e32 v16, s5, v10
	v_cmp_gt_i32_e64 s[6:7], s17, v16
	s_and_b64 s[14:15], s[6:7], s[2:3]
	v_mov_b32_e32 v16, 0
	s_and_saveexec_b64 s[6:7], s[14:15]
	s_cbranch_execz .LBB293_5
; %bb.9:                                ;   in Loop: Header=BB293_6 Depth=1
	flat_load_dword v16, v[6:7]
	s_branch .LBB293_5
.LBB293_10:
	s_load_dwordx2 s[6:7], s[0:1], 0x58
	s_load_dword s8, s[0:1], 0x50
	v_add_u32_e32 v4, s4, v8
	v_add_u32_e32 v10, s12, v9
	v_cmp_gt_i32_e64 s[2:3], s16, v10
	s_waitcnt lgkmcnt(0)
	s_lshl_b64 s[0:1], s[6:7], 2
	s_add_u32 s4, s10, s0
	s_addc_u32 s5, s11, s1
	v_mad_i64_i32 v[6:7], s[0:1], v10, s8, 0
	v_cmp_neq_f32_e64 s[0:1], s18, 0
	v_lshl_add_u64 v[8:9], v[6:7], 2, s[4:5]
	v_cmp_le_i32_e32 vcc, v4, v10
	v_cndmask_b32_e64 v6, 0, 1, s[0:1]
	s_and_b64 s[10:11], s[2:3], vcc
	v_ashrrev_i32_e32 v5, 31, v4
	v_cmp_ne_u32_e64 s[0:1], 1, v6
	s_and_saveexec_b64 s[6:7], s[10:11]
	s_cbranch_execz .LBB293_14
; %bb.11:
	v_mul_f32_e32 v2, s19, v2
	s_and_b64 vcc, exec, s[0:1]
	v_lshl_add_u64 v[6:7], v[4:5], 2, v[8:9]
	s_cbranch_vccnz .LBB293_13
; %bb.12:
	flat_load_dword v11, v[6:7]
	s_waitcnt vmcnt(0) lgkmcnt(0)
	v_fmac_f32_e32 v2, s18, v11
.LBB293_13:
	flat_store_dword v[6:7], v2
.LBB293_14:
	s_or_b64 exec, exec, s[6:7]
	v_add_u32_e32 v6, 16, v4
	v_cmp_le_i32_e32 vcc, v6, v10
	s_and_b64 s[6:7], s[2:3], vcc
	v_ashrrev_i32_e32 v7, 31, v6
	s_and_saveexec_b64 s[2:3], s[6:7]
	s_cbranch_execz .LBB293_18
; %bb.15:
	v_mul_f32_e32 v11, s19, v3
	s_and_b64 vcc, exec, s[0:1]
	v_lshl_add_u64 v[2:3], v[6:7], 2, v[8:9]
	s_cbranch_vccnz .LBB293_17
; %bb.16:
	flat_load_dword v8, v[2:3]
	s_waitcnt vmcnt(0) lgkmcnt(0)
	v_fmac_f32_e32 v11, s18, v8
.LBB293_17:
	flat_store_dword v[2:3], v11
.LBB293_18:
	s_or_b64 exec, exec, s[2:3]
	v_add_u32_e32 v8, 16, v10
	v_cmp_gt_i32_e64 s[2:3], s16, v8
	v_mad_i64_i32 v[2:3], s[6:7], v8, s8, 0
	v_cmp_le_i32_e32 vcc, v4, v8
	v_lshl_add_u64 v[2:3], v[2:3], 2, s[4:5]
	s_and_b64 s[6:7], s[2:3], vcc
	s_and_saveexec_b64 s[4:5], s[6:7]
	s_cbranch_execz .LBB293_22
; %bb.19:
	v_mul_f32_e32 v0, s19, v0
	s_and_b64 vcc, exec, s[0:1]
	v_lshl_add_u64 v[4:5], v[4:5], 2, v[2:3]
	s_cbranch_vccnz .LBB293_21
; %bb.20:
	flat_load_dword v9, v[4:5]
	s_waitcnt vmcnt(0) lgkmcnt(0)
	v_fmac_f32_e32 v0, s18, v9
.LBB293_21:
	flat_store_dword v[4:5], v0
.LBB293_22:
	s_or_b64 exec, exec, s[4:5]
	v_cmp_le_i32_e32 vcc, v6, v8
	s_and_b64 s[2:3], s[2:3], vcc
	s_and_saveexec_b64 s[4:5], s[2:3]
	s_cbranch_execz .LBB293_26
; %bb.23:
	v_mul_f32_e32 v4, s19, v1
	s_and_b64 vcc, exec, s[0:1]
	v_lshl_add_u64 v[0:1], v[6:7], 2, v[2:3]
	s_cbranch_vccnz .LBB293_25
; %bb.24:
	flat_load_dword v2, v[0:1]
	s_waitcnt vmcnt(0) lgkmcnt(0)
	v_fmac_f32_e32 v4, s18, v2
.LBB293_25:
	flat_store_dword v[0:1], v4
.LBB293_26:
	s_endpgm
	.section	.rodata,"a",@progbits
	.p2align	6, 0x0
	.amdhsa_kernel _ZL29rocblas_internal_gemmt_kernelIiLi16ELi32ELi8ELc84ELc67ELc85ELb0ELb0EfPKfPKS1_PKPfEviT_T9_T10_S7_lS9_S7_lS8_T11_S7_li
		.amdhsa_group_segment_fixed_size 2048
		.amdhsa_private_segment_fixed_size 0
		.amdhsa_kernarg_size 100
		.amdhsa_user_sgpr_count 2
		.amdhsa_user_sgpr_dispatch_ptr 0
		.amdhsa_user_sgpr_queue_ptr 0
		.amdhsa_user_sgpr_kernarg_segment_ptr 1
		.amdhsa_user_sgpr_dispatch_id 0
		.amdhsa_user_sgpr_kernarg_preload_length 0
		.amdhsa_user_sgpr_kernarg_preload_offset 0
		.amdhsa_user_sgpr_private_segment_size 0
		.amdhsa_uses_dynamic_stack 0
		.amdhsa_enable_private_segment 0
		.amdhsa_system_sgpr_workgroup_id_x 1
		.amdhsa_system_sgpr_workgroup_id_y 1
		.amdhsa_system_sgpr_workgroup_id_z 1
		.amdhsa_system_sgpr_workgroup_info 0
		.amdhsa_system_vgpr_workitem_id 1
		.amdhsa_next_free_vgpr 48
		.amdhsa_next_free_sgpr 26
		.amdhsa_accum_offset 48
		.amdhsa_reserve_vcc 1
		.amdhsa_float_round_mode_32 0
		.amdhsa_float_round_mode_16_64 0
		.amdhsa_float_denorm_mode_32 3
		.amdhsa_float_denorm_mode_16_64 3
		.amdhsa_dx10_clamp 1
		.amdhsa_ieee_mode 1
		.amdhsa_fp16_overflow 0
		.amdhsa_tg_split 0
		.amdhsa_exception_fp_ieee_invalid_op 0
		.amdhsa_exception_fp_denorm_src 0
		.amdhsa_exception_fp_ieee_div_zero 0
		.amdhsa_exception_fp_ieee_overflow 0
		.amdhsa_exception_fp_ieee_underflow 0
		.amdhsa_exception_fp_ieee_inexact 0
		.amdhsa_exception_int_div_zero 0
	.end_amdhsa_kernel
	.section	.text._ZL29rocblas_internal_gemmt_kernelIiLi16ELi32ELi8ELc84ELc67ELc85ELb0ELb0EfPKfPKS1_PKPfEviT_T9_T10_S7_lS9_S7_lS8_T11_S7_li,"axG",@progbits,_ZL29rocblas_internal_gemmt_kernelIiLi16ELi32ELi8ELc84ELc67ELc85ELb0ELb0EfPKfPKS1_PKPfEviT_T9_T10_S7_lS9_S7_lS8_T11_S7_li,comdat
.Lfunc_end293:
	.size	_ZL29rocblas_internal_gemmt_kernelIiLi16ELi32ELi8ELc84ELc67ELc85ELb0ELb0EfPKfPKS1_PKPfEviT_T9_T10_S7_lS9_S7_lS8_T11_S7_li, .Lfunc_end293-_ZL29rocblas_internal_gemmt_kernelIiLi16ELi32ELi8ELc84ELc67ELc85ELb0ELb0EfPKfPKS1_PKPfEviT_T9_T10_S7_lS9_S7_lS8_T11_S7_li
                                        ; -- End function
	.set _ZL29rocblas_internal_gemmt_kernelIiLi16ELi32ELi8ELc84ELc67ELc85ELb0ELb0EfPKfPKS1_PKPfEviT_T9_T10_S7_lS9_S7_lS8_T11_S7_li.num_vgpr, 48
	.set _ZL29rocblas_internal_gemmt_kernelIiLi16ELi32ELi8ELc84ELc67ELc85ELb0ELb0EfPKfPKS1_PKPfEviT_T9_T10_S7_lS9_S7_lS8_T11_S7_li.num_agpr, 0
	.set _ZL29rocblas_internal_gemmt_kernelIiLi16ELi32ELi8ELc84ELc67ELc85ELb0ELb0EfPKfPKS1_PKPfEviT_T9_T10_S7_lS9_S7_lS8_T11_S7_li.numbered_sgpr, 26
	.set _ZL29rocblas_internal_gemmt_kernelIiLi16ELi32ELi8ELc84ELc67ELc85ELb0ELb0EfPKfPKS1_PKPfEviT_T9_T10_S7_lS9_S7_lS8_T11_S7_li.num_named_barrier, 0
	.set _ZL29rocblas_internal_gemmt_kernelIiLi16ELi32ELi8ELc84ELc67ELc85ELb0ELb0EfPKfPKS1_PKPfEviT_T9_T10_S7_lS9_S7_lS8_T11_S7_li.private_seg_size, 0
	.set _ZL29rocblas_internal_gemmt_kernelIiLi16ELi32ELi8ELc84ELc67ELc85ELb0ELb0EfPKfPKS1_PKPfEviT_T9_T10_S7_lS9_S7_lS8_T11_S7_li.uses_vcc, 1
	.set _ZL29rocblas_internal_gemmt_kernelIiLi16ELi32ELi8ELc84ELc67ELc85ELb0ELb0EfPKfPKS1_PKPfEviT_T9_T10_S7_lS9_S7_lS8_T11_S7_li.uses_flat_scratch, 0
	.set _ZL29rocblas_internal_gemmt_kernelIiLi16ELi32ELi8ELc84ELc67ELc85ELb0ELb0EfPKfPKS1_PKPfEviT_T9_T10_S7_lS9_S7_lS8_T11_S7_li.has_dyn_sized_stack, 0
	.set _ZL29rocblas_internal_gemmt_kernelIiLi16ELi32ELi8ELc84ELc67ELc85ELb0ELb0EfPKfPKS1_PKPfEviT_T9_T10_S7_lS9_S7_lS8_T11_S7_li.has_recursion, 0
	.set _ZL29rocblas_internal_gemmt_kernelIiLi16ELi32ELi8ELc84ELc67ELc85ELb0ELb0EfPKfPKS1_PKPfEviT_T9_T10_S7_lS9_S7_lS8_T11_S7_li.has_indirect_call, 0
	.section	.AMDGPU.csdata,"",@progbits
; Kernel info:
; codeLenInByte = 1268
; TotalNumSgprs: 32
; NumVgprs: 48
; NumAgprs: 0
; TotalNumVgprs: 48
; ScratchSize: 0
; MemoryBound: 0
; FloatMode: 240
; IeeeMode: 1
; LDSByteSize: 2048 bytes/workgroup (compile time only)
; SGPRBlocks: 3
; VGPRBlocks: 5
; NumSGPRsForWavesPerEU: 32
; NumVGPRsForWavesPerEU: 48
; AccumOffset: 48
; Occupancy: 8
; WaveLimiterHint : 1
; COMPUTE_PGM_RSRC2:SCRATCH_EN: 0
; COMPUTE_PGM_RSRC2:USER_SGPR: 2
; COMPUTE_PGM_RSRC2:TRAP_HANDLER: 0
; COMPUTE_PGM_RSRC2:TGID_X_EN: 1
; COMPUTE_PGM_RSRC2:TGID_Y_EN: 1
; COMPUTE_PGM_RSRC2:TGID_Z_EN: 1
; COMPUTE_PGM_RSRC2:TIDIG_COMP_CNT: 1
; COMPUTE_PGM_RSRC3_GFX90A:ACCUM_OFFSET: 11
; COMPUTE_PGM_RSRC3_GFX90A:TG_SPLIT: 0
	.section	.text._ZL29rocblas_internal_gemmt_kernelIiLi16ELi32ELi8ELc67ELc78ELc85ELb0ELb0EfPKfPKS1_PKPfEviT_T9_T10_S7_lS9_S7_lS8_T11_S7_li,"axG",@progbits,_ZL29rocblas_internal_gemmt_kernelIiLi16ELi32ELi8ELc67ELc78ELc85ELb0ELb0EfPKfPKS1_PKPfEviT_T9_T10_S7_lS9_S7_lS8_T11_S7_li,comdat
	.globl	_ZL29rocblas_internal_gemmt_kernelIiLi16ELi32ELi8ELc67ELc78ELc85ELb0ELb0EfPKfPKS1_PKPfEviT_T9_T10_S7_lS9_S7_lS8_T11_S7_li ; -- Begin function _ZL29rocblas_internal_gemmt_kernelIiLi16ELi32ELi8ELc67ELc78ELc85ELb0ELb0EfPKfPKS1_PKPfEviT_T9_T10_S7_lS9_S7_lS8_T11_S7_li
	.p2align	8
	.type	_ZL29rocblas_internal_gemmt_kernelIiLi16ELi32ELi8ELc67ELc78ELc85ELb0ELb0EfPKfPKS1_PKPfEviT_T9_T10_S7_lS9_S7_lS8_T11_S7_li,@function
_ZL29rocblas_internal_gemmt_kernelIiLi16ELi32ELi8ELc67ELc78ELc85ELb0ELb0EfPKfPKS1_PKPfEviT_T9_T10_S7_lS9_S7_lS8_T11_S7_li: ; @_ZL29rocblas_internal_gemmt_kernelIiLi16ELi32ELi8ELc67ELc78ELc85ELb0ELb0EfPKfPKS1_PKPfEviT_T9_T10_S7_lS9_S7_lS8_T11_S7_li
; %bb.0:
	s_load_dwordx4 s[8:11], s[0:1], 0x38
	s_load_dwordx4 s[12:15], s[0:1], 0x8
	s_waitcnt lgkmcnt(0)
	s_load_dword s18, s[10:11], 0x0
	s_load_dwordx2 s[16:17], s[0:1], 0x0
	s_load_dword s19, s[12:13], 0x0
	s_waitcnt lgkmcnt(0)
	v_cmp_neq_f32_e64 s[6:7], s18, 1.0
	s_and_b64 vcc, exec, s[6:7]
	s_cbranch_vccnz .LBB294_2
; %bb.1:
	s_cmp_lg_u32 s17, 0
	s_cselect_b64 s[6:7], -1, 0
	v_cmp_neq_f32_e64 s[10:11], s19, 0
	s_and_b64 s[6:7], s[6:7], s[10:11]
.LBB294_2:
	s_andn2_b64 vcc, exec, s[6:7]
	s_cbranch_vccnz .LBB294_26
; %bb.3:
	s_load_dwordx2 s[10:11], s[0:1], 0x48
	s_mov_b32 s5, 0
	s_lshl_b64 s[6:7], s[4:5], 3
	v_mov_b32_e32 v3, 0
	v_and_b32_e32 v8, 0x3ff, v0
	s_waitcnt lgkmcnt(0)
	s_add_u32 s10, s10, s6
	s_addc_u32 s11, s11, s7
	s_load_dwordx2 s[10:11], s[10:11], 0x0
	s_lshl_b32 s4, s2, 5
	s_lshl_b32 s12, s3, 5
	s_cmp_lt_i32 s17, 1
	v_cmp_eq_f32_e64 s[2:3], s19, 0
	s_cselect_b64 s[20:21], -1, 0
	s_or_b64 s[2:3], s[2:3], s[20:21]
	v_bfe_u32 v9, v0, 10, 10
	s_and_b64 vcc, exec, s[2:3]
	v_mov_b32_e32 v2, v3
	v_mov_b32_e32 v1, v3
	;; [unrolled: 1-line block ×3, first 2 shown]
	s_cbranch_vccnz .LBB294_10
; %bb.4:
	s_load_dword s13, s[0:1], 0x18
	s_load_dwordx4 s[20:23], s[0:1], 0x20
	s_load_dword s24, s[0:1], 0x30
	v_lshl_add_u32 v0, v9, 4, v8
	v_lshrrev_b32_e32 v11, 5, v0
	v_lshrrev_b32_e32 v1, 3, v0
	v_and_b32_e32 v0, 31, v0
	v_or_b32_e32 v2, s4, v0
	s_waitcnt lgkmcnt(0)
	s_add_u32 s2, s22, s6
	v_and_b32_e32 v10, 7, v8
	s_addc_u32 s3, s23, s7
	v_cmp_gt_i32_e32 vcc, s16, v2
	v_lshlrev_b32_e32 v2, 2, v0
	s_load_dwordx2 s[22:23], s[2:3], 0x0
	s_add_u32 s2, s14, s6
	v_lshl_or_b32 v12, v11, 7, v2
	v_lshlrev_b32_e32 v2, 2, v10
	v_add_u32_e32 v3, s12, v1
	s_addc_u32 s3, s15, s7
	v_lshl_or_b32 v1, v1, 5, v2
	s_load_dwordx2 s[6:7], s[2:3], 0x0
	v_add_u32_e32 v13, 0x400, v1
	v_mov_b32_e32 v1, 0x400
	v_add_u32_e32 v0, s4, v0
	v_lshl_add_u32 v15, v9, 5, v1
	v_mad_i64_i32 v[0:1], s[14:15], s13, v0, 0
	s_lshl_b64 s[14:15], s[20:21], 2
	s_nop 0
	v_lshl_add_u64 v[4:5], v[0:1], 2, s[14:15]
	v_lshlrev_b32_e32 v0, 2, v11
	v_mov_b32_e32 v1, 0
	v_lshl_add_u64 v[4:5], v[4:5], 0, v[0:1]
	s_waitcnt lgkmcnt(0)
	v_lshl_add_u64 v[4:5], s[6:7], 0, v[4:5]
	v_mad_i64_i32 v[6:7], s[6:7], s24, v3, 0
	s_lshl_b64 s[6:7], s[8:9], 2
	v_cmp_gt_i32_e64 s[2:3], s16, v3
	v_lshl_add_u64 v[6:7], v[6:7], 2, s[6:7]
	v_mov_b32_e32 v3, v1
	v_lshl_add_u64 v[2:3], v[6:7], 0, v[2:3]
	v_lshlrev_b32_e32 v14, 2, v8
	v_lshl_add_u64 v[6:7], s[22:23], 0, v[2:3]
	v_mov_b32_e32 v0, v1
	v_mov_b32_e32 v2, v1
	;; [unrolled: 1-line block ×3, first 2 shown]
	s_branch .LBB294_6
.LBB294_5:                              ;   in Loop: Header=BB294_6 Depth=1
	s_or_b64 exec, exec, s[6:7]
	s_waitcnt vmcnt(0) lgkmcnt(0)
	ds_write_b32 v13, v16
	s_waitcnt lgkmcnt(0)
	s_barrier
	ds_read_b128 v[16:19], v15
	ds_read_b128 v[20:23], v15 offset:16
	ds_read2_b32 v[32:33], v14 offset1:16
	ds_read2_b32 v[34:35], v14 offset0:32 offset1:48
	ds_read2_b32 v[36:37], v14 offset0:64 offset1:80
	;; [unrolled: 1-line block ×4, first 2 shown]
	ds_read_b128 v[24:27], v15 offset:512
	ds_read_b128 v[28:31], v15 offset:528
	ds_read2_b32 v[42:43], v14 offset0:160 offset1:176
	ds_read2_b32 v[44:45], v14 offset0:192 offset1:208
	ds_read2_b32 v[46:47], v14 offset0:224 offset1:240
	s_waitcnt lgkmcnt(9)
	v_pk_fma_f32 v[2:3], v[32:33], v[16:17], v[2:3] op_sel_hi:[1,0,1]
	s_waitcnt lgkmcnt(4)
	v_pk_fma_f32 v[0:1], v[32:33], v[24:25], v[0:1] op_sel_hi:[1,0,1]
	v_pk_fma_f32 v[2:3], v[34:35], v[16:17], v[2:3] op_sel:[0,1,0]
	v_mov_b32_e32 v16, v19
	v_pk_fma_f32 v[2:3], v[36:37], v[18:19], v[2:3] op_sel_hi:[1,0,1]
	v_pk_fma_f32 v[0:1], v[34:35], v[24:25], v[0:1] op_sel:[0,1,0]
	v_pk_fma_f32 v[2:3], v[38:39], v[16:17], v[2:3] op_sel_hi:[1,0,1]
	v_mov_b32_e32 v16, v23
	v_pk_fma_f32 v[2:3], v[40:41], v[20:21], v[2:3] op_sel_hi:[1,0,1]
	v_pk_fma_f32 v[0:1], v[36:37], v[26:27], v[0:1] op_sel_hi:[1,0,1]
	s_waitcnt lgkmcnt(2)
	v_pk_fma_f32 v[2:3], v[42:43], v[20:21], v[2:3] op_sel:[0,1,0]
	s_add_i32 s5, s5, 8
	s_waitcnt lgkmcnt(1)
	v_pk_fma_f32 v[2:3], v[44:45], v[22:23], v[2:3] op_sel_hi:[1,0,1]
	v_lshl_add_u64 v[4:5], v[4:5], 0, 32
	s_waitcnt lgkmcnt(0)
	v_pk_fma_f32 v[2:3], v[46:47], v[16:17], v[2:3] op_sel_hi:[1,0,1]
	v_mov_b32_e32 v16, v27
	v_pk_fma_f32 v[0:1], v[38:39], v[16:17], v[0:1] op_sel_hi:[1,0,1]
	v_mov_b32_e32 v16, v31
	v_pk_fma_f32 v[0:1], v[40:41], v[28:29], v[0:1] op_sel_hi:[1,0,1]
	s_cmp_lt_i32 s5, s17
	v_pk_fma_f32 v[0:1], v[42:43], v[28:29], v[0:1] op_sel:[0,1,0]
	v_lshl_add_u64 v[6:7], v[6:7], 0, 32
	v_pk_fma_f32 v[0:1], v[44:45], v[30:31], v[0:1] op_sel_hi:[1,0,1]
	s_nop 0
	v_pk_fma_f32 v[0:1], v[46:47], v[16:17], v[0:1] op_sel_hi:[1,0,1]
	s_barrier
	s_cbranch_scc0 .LBB294_10
.LBB294_6:                              ; =>This Inner Loop Header: Depth=1
	v_add_u32_e32 v16, s5, v11
	v_cmp_gt_i32_e64 s[6:7], s17, v16
	s_and_b64 s[8:9], vcc, s[6:7]
	v_mov_b32_e32 v16, 0
	s_and_saveexec_b64 s[6:7], s[8:9]
	s_cbranch_execz .LBB294_8
; %bb.7:                                ;   in Loop: Header=BB294_6 Depth=1
	flat_load_dword v16, v[4:5]
.LBB294_8:                              ;   in Loop: Header=BB294_6 Depth=1
	s_or_b64 exec, exec, s[6:7]
	s_waitcnt vmcnt(0) lgkmcnt(0)
	ds_write_b32 v12, v16
	v_add_u32_e32 v16, s5, v10
	v_cmp_gt_i32_e64 s[6:7], s17, v16
	s_and_b64 s[8:9], s[6:7], s[2:3]
	v_mov_b32_e32 v16, 0
	s_and_saveexec_b64 s[6:7], s[8:9]
	s_cbranch_execz .LBB294_5
; %bb.9:                                ;   in Loop: Header=BB294_6 Depth=1
	flat_load_dword v16, v[6:7]
	s_branch .LBB294_5
.LBB294_10:
	s_load_dwordx2 s[6:7], s[0:1], 0x58
	s_load_dword s8, s[0:1], 0x50
	v_add_u32_e32 v4, s4, v8
	v_add_u32_e32 v10, s12, v9
	v_cmp_gt_i32_e64 s[2:3], s16, v10
	s_waitcnt lgkmcnt(0)
	s_lshl_b64 s[0:1], s[6:7], 2
	s_add_u32 s4, s10, s0
	s_addc_u32 s5, s11, s1
	v_mad_i64_i32 v[6:7], s[0:1], v10, s8, 0
	v_cmp_neq_f32_e64 s[0:1], s18, 0
	v_lshl_add_u64 v[8:9], v[6:7], 2, s[4:5]
	v_cmp_le_i32_e32 vcc, v4, v10
	v_cndmask_b32_e64 v6, 0, 1, s[0:1]
	s_and_b64 s[10:11], s[2:3], vcc
	v_ashrrev_i32_e32 v5, 31, v4
	v_cmp_ne_u32_e64 s[0:1], 1, v6
	s_and_saveexec_b64 s[6:7], s[10:11]
	s_cbranch_execz .LBB294_14
; %bb.11:
	v_mul_f32_e32 v2, s19, v2
	s_and_b64 vcc, exec, s[0:1]
	v_lshl_add_u64 v[6:7], v[4:5], 2, v[8:9]
	s_cbranch_vccnz .LBB294_13
; %bb.12:
	flat_load_dword v11, v[6:7]
	s_waitcnt vmcnt(0) lgkmcnt(0)
	v_fmac_f32_e32 v2, s18, v11
.LBB294_13:
	flat_store_dword v[6:7], v2
.LBB294_14:
	s_or_b64 exec, exec, s[6:7]
	v_add_u32_e32 v6, 16, v4
	v_cmp_le_i32_e32 vcc, v6, v10
	s_and_b64 s[6:7], s[2:3], vcc
	v_ashrrev_i32_e32 v7, 31, v6
	s_and_saveexec_b64 s[2:3], s[6:7]
	s_cbranch_execz .LBB294_18
; %bb.15:
	v_mul_f32_e32 v11, s19, v3
	s_and_b64 vcc, exec, s[0:1]
	v_lshl_add_u64 v[2:3], v[6:7], 2, v[8:9]
	s_cbranch_vccnz .LBB294_17
; %bb.16:
	flat_load_dword v8, v[2:3]
	s_waitcnt vmcnt(0) lgkmcnt(0)
	v_fmac_f32_e32 v11, s18, v8
.LBB294_17:
	flat_store_dword v[2:3], v11
.LBB294_18:
	s_or_b64 exec, exec, s[2:3]
	v_add_u32_e32 v8, 16, v10
	v_cmp_gt_i32_e64 s[2:3], s16, v8
	v_mad_i64_i32 v[2:3], s[6:7], v8, s8, 0
	v_cmp_le_i32_e32 vcc, v4, v8
	v_lshl_add_u64 v[2:3], v[2:3], 2, s[4:5]
	s_and_b64 s[6:7], s[2:3], vcc
	s_and_saveexec_b64 s[4:5], s[6:7]
	s_cbranch_execz .LBB294_22
; %bb.19:
	v_mul_f32_e32 v0, s19, v0
	s_and_b64 vcc, exec, s[0:1]
	v_lshl_add_u64 v[4:5], v[4:5], 2, v[2:3]
	s_cbranch_vccnz .LBB294_21
; %bb.20:
	flat_load_dword v9, v[4:5]
	s_waitcnt vmcnt(0) lgkmcnt(0)
	v_fmac_f32_e32 v0, s18, v9
.LBB294_21:
	flat_store_dword v[4:5], v0
.LBB294_22:
	s_or_b64 exec, exec, s[4:5]
	v_cmp_le_i32_e32 vcc, v6, v8
	s_and_b64 s[2:3], s[2:3], vcc
	s_and_saveexec_b64 s[4:5], s[2:3]
	s_cbranch_execz .LBB294_26
; %bb.23:
	v_mul_f32_e32 v4, s19, v1
	s_and_b64 vcc, exec, s[0:1]
	v_lshl_add_u64 v[0:1], v[6:7], 2, v[2:3]
	s_cbranch_vccnz .LBB294_25
; %bb.24:
	flat_load_dword v2, v[0:1]
	s_waitcnt vmcnt(0) lgkmcnt(0)
	v_fmac_f32_e32 v4, s18, v2
.LBB294_25:
	flat_store_dword v[0:1], v4
.LBB294_26:
	s_endpgm
	.section	.rodata,"a",@progbits
	.p2align	6, 0x0
	.amdhsa_kernel _ZL29rocblas_internal_gemmt_kernelIiLi16ELi32ELi8ELc67ELc78ELc85ELb0ELb0EfPKfPKS1_PKPfEviT_T9_T10_S7_lS9_S7_lS8_T11_S7_li
		.amdhsa_group_segment_fixed_size 2048
		.amdhsa_private_segment_fixed_size 0
		.amdhsa_kernarg_size 100
		.amdhsa_user_sgpr_count 2
		.amdhsa_user_sgpr_dispatch_ptr 0
		.amdhsa_user_sgpr_queue_ptr 0
		.amdhsa_user_sgpr_kernarg_segment_ptr 1
		.amdhsa_user_sgpr_dispatch_id 0
		.amdhsa_user_sgpr_kernarg_preload_length 0
		.amdhsa_user_sgpr_kernarg_preload_offset 0
		.amdhsa_user_sgpr_private_segment_size 0
		.amdhsa_uses_dynamic_stack 0
		.amdhsa_enable_private_segment 0
		.amdhsa_system_sgpr_workgroup_id_x 1
		.amdhsa_system_sgpr_workgroup_id_y 1
		.amdhsa_system_sgpr_workgroup_id_z 1
		.amdhsa_system_sgpr_workgroup_info 0
		.amdhsa_system_vgpr_workitem_id 1
		.amdhsa_next_free_vgpr 48
		.amdhsa_next_free_sgpr 25
		.amdhsa_accum_offset 48
		.amdhsa_reserve_vcc 1
		.amdhsa_float_round_mode_32 0
		.amdhsa_float_round_mode_16_64 0
		.amdhsa_float_denorm_mode_32 3
		.amdhsa_float_denorm_mode_16_64 3
		.amdhsa_dx10_clamp 1
		.amdhsa_ieee_mode 1
		.amdhsa_fp16_overflow 0
		.amdhsa_tg_split 0
		.amdhsa_exception_fp_ieee_invalid_op 0
		.amdhsa_exception_fp_denorm_src 0
		.amdhsa_exception_fp_ieee_div_zero 0
		.amdhsa_exception_fp_ieee_overflow 0
		.amdhsa_exception_fp_ieee_underflow 0
		.amdhsa_exception_fp_ieee_inexact 0
		.amdhsa_exception_int_div_zero 0
	.end_amdhsa_kernel
	.section	.text._ZL29rocblas_internal_gemmt_kernelIiLi16ELi32ELi8ELc67ELc78ELc85ELb0ELb0EfPKfPKS1_PKPfEviT_T9_T10_S7_lS9_S7_lS8_T11_S7_li,"axG",@progbits,_ZL29rocblas_internal_gemmt_kernelIiLi16ELi32ELi8ELc67ELc78ELc85ELb0ELb0EfPKfPKS1_PKPfEviT_T9_T10_S7_lS9_S7_lS8_T11_S7_li,comdat
.Lfunc_end294:
	.size	_ZL29rocblas_internal_gemmt_kernelIiLi16ELi32ELi8ELc67ELc78ELc85ELb0ELb0EfPKfPKS1_PKPfEviT_T9_T10_S7_lS9_S7_lS8_T11_S7_li, .Lfunc_end294-_ZL29rocblas_internal_gemmt_kernelIiLi16ELi32ELi8ELc67ELc78ELc85ELb0ELb0EfPKfPKS1_PKPfEviT_T9_T10_S7_lS9_S7_lS8_T11_S7_li
                                        ; -- End function
	.set _ZL29rocblas_internal_gemmt_kernelIiLi16ELi32ELi8ELc67ELc78ELc85ELb0ELb0EfPKfPKS1_PKPfEviT_T9_T10_S7_lS9_S7_lS8_T11_S7_li.num_vgpr, 48
	.set _ZL29rocblas_internal_gemmt_kernelIiLi16ELi32ELi8ELc67ELc78ELc85ELb0ELb0EfPKfPKS1_PKPfEviT_T9_T10_S7_lS9_S7_lS8_T11_S7_li.num_agpr, 0
	.set _ZL29rocblas_internal_gemmt_kernelIiLi16ELi32ELi8ELc67ELc78ELc85ELb0ELb0EfPKfPKS1_PKPfEviT_T9_T10_S7_lS9_S7_lS8_T11_S7_li.numbered_sgpr, 25
	.set _ZL29rocblas_internal_gemmt_kernelIiLi16ELi32ELi8ELc67ELc78ELc85ELb0ELb0EfPKfPKS1_PKPfEviT_T9_T10_S7_lS9_S7_lS8_T11_S7_li.num_named_barrier, 0
	.set _ZL29rocblas_internal_gemmt_kernelIiLi16ELi32ELi8ELc67ELc78ELc85ELb0ELb0EfPKfPKS1_PKPfEviT_T9_T10_S7_lS9_S7_lS8_T11_S7_li.private_seg_size, 0
	.set _ZL29rocblas_internal_gemmt_kernelIiLi16ELi32ELi8ELc67ELc78ELc85ELb0ELb0EfPKfPKS1_PKPfEviT_T9_T10_S7_lS9_S7_lS8_T11_S7_li.uses_vcc, 1
	.set _ZL29rocblas_internal_gemmt_kernelIiLi16ELi32ELi8ELc67ELc78ELc85ELb0ELb0EfPKfPKS1_PKPfEviT_T9_T10_S7_lS9_S7_lS8_T11_S7_li.uses_flat_scratch, 0
	.set _ZL29rocblas_internal_gemmt_kernelIiLi16ELi32ELi8ELc67ELc78ELc85ELb0ELb0EfPKfPKS1_PKPfEviT_T9_T10_S7_lS9_S7_lS8_T11_S7_li.has_dyn_sized_stack, 0
	.set _ZL29rocblas_internal_gemmt_kernelIiLi16ELi32ELi8ELc67ELc78ELc85ELb0ELb0EfPKfPKS1_PKPfEviT_T9_T10_S7_lS9_S7_lS8_T11_S7_li.has_recursion, 0
	.set _ZL29rocblas_internal_gemmt_kernelIiLi16ELi32ELi8ELc67ELc78ELc85ELb0ELb0EfPKfPKS1_PKPfEviT_T9_T10_S7_lS9_S7_lS8_T11_S7_li.has_indirect_call, 0
	.section	.AMDGPU.csdata,"",@progbits
; Kernel info:
; codeLenInByte = 1260
; TotalNumSgprs: 31
; NumVgprs: 48
; NumAgprs: 0
; TotalNumVgprs: 48
; ScratchSize: 0
; MemoryBound: 0
; FloatMode: 240
; IeeeMode: 1
; LDSByteSize: 2048 bytes/workgroup (compile time only)
; SGPRBlocks: 3
; VGPRBlocks: 5
; NumSGPRsForWavesPerEU: 31
; NumVGPRsForWavesPerEU: 48
; AccumOffset: 48
; Occupancy: 8
; WaveLimiterHint : 1
; COMPUTE_PGM_RSRC2:SCRATCH_EN: 0
; COMPUTE_PGM_RSRC2:USER_SGPR: 2
; COMPUTE_PGM_RSRC2:TRAP_HANDLER: 0
; COMPUTE_PGM_RSRC2:TGID_X_EN: 1
; COMPUTE_PGM_RSRC2:TGID_Y_EN: 1
; COMPUTE_PGM_RSRC2:TGID_Z_EN: 1
; COMPUTE_PGM_RSRC2:TIDIG_COMP_CNT: 1
; COMPUTE_PGM_RSRC3_GFX90A:ACCUM_OFFSET: 11
; COMPUTE_PGM_RSRC3_GFX90A:TG_SPLIT: 0
	.section	.text._ZL29rocblas_internal_gemmt_kernelIiLi16ELi32ELi8ELc67ELc84ELc85ELb0ELb0EfPKfPKS1_PKPfEviT_T9_T10_S7_lS9_S7_lS8_T11_S7_li,"axG",@progbits,_ZL29rocblas_internal_gemmt_kernelIiLi16ELi32ELi8ELc67ELc84ELc85ELb0ELb0EfPKfPKS1_PKPfEviT_T9_T10_S7_lS9_S7_lS8_T11_S7_li,comdat
	.globl	_ZL29rocblas_internal_gemmt_kernelIiLi16ELi32ELi8ELc67ELc84ELc85ELb0ELb0EfPKfPKS1_PKPfEviT_T9_T10_S7_lS9_S7_lS8_T11_S7_li ; -- Begin function _ZL29rocblas_internal_gemmt_kernelIiLi16ELi32ELi8ELc67ELc84ELc85ELb0ELb0EfPKfPKS1_PKPfEviT_T9_T10_S7_lS9_S7_lS8_T11_S7_li
	.p2align	8
	.type	_ZL29rocblas_internal_gemmt_kernelIiLi16ELi32ELi8ELc67ELc84ELc85ELb0ELb0EfPKfPKS1_PKPfEviT_T9_T10_S7_lS9_S7_lS8_T11_S7_li,@function
_ZL29rocblas_internal_gemmt_kernelIiLi16ELi32ELi8ELc67ELc84ELc85ELb0ELb0EfPKfPKS1_PKPfEviT_T9_T10_S7_lS9_S7_lS8_T11_S7_li: ; @_ZL29rocblas_internal_gemmt_kernelIiLi16ELi32ELi8ELc67ELc84ELc85ELb0ELb0EfPKfPKS1_PKPfEviT_T9_T10_S7_lS9_S7_lS8_T11_S7_li
; %bb.0:
	s_load_dwordx4 s[8:11], s[0:1], 0x38
	s_load_dwordx4 s[12:15], s[0:1], 0x8
	s_waitcnt lgkmcnt(0)
	s_load_dword s18, s[10:11], 0x0
	s_load_dwordx2 s[16:17], s[0:1], 0x0
	s_load_dword s19, s[12:13], 0x0
	s_waitcnt lgkmcnt(0)
	v_cmp_neq_f32_e64 s[6:7], s18, 1.0
	s_and_b64 vcc, exec, s[6:7]
	s_cbranch_vccnz .LBB295_2
; %bb.1:
	s_cmp_lg_u32 s17, 0
	s_cselect_b64 s[6:7], -1, 0
	v_cmp_neq_f32_e64 s[10:11], s19, 0
	s_and_b64 s[6:7], s[6:7], s[10:11]
.LBB295_2:
	s_andn2_b64 vcc, exec, s[6:7]
	s_cbranch_vccnz .LBB295_26
; %bb.3:
	s_load_dwordx2 s[10:11], s[0:1], 0x48
	s_mov_b32 s5, 0
	s_lshl_b64 s[6:7], s[4:5], 3
	v_mov_b32_e32 v3, 0
	v_and_b32_e32 v8, 0x3ff, v0
	s_waitcnt lgkmcnt(0)
	s_add_u32 s10, s10, s6
	s_addc_u32 s11, s11, s7
	s_load_dwordx2 s[10:11], s[10:11], 0x0
	s_lshl_b32 s4, s2, 5
	s_lshl_b32 s12, s3, 5
	s_cmp_lt_i32 s17, 1
	v_cmp_eq_f32_e64 s[2:3], s19, 0
	s_cselect_b64 s[20:21], -1, 0
	s_or_b64 s[2:3], s[2:3], s[20:21]
	v_bfe_u32 v9, v0, 10, 10
	s_and_b64 vcc, exec, s[2:3]
	v_mov_b32_e32 v2, v3
	v_mov_b32_e32 v1, v3
	;; [unrolled: 1-line block ×3, first 2 shown]
	s_cbranch_vccnz .LBB295_10
; %bb.4:
	s_load_dword s13, s[0:1], 0x18
	s_load_dword s24, s[0:1], 0x30
	s_load_dwordx4 s[20:23], s[0:1], 0x20
	v_lshl_add_u32 v0, v9, 4, v8
	v_lshrrev_b32_e32 v11, 5, v0
	v_lshrrev_b32_e32 v1, 3, v0
	s_waitcnt lgkmcnt(0)
	s_ashr_i32 s25, s24, 31
	v_and_b32_e32 v0, 31, v0
	v_or_b32_e32 v3, s4, v0
	s_add_u32 s2, s22, s6
	v_and_b32_e32 v10, 7, v8
	s_addc_u32 s3, s23, s7
	v_cmp_gt_i32_e32 vcc, s16, v3
	v_lshlrev_b32_e32 v3, 2, v0
	s_load_dwordx2 s[22:23], s[2:3], 0x0
	s_add_u32 s2, s14, s6
	v_lshl_or_b32 v12, v11, 7, v3
	v_lshlrev_b32_e32 v3, 2, v10
	v_add_u32_e32 v2, s12, v1
	s_addc_u32 s3, s15, s7
	v_lshl_or_b32 v1, v1, 5, v3
	s_load_dwordx2 s[6:7], s[2:3], 0x0
	v_add_u32_e32 v13, 0x400, v1
	v_mov_b32_e32 v1, 0x400
	v_add_u32_e32 v0, s4, v0
	v_lshl_add_u32 v15, v9, 5, v1
	v_mad_i64_i32 v[0:1], s[14:15], s13, v0, 0
	s_lshl_b64 s[14:15], s[20:21], 2
	s_nop 0
	v_lshl_add_u64 v[4:5], v[0:1], 2, s[14:15]
	v_lshlrev_b32_e32 v0, 2, v11
	v_mov_b32_e32 v1, 0
	v_lshl_add_u64 v[4:5], v[4:5], 0, v[0:1]
	s_waitcnt lgkmcnt(0)
	v_lshl_add_u64 v[4:5], s[6:7], 0, v[4:5]
	v_mad_i64_i32 v[6:7], s[6:7], s24, v10, 0
	s_lshl_b64 s[6:7], s[8:9], 2
	v_ashrrev_i32_e32 v3, 31, v2
	v_lshl_add_u64 v[6:7], v[6:7], 2, s[6:7]
	v_cmp_gt_i32_e64 s[2:3], s16, v2
	v_lshl_add_u64 v[2:3], v[2:3], 2, v[6:7]
	v_lshlrev_b32_e32 v14, 2, v8
	v_lshl_add_u64 v[6:7], s[22:23], 0, v[2:3]
	s_lshl_b64 s[8:9], s[24:25], 5
	v_mov_b32_e32 v0, v1
	v_mov_b32_e32 v2, v1
	;; [unrolled: 1-line block ×3, first 2 shown]
	s_branch .LBB295_6
.LBB295_5:                              ;   in Loop: Header=BB295_6 Depth=1
	s_or_b64 exec, exec, s[6:7]
	s_waitcnt vmcnt(0) lgkmcnt(0)
	ds_write_b32 v13, v16
	s_waitcnt lgkmcnt(0)
	s_barrier
	ds_read_b128 v[16:19], v15
	ds_read_b128 v[20:23], v15 offset:16
	ds_read2_b32 v[32:33], v14 offset1:16
	ds_read2_b32 v[34:35], v14 offset0:32 offset1:48
	ds_read2_b32 v[36:37], v14 offset0:64 offset1:80
	;; [unrolled: 1-line block ×4, first 2 shown]
	ds_read_b128 v[24:27], v15 offset:512
	ds_read_b128 v[28:31], v15 offset:528
	ds_read2_b32 v[42:43], v14 offset0:160 offset1:176
	ds_read2_b32 v[44:45], v14 offset0:192 offset1:208
	;; [unrolled: 1-line block ×3, first 2 shown]
	s_waitcnt lgkmcnt(9)
	v_pk_fma_f32 v[2:3], v[32:33], v[16:17], v[2:3] op_sel_hi:[1,0,1]
	s_waitcnt lgkmcnt(4)
	v_pk_fma_f32 v[0:1], v[32:33], v[24:25], v[0:1] op_sel_hi:[1,0,1]
	v_pk_fma_f32 v[2:3], v[34:35], v[16:17], v[2:3] op_sel:[0,1,0]
	v_mov_b32_e32 v16, v19
	v_pk_fma_f32 v[2:3], v[36:37], v[18:19], v[2:3] op_sel_hi:[1,0,1]
	v_pk_fma_f32 v[0:1], v[34:35], v[24:25], v[0:1] op_sel:[0,1,0]
	v_pk_fma_f32 v[2:3], v[38:39], v[16:17], v[2:3] op_sel_hi:[1,0,1]
	v_mov_b32_e32 v16, v23
	v_pk_fma_f32 v[2:3], v[40:41], v[20:21], v[2:3] op_sel_hi:[1,0,1]
	v_pk_fma_f32 v[0:1], v[36:37], v[26:27], v[0:1] op_sel_hi:[1,0,1]
	s_waitcnt lgkmcnt(2)
	v_pk_fma_f32 v[2:3], v[42:43], v[20:21], v[2:3] op_sel:[0,1,0]
	s_add_i32 s5, s5, 8
	s_waitcnt lgkmcnt(1)
	v_pk_fma_f32 v[2:3], v[44:45], v[22:23], v[2:3] op_sel_hi:[1,0,1]
	v_lshl_add_u64 v[4:5], v[4:5], 0, 32
	s_waitcnt lgkmcnt(0)
	v_pk_fma_f32 v[2:3], v[46:47], v[16:17], v[2:3] op_sel_hi:[1,0,1]
	v_mov_b32_e32 v16, v27
	v_pk_fma_f32 v[0:1], v[38:39], v[16:17], v[0:1] op_sel_hi:[1,0,1]
	v_mov_b32_e32 v16, v31
	v_pk_fma_f32 v[0:1], v[40:41], v[28:29], v[0:1] op_sel_hi:[1,0,1]
	s_cmp_lt_i32 s5, s17
	v_pk_fma_f32 v[0:1], v[42:43], v[28:29], v[0:1] op_sel:[0,1,0]
	v_lshl_add_u64 v[6:7], v[6:7], 0, s[8:9]
	v_pk_fma_f32 v[0:1], v[44:45], v[30:31], v[0:1] op_sel_hi:[1,0,1]
	s_nop 0
	v_pk_fma_f32 v[0:1], v[46:47], v[16:17], v[0:1] op_sel_hi:[1,0,1]
	s_barrier
	s_cbranch_scc0 .LBB295_10
.LBB295_6:                              ; =>This Inner Loop Header: Depth=1
	v_add_u32_e32 v16, s5, v11
	v_cmp_gt_i32_e64 s[6:7], s17, v16
	s_and_b64 s[14:15], vcc, s[6:7]
	v_mov_b32_e32 v16, 0
	s_and_saveexec_b64 s[6:7], s[14:15]
	s_cbranch_execz .LBB295_8
; %bb.7:                                ;   in Loop: Header=BB295_6 Depth=1
	flat_load_dword v16, v[4:5]
.LBB295_8:                              ;   in Loop: Header=BB295_6 Depth=1
	s_or_b64 exec, exec, s[6:7]
	s_waitcnt vmcnt(0) lgkmcnt(0)
	ds_write_b32 v12, v16
	v_add_u32_e32 v16, s5, v10
	v_cmp_gt_i32_e64 s[6:7], s17, v16
	s_and_b64 s[14:15], s[6:7], s[2:3]
	v_mov_b32_e32 v16, 0
	s_and_saveexec_b64 s[6:7], s[14:15]
	s_cbranch_execz .LBB295_5
; %bb.9:                                ;   in Loop: Header=BB295_6 Depth=1
	flat_load_dword v16, v[6:7]
	s_branch .LBB295_5
.LBB295_10:
	s_load_dwordx2 s[6:7], s[0:1], 0x58
	s_load_dword s8, s[0:1], 0x50
	v_add_u32_e32 v4, s4, v8
	v_add_u32_e32 v10, s12, v9
	v_cmp_gt_i32_e64 s[2:3], s16, v10
	s_waitcnt lgkmcnt(0)
	s_lshl_b64 s[0:1], s[6:7], 2
	s_add_u32 s4, s10, s0
	s_addc_u32 s5, s11, s1
	v_mad_i64_i32 v[6:7], s[0:1], v10, s8, 0
	v_cmp_neq_f32_e64 s[0:1], s18, 0
	v_lshl_add_u64 v[8:9], v[6:7], 2, s[4:5]
	v_cmp_le_i32_e32 vcc, v4, v10
	v_cndmask_b32_e64 v6, 0, 1, s[0:1]
	s_and_b64 s[10:11], s[2:3], vcc
	v_ashrrev_i32_e32 v5, 31, v4
	v_cmp_ne_u32_e64 s[0:1], 1, v6
	s_and_saveexec_b64 s[6:7], s[10:11]
	s_cbranch_execz .LBB295_14
; %bb.11:
	v_mul_f32_e32 v2, s19, v2
	s_and_b64 vcc, exec, s[0:1]
	v_lshl_add_u64 v[6:7], v[4:5], 2, v[8:9]
	s_cbranch_vccnz .LBB295_13
; %bb.12:
	flat_load_dword v11, v[6:7]
	s_waitcnt vmcnt(0) lgkmcnt(0)
	v_fmac_f32_e32 v2, s18, v11
.LBB295_13:
	flat_store_dword v[6:7], v2
.LBB295_14:
	s_or_b64 exec, exec, s[6:7]
	v_add_u32_e32 v6, 16, v4
	v_cmp_le_i32_e32 vcc, v6, v10
	s_and_b64 s[6:7], s[2:3], vcc
	v_ashrrev_i32_e32 v7, 31, v6
	s_and_saveexec_b64 s[2:3], s[6:7]
	s_cbranch_execz .LBB295_18
; %bb.15:
	v_mul_f32_e32 v11, s19, v3
	s_and_b64 vcc, exec, s[0:1]
	v_lshl_add_u64 v[2:3], v[6:7], 2, v[8:9]
	s_cbranch_vccnz .LBB295_17
; %bb.16:
	flat_load_dword v8, v[2:3]
	s_waitcnt vmcnt(0) lgkmcnt(0)
	v_fmac_f32_e32 v11, s18, v8
.LBB295_17:
	flat_store_dword v[2:3], v11
.LBB295_18:
	s_or_b64 exec, exec, s[2:3]
	v_add_u32_e32 v8, 16, v10
	v_cmp_gt_i32_e64 s[2:3], s16, v8
	v_mad_i64_i32 v[2:3], s[6:7], v8, s8, 0
	v_cmp_le_i32_e32 vcc, v4, v8
	v_lshl_add_u64 v[2:3], v[2:3], 2, s[4:5]
	s_and_b64 s[6:7], s[2:3], vcc
	s_and_saveexec_b64 s[4:5], s[6:7]
	s_cbranch_execz .LBB295_22
; %bb.19:
	v_mul_f32_e32 v0, s19, v0
	s_and_b64 vcc, exec, s[0:1]
	v_lshl_add_u64 v[4:5], v[4:5], 2, v[2:3]
	s_cbranch_vccnz .LBB295_21
; %bb.20:
	flat_load_dword v9, v[4:5]
	s_waitcnt vmcnt(0) lgkmcnt(0)
	v_fmac_f32_e32 v0, s18, v9
.LBB295_21:
	flat_store_dword v[4:5], v0
.LBB295_22:
	s_or_b64 exec, exec, s[4:5]
	v_cmp_le_i32_e32 vcc, v6, v8
	s_and_b64 s[2:3], s[2:3], vcc
	s_and_saveexec_b64 s[4:5], s[2:3]
	s_cbranch_execz .LBB295_26
; %bb.23:
	v_mul_f32_e32 v4, s19, v1
	s_and_b64 vcc, exec, s[0:1]
	v_lshl_add_u64 v[0:1], v[6:7], 2, v[2:3]
	s_cbranch_vccnz .LBB295_25
; %bb.24:
	flat_load_dword v2, v[0:1]
	s_waitcnt vmcnt(0) lgkmcnt(0)
	v_fmac_f32_e32 v4, s18, v2
.LBB295_25:
	flat_store_dword v[0:1], v4
.LBB295_26:
	s_endpgm
	.section	.rodata,"a",@progbits
	.p2align	6, 0x0
	.amdhsa_kernel _ZL29rocblas_internal_gemmt_kernelIiLi16ELi32ELi8ELc67ELc84ELc85ELb0ELb0EfPKfPKS1_PKPfEviT_T9_T10_S7_lS9_S7_lS8_T11_S7_li
		.amdhsa_group_segment_fixed_size 2048
		.amdhsa_private_segment_fixed_size 0
		.amdhsa_kernarg_size 100
		.amdhsa_user_sgpr_count 2
		.amdhsa_user_sgpr_dispatch_ptr 0
		.amdhsa_user_sgpr_queue_ptr 0
		.amdhsa_user_sgpr_kernarg_segment_ptr 1
		.amdhsa_user_sgpr_dispatch_id 0
		.amdhsa_user_sgpr_kernarg_preload_length 0
		.amdhsa_user_sgpr_kernarg_preload_offset 0
		.amdhsa_user_sgpr_private_segment_size 0
		.amdhsa_uses_dynamic_stack 0
		.amdhsa_enable_private_segment 0
		.amdhsa_system_sgpr_workgroup_id_x 1
		.amdhsa_system_sgpr_workgroup_id_y 1
		.amdhsa_system_sgpr_workgroup_id_z 1
		.amdhsa_system_sgpr_workgroup_info 0
		.amdhsa_system_vgpr_workitem_id 1
		.amdhsa_next_free_vgpr 48
		.amdhsa_next_free_sgpr 26
		.amdhsa_accum_offset 48
		.amdhsa_reserve_vcc 1
		.amdhsa_float_round_mode_32 0
		.amdhsa_float_round_mode_16_64 0
		.amdhsa_float_denorm_mode_32 3
		.amdhsa_float_denorm_mode_16_64 3
		.amdhsa_dx10_clamp 1
		.amdhsa_ieee_mode 1
		.amdhsa_fp16_overflow 0
		.amdhsa_tg_split 0
		.amdhsa_exception_fp_ieee_invalid_op 0
		.amdhsa_exception_fp_denorm_src 0
		.amdhsa_exception_fp_ieee_div_zero 0
		.amdhsa_exception_fp_ieee_overflow 0
		.amdhsa_exception_fp_ieee_underflow 0
		.amdhsa_exception_fp_ieee_inexact 0
		.amdhsa_exception_int_div_zero 0
	.end_amdhsa_kernel
	.section	.text._ZL29rocblas_internal_gemmt_kernelIiLi16ELi32ELi8ELc67ELc84ELc85ELb0ELb0EfPKfPKS1_PKPfEviT_T9_T10_S7_lS9_S7_lS8_T11_S7_li,"axG",@progbits,_ZL29rocblas_internal_gemmt_kernelIiLi16ELi32ELi8ELc67ELc84ELc85ELb0ELb0EfPKfPKS1_PKPfEviT_T9_T10_S7_lS9_S7_lS8_T11_S7_li,comdat
.Lfunc_end295:
	.size	_ZL29rocblas_internal_gemmt_kernelIiLi16ELi32ELi8ELc67ELc84ELc85ELb0ELb0EfPKfPKS1_PKPfEviT_T9_T10_S7_lS9_S7_lS8_T11_S7_li, .Lfunc_end295-_ZL29rocblas_internal_gemmt_kernelIiLi16ELi32ELi8ELc67ELc84ELc85ELb0ELb0EfPKfPKS1_PKPfEviT_T9_T10_S7_lS9_S7_lS8_T11_S7_li
                                        ; -- End function
	.set _ZL29rocblas_internal_gemmt_kernelIiLi16ELi32ELi8ELc67ELc84ELc85ELb0ELb0EfPKfPKS1_PKPfEviT_T9_T10_S7_lS9_S7_lS8_T11_S7_li.num_vgpr, 48
	.set _ZL29rocblas_internal_gemmt_kernelIiLi16ELi32ELi8ELc67ELc84ELc85ELb0ELb0EfPKfPKS1_PKPfEviT_T9_T10_S7_lS9_S7_lS8_T11_S7_li.num_agpr, 0
	.set _ZL29rocblas_internal_gemmt_kernelIiLi16ELi32ELi8ELc67ELc84ELc85ELb0ELb0EfPKfPKS1_PKPfEviT_T9_T10_S7_lS9_S7_lS8_T11_S7_li.numbered_sgpr, 26
	.set _ZL29rocblas_internal_gemmt_kernelIiLi16ELi32ELi8ELc67ELc84ELc85ELb0ELb0EfPKfPKS1_PKPfEviT_T9_T10_S7_lS9_S7_lS8_T11_S7_li.num_named_barrier, 0
	.set _ZL29rocblas_internal_gemmt_kernelIiLi16ELi32ELi8ELc67ELc84ELc85ELb0ELb0EfPKfPKS1_PKPfEviT_T9_T10_S7_lS9_S7_lS8_T11_S7_li.private_seg_size, 0
	.set _ZL29rocblas_internal_gemmt_kernelIiLi16ELi32ELi8ELc67ELc84ELc85ELb0ELb0EfPKfPKS1_PKPfEviT_T9_T10_S7_lS9_S7_lS8_T11_S7_li.uses_vcc, 1
	.set _ZL29rocblas_internal_gemmt_kernelIiLi16ELi32ELi8ELc67ELc84ELc85ELb0ELb0EfPKfPKS1_PKPfEviT_T9_T10_S7_lS9_S7_lS8_T11_S7_li.uses_flat_scratch, 0
	.set _ZL29rocblas_internal_gemmt_kernelIiLi16ELi32ELi8ELc67ELc84ELc85ELb0ELb0EfPKfPKS1_PKPfEviT_T9_T10_S7_lS9_S7_lS8_T11_S7_li.has_dyn_sized_stack, 0
	.set _ZL29rocblas_internal_gemmt_kernelIiLi16ELi32ELi8ELc67ELc84ELc85ELb0ELb0EfPKfPKS1_PKPfEviT_T9_T10_S7_lS9_S7_lS8_T11_S7_li.has_recursion, 0
	.set _ZL29rocblas_internal_gemmt_kernelIiLi16ELi32ELi8ELc67ELc84ELc85ELb0ELb0EfPKfPKS1_PKPfEviT_T9_T10_S7_lS9_S7_lS8_T11_S7_li.has_indirect_call, 0
	.section	.AMDGPU.csdata,"",@progbits
; Kernel info:
; codeLenInByte = 1268
; TotalNumSgprs: 32
; NumVgprs: 48
; NumAgprs: 0
; TotalNumVgprs: 48
; ScratchSize: 0
; MemoryBound: 0
; FloatMode: 240
; IeeeMode: 1
; LDSByteSize: 2048 bytes/workgroup (compile time only)
; SGPRBlocks: 3
; VGPRBlocks: 5
; NumSGPRsForWavesPerEU: 32
; NumVGPRsForWavesPerEU: 48
; AccumOffset: 48
; Occupancy: 8
; WaveLimiterHint : 1
; COMPUTE_PGM_RSRC2:SCRATCH_EN: 0
; COMPUTE_PGM_RSRC2:USER_SGPR: 2
; COMPUTE_PGM_RSRC2:TRAP_HANDLER: 0
; COMPUTE_PGM_RSRC2:TGID_X_EN: 1
; COMPUTE_PGM_RSRC2:TGID_Y_EN: 1
; COMPUTE_PGM_RSRC2:TGID_Z_EN: 1
; COMPUTE_PGM_RSRC2:TIDIG_COMP_CNT: 1
; COMPUTE_PGM_RSRC3_GFX90A:ACCUM_OFFSET: 11
; COMPUTE_PGM_RSRC3_GFX90A:TG_SPLIT: 0
	.section	.text._ZL29rocblas_internal_gemmt_kernelIiLi16ELi32ELi8ELc67ELc67ELc85ELb0ELb0EfPKfPKS1_PKPfEviT_T9_T10_S7_lS9_S7_lS8_T11_S7_li,"axG",@progbits,_ZL29rocblas_internal_gemmt_kernelIiLi16ELi32ELi8ELc67ELc67ELc85ELb0ELb0EfPKfPKS1_PKPfEviT_T9_T10_S7_lS9_S7_lS8_T11_S7_li,comdat
	.globl	_ZL29rocblas_internal_gemmt_kernelIiLi16ELi32ELi8ELc67ELc67ELc85ELb0ELb0EfPKfPKS1_PKPfEviT_T9_T10_S7_lS9_S7_lS8_T11_S7_li ; -- Begin function _ZL29rocblas_internal_gemmt_kernelIiLi16ELi32ELi8ELc67ELc67ELc85ELb0ELb0EfPKfPKS1_PKPfEviT_T9_T10_S7_lS9_S7_lS8_T11_S7_li
	.p2align	8
	.type	_ZL29rocblas_internal_gemmt_kernelIiLi16ELi32ELi8ELc67ELc67ELc85ELb0ELb0EfPKfPKS1_PKPfEviT_T9_T10_S7_lS9_S7_lS8_T11_S7_li,@function
_ZL29rocblas_internal_gemmt_kernelIiLi16ELi32ELi8ELc67ELc67ELc85ELb0ELb0EfPKfPKS1_PKPfEviT_T9_T10_S7_lS9_S7_lS8_T11_S7_li: ; @_ZL29rocblas_internal_gemmt_kernelIiLi16ELi32ELi8ELc67ELc67ELc85ELb0ELb0EfPKfPKS1_PKPfEviT_T9_T10_S7_lS9_S7_lS8_T11_S7_li
; %bb.0:
	s_load_dwordx4 s[8:11], s[0:1], 0x38
	s_load_dwordx4 s[12:15], s[0:1], 0x8
	s_waitcnt lgkmcnt(0)
	s_load_dword s18, s[10:11], 0x0
	s_load_dwordx2 s[16:17], s[0:1], 0x0
	s_load_dword s19, s[12:13], 0x0
	s_waitcnt lgkmcnt(0)
	v_cmp_neq_f32_e64 s[6:7], s18, 1.0
	s_and_b64 vcc, exec, s[6:7]
	s_cbranch_vccnz .LBB296_2
; %bb.1:
	s_cmp_lg_u32 s17, 0
	s_cselect_b64 s[6:7], -1, 0
	v_cmp_neq_f32_e64 s[10:11], s19, 0
	s_and_b64 s[6:7], s[6:7], s[10:11]
.LBB296_2:
	s_andn2_b64 vcc, exec, s[6:7]
	s_cbranch_vccnz .LBB296_26
; %bb.3:
	s_load_dwordx2 s[10:11], s[0:1], 0x48
	s_mov_b32 s5, 0
	s_lshl_b64 s[6:7], s[4:5], 3
	v_mov_b32_e32 v3, 0
	v_and_b32_e32 v8, 0x3ff, v0
	s_waitcnt lgkmcnt(0)
	s_add_u32 s10, s10, s6
	s_addc_u32 s11, s11, s7
	s_load_dwordx2 s[10:11], s[10:11], 0x0
	s_lshl_b32 s4, s2, 5
	s_lshl_b32 s12, s3, 5
	s_cmp_lt_i32 s17, 1
	v_cmp_eq_f32_e64 s[2:3], s19, 0
	s_cselect_b64 s[20:21], -1, 0
	s_or_b64 s[2:3], s[2:3], s[20:21]
	v_bfe_u32 v9, v0, 10, 10
	s_and_b64 vcc, exec, s[2:3]
	v_mov_b32_e32 v2, v3
	v_mov_b32_e32 v1, v3
	;; [unrolled: 1-line block ×3, first 2 shown]
	s_cbranch_vccnz .LBB296_10
; %bb.4:
	s_load_dword s13, s[0:1], 0x18
	s_load_dword s24, s[0:1], 0x30
	s_load_dwordx4 s[20:23], s[0:1], 0x20
	v_lshl_add_u32 v0, v9, 4, v8
	v_lshrrev_b32_e32 v11, 5, v0
	v_lshrrev_b32_e32 v1, 3, v0
	s_waitcnt lgkmcnt(0)
	s_ashr_i32 s25, s24, 31
	v_and_b32_e32 v0, 31, v0
	v_or_b32_e32 v3, s4, v0
	s_add_u32 s2, s22, s6
	v_and_b32_e32 v10, 7, v8
	s_addc_u32 s3, s23, s7
	v_cmp_gt_i32_e32 vcc, s16, v3
	v_lshlrev_b32_e32 v3, 2, v0
	s_load_dwordx2 s[22:23], s[2:3], 0x0
	s_add_u32 s2, s14, s6
	v_lshl_or_b32 v12, v11, 7, v3
	v_lshlrev_b32_e32 v3, 2, v10
	v_add_u32_e32 v2, s12, v1
	s_addc_u32 s3, s15, s7
	v_lshl_or_b32 v1, v1, 5, v3
	s_load_dwordx2 s[6:7], s[2:3], 0x0
	v_add_u32_e32 v13, 0x400, v1
	v_mov_b32_e32 v1, 0x400
	v_add_u32_e32 v0, s4, v0
	v_lshl_add_u32 v15, v9, 5, v1
	v_mad_i64_i32 v[0:1], s[14:15], s13, v0, 0
	s_lshl_b64 s[14:15], s[20:21], 2
	s_nop 0
	v_lshl_add_u64 v[4:5], v[0:1], 2, s[14:15]
	v_lshlrev_b32_e32 v0, 2, v11
	v_mov_b32_e32 v1, 0
	v_lshl_add_u64 v[4:5], v[4:5], 0, v[0:1]
	s_waitcnt lgkmcnt(0)
	v_lshl_add_u64 v[4:5], s[6:7], 0, v[4:5]
	v_mad_i64_i32 v[6:7], s[6:7], s24, v10, 0
	s_lshl_b64 s[6:7], s[8:9], 2
	v_ashrrev_i32_e32 v3, 31, v2
	v_lshl_add_u64 v[6:7], v[6:7], 2, s[6:7]
	v_cmp_gt_i32_e64 s[2:3], s16, v2
	v_lshl_add_u64 v[2:3], v[2:3], 2, v[6:7]
	v_lshlrev_b32_e32 v14, 2, v8
	v_lshl_add_u64 v[6:7], s[22:23], 0, v[2:3]
	s_lshl_b64 s[8:9], s[24:25], 5
	v_mov_b32_e32 v0, v1
	v_mov_b32_e32 v2, v1
	;; [unrolled: 1-line block ×3, first 2 shown]
	s_branch .LBB296_6
.LBB296_5:                              ;   in Loop: Header=BB296_6 Depth=1
	s_or_b64 exec, exec, s[6:7]
	s_waitcnt vmcnt(0) lgkmcnt(0)
	ds_write_b32 v13, v16
	s_waitcnt lgkmcnt(0)
	s_barrier
	ds_read_b128 v[16:19], v15
	ds_read_b128 v[20:23], v15 offset:16
	ds_read2_b32 v[32:33], v14 offset1:16
	ds_read2_b32 v[34:35], v14 offset0:32 offset1:48
	ds_read2_b32 v[36:37], v14 offset0:64 offset1:80
	;; [unrolled: 1-line block ×4, first 2 shown]
	ds_read_b128 v[24:27], v15 offset:512
	ds_read_b128 v[28:31], v15 offset:528
	ds_read2_b32 v[42:43], v14 offset0:160 offset1:176
	ds_read2_b32 v[44:45], v14 offset0:192 offset1:208
	;; [unrolled: 1-line block ×3, first 2 shown]
	s_waitcnt lgkmcnt(9)
	v_pk_fma_f32 v[2:3], v[32:33], v[16:17], v[2:3] op_sel_hi:[1,0,1]
	s_waitcnt lgkmcnt(4)
	v_pk_fma_f32 v[0:1], v[32:33], v[24:25], v[0:1] op_sel_hi:[1,0,1]
	v_pk_fma_f32 v[2:3], v[34:35], v[16:17], v[2:3] op_sel:[0,1,0]
	v_mov_b32_e32 v16, v19
	v_pk_fma_f32 v[2:3], v[36:37], v[18:19], v[2:3] op_sel_hi:[1,0,1]
	v_pk_fma_f32 v[0:1], v[34:35], v[24:25], v[0:1] op_sel:[0,1,0]
	v_pk_fma_f32 v[2:3], v[38:39], v[16:17], v[2:3] op_sel_hi:[1,0,1]
	v_mov_b32_e32 v16, v23
	v_pk_fma_f32 v[2:3], v[40:41], v[20:21], v[2:3] op_sel_hi:[1,0,1]
	v_pk_fma_f32 v[0:1], v[36:37], v[26:27], v[0:1] op_sel_hi:[1,0,1]
	s_waitcnt lgkmcnt(2)
	v_pk_fma_f32 v[2:3], v[42:43], v[20:21], v[2:3] op_sel:[0,1,0]
	s_add_i32 s5, s5, 8
	s_waitcnt lgkmcnt(1)
	v_pk_fma_f32 v[2:3], v[44:45], v[22:23], v[2:3] op_sel_hi:[1,0,1]
	v_lshl_add_u64 v[4:5], v[4:5], 0, 32
	s_waitcnt lgkmcnt(0)
	v_pk_fma_f32 v[2:3], v[46:47], v[16:17], v[2:3] op_sel_hi:[1,0,1]
	v_mov_b32_e32 v16, v27
	v_pk_fma_f32 v[0:1], v[38:39], v[16:17], v[0:1] op_sel_hi:[1,0,1]
	v_mov_b32_e32 v16, v31
	v_pk_fma_f32 v[0:1], v[40:41], v[28:29], v[0:1] op_sel_hi:[1,0,1]
	s_cmp_lt_i32 s5, s17
	v_pk_fma_f32 v[0:1], v[42:43], v[28:29], v[0:1] op_sel:[0,1,0]
	v_lshl_add_u64 v[6:7], v[6:7], 0, s[8:9]
	v_pk_fma_f32 v[0:1], v[44:45], v[30:31], v[0:1] op_sel_hi:[1,0,1]
	s_nop 0
	v_pk_fma_f32 v[0:1], v[46:47], v[16:17], v[0:1] op_sel_hi:[1,0,1]
	s_barrier
	s_cbranch_scc0 .LBB296_10
.LBB296_6:                              ; =>This Inner Loop Header: Depth=1
	v_add_u32_e32 v16, s5, v11
	v_cmp_gt_i32_e64 s[6:7], s17, v16
	s_and_b64 s[14:15], vcc, s[6:7]
	v_mov_b32_e32 v16, 0
	s_and_saveexec_b64 s[6:7], s[14:15]
	s_cbranch_execz .LBB296_8
; %bb.7:                                ;   in Loop: Header=BB296_6 Depth=1
	flat_load_dword v16, v[4:5]
.LBB296_8:                              ;   in Loop: Header=BB296_6 Depth=1
	s_or_b64 exec, exec, s[6:7]
	s_waitcnt vmcnt(0) lgkmcnt(0)
	ds_write_b32 v12, v16
	v_add_u32_e32 v16, s5, v10
	v_cmp_gt_i32_e64 s[6:7], s17, v16
	s_and_b64 s[14:15], s[6:7], s[2:3]
	v_mov_b32_e32 v16, 0
	s_and_saveexec_b64 s[6:7], s[14:15]
	s_cbranch_execz .LBB296_5
; %bb.9:                                ;   in Loop: Header=BB296_6 Depth=1
	flat_load_dword v16, v[6:7]
	s_branch .LBB296_5
.LBB296_10:
	s_load_dwordx2 s[6:7], s[0:1], 0x58
	s_load_dword s8, s[0:1], 0x50
	v_add_u32_e32 v4, s4, v8
	v_add_u32_e32 v10, s12, v9
	v_cmp_gt_i32_e64 s[2:3], s16, v10
	s_waitcnt lgkmcnt(0)
	s_lshl_b64 s[0:1], s[6:7], 2
	s_add_u32 s4, s10, s0
	s_addc_u32 s5, s11, s1
	v_mad_i64_i32 v[6:7], s[0:1], v10, s8, 0
	v_cmp_neq_f32_e64 s[0:1], s18, 0
	v_lshl_add_u64 v[8:9], v[6:7], 2, s[4:5]
	v_cmp_le_i32_e32 vcc, v4, v10
	v_cndmask_b32_e64 v6, 0, 1, s[0:1]
	s_and_b64 s[10:11], s[2:3], vcc
	v_ashrrev_i32_e32 v5, 31, v4
	v_cmp_ne_u32_e64 s[0:1], 1, v6
	s_and_saveexec_b64 s[6:7], s[10:11]
	s_cbranch_execz .LBB296_14
; %bb.11:
	v_mul_f32_e32 v2, s19, v2
	s_and_b64 vcc, exec, s[0:1]
	v_lshl_add_u64 v[6:7], v[4:5], 2, v[8:9]
	s_cbranch_vccnz .LBB296_13
; %bb.12:
	flat_load_dword v11, v[6:7]
	s_waitcnt vmcnt(0) lgkmcnt(0)
	v_fmac_f32_e32 v2, s18, v11
.LBB296_13:
	flat_store_dword v[6:7], v2
.LBB296_14:
	s_or_b64 exec, exec, s[6:7]
	v_add_u32_e32 v6, 16, v4
	v_cmp_le_i32_e32 vcc, v6, v10
	s_and_b64 s[6:7], s[2:3], vcc
	v_ashrrev_i32_e32 v7, 31, v6
	s_and_saveexec_b64 s[2:3], s[6:7]
	s_cbranch_execz .LBB296_18
; %bb.15:
	v_mul_f32_e32 v11, s19, v3
	s_and_b64 vcc, exec, s[0:1]
	v_lshl_add_u64 v[2:3], v[6:7], 2, v[8:9]
	s_cbranch_vccnz .LBB296_17
; %bb.16:
	flat_load_dword v8, v[2:3]
	s_waitcnt vmcnt(0) lgkmcnt(0)
	v_fmac_f32_e32 v11, s18, v8
.LBB296_17:
	flat_store_dword v[2:3], v11
.LBB296_18:
	s_or_b64 exec, exec, s[2:3]
	v_add_u32_e32 v8, 16, v10
	v_cmp_gt_i32_e64 s[2:3], s16, v8
	v_mad_i64_i32 v[2:3], s[6:7], v8, s8, 0
	v_cmp_le_i32_e32 vcc, v4, v8
	v_lshl_add_u64 v[2:3], v[2:3], 2, s[4:5]
	s_and_b64 s[6:7], s[2:3], vcc
	s_and_saveexec_b64 s[4:5], s[6:7]
	s_cbranch_execz .LBB296_22
; %bb.19:
	v_mul_f32_e32 v0, s19, v0
	s_and_b64 vcc, exec, s[0:1]
	v_lshl_add_u64 v[4:5], v[4:5], 2, v[2:3]
	s_cbranch_vccnz .LBB296_21
; %bb.20:
	flat_load_dword v9, v[4:5]
	s_waitcnt vmcnt(0) lgkmcnt(0)
	v_fmac_f32_e32 v0, s18, v9
.LBB296_21:
	flat_store_dword v[4:5], v0
.LBB296_22:
	s_or_b64 exec, exec, s[4:5]
	v_cmp_le_i32_e32 vcc, v6, v8
	s_and_b64 s[2:3], s[2:3], vcc
	s_and_saveexec_b64 s[4:5], s[2:3]
	s_cbranch_execz .LBB296_26
; %bb.23:
	v_mul_f32_e32 v4, s19, v1
	s_and_b64 vcc, exec, s[0:1]
	v_lshl_add_u64 v[0:1], v[6:7], 2, v[2:3]
	s_cbranch_vccnz .LBB296_25
; %bb.24:
	flat_load_dword v2, v[0:1]
	s_waitcnt vmcnt(0) lgkmcnt(0)
	v_fmac_f32_e32 v4, s18, v2
.LBB296_25:
	flat_store_dword v[0:1], v4
.LBB296_26:
	s_endpgm
	.section	.rodata,"a",@progbits
	.p2align	6, 0x0
	.amdhsa_kernel _ZL29rocblas_internal_gemmt_kernelIiLi16ELi32ELi8ELc67ELc67ELc85ELb0ELb0EfPKfPKS1_PKPfEviT_T9_T10_S7_lS9_S7_lS8_T11_S7_li
		.amdhsa_group_segment_fixed_size 2048
		.amdhsa_private_segment_fixed_size 0
		.amdhsa_kernarg_size 100
		.amdhsa_user_sgpr_count 2
		.amdhsa_user_sgpr_dispatch_ptr 0
		.amdhsa_user_sgpr_queue_ptr 0
		.amdhsa_user_sgpr_kernarg_segment_ptr 1
		.amdhsa_user_sgpr_dispatch_id 0
		.amdhsa_user_sgpr_kernarg_preload_length 0
		.amdhsa_user_sgpr_kernarg_preload_offset 0
		.amdhsa_user_sgpr_private_segment_size 0
		.amdhsa_uses_dynamic_stack 0
		.amdhsa_enable_private_segment 0
		.amdhsa_system_sgpr_workgroup_id_x 1
		.amdhsa_system_sgpr_workgroup_id_y 1
		.amdhsa_system_sgpr_workgroup_id_z 1
		.amdhsa_system_sgpr_workgroup_info 0
		.amdhsa_system_vgpr_workitem_id 1
		.amdhsa_next_free_vgpr 48
		.amdhsa_next_free_sgpr 26
		.amdhsa_accum_offset 48
		.amdhsa_reserve_vcc 1
		.amdhsa_float_round_mode_32 0
		.amdhsa_float_round_mode_16_64 0
		.amdhsa_float_denorm_mode_32 3
		.amdhsa_float_denorm_mode_16_64 3
		.amdhsa_dx10_clamp 1
		.amdhsa_ieee_mode 1
		.amdhsa_fp16_overflow 0
		.amdhsa_tg_split 0
		.amdhsa_exception_fp_ieee_invalid_op 0
		.amdhsa_exception_fp_denorm_src 0
		.amdhsa_exception_fp_ieee_div_zero 0
		.amdhsa_exception_fp_ieee_overflow 0
		.amdhsa_exception_fp_ieee_underflow 0
		.amdhsa_exception_fp_ieee_inexact 0
		.amdhsa_exception_int_div_zero 0
	.end_amdhsa_kernel
	.section	.text._ZL29rocblas_internal_gemmt_kernelIiLi16ELi32ELi8ELc67ELc67ELc85ELb0ELb0EfPKfPKS1_PKPfEviT_T9_T10_S7_lS9_S7_lS8_T11_S7_li,"axG",@progbits,_ZL29rocblas_internal_gemmt_kernelIiLi16ELi32ELi8ELc67ELc67ELc85ELb0ELb0EfPKfPKS1_PKPfEviT_T9_T10_S7_lS9_S7_lS8_T11_S7_li,comdat
.Lfunc_end296:
	.size	_ZL29rocblas_internal_gemmt_kernelIiLi16ELi32ELi8ELc67ELc67ELc85ELb0ELb0EfPKfPKS1_PKPfEviT_T9_T10_S7_lS9_S7_lS8_T11_S7_li, .Lfunc_end296-_ZL29rocblas_internal_gemmt_kernelIiLi16ELi32ELi8ELc67ELc67ELc85ELb0ELb0EfPKfPKS1_PKPfEviT_T9_T10_S7_lS9_S7_lS8_T11_S7_li
                                        ; -- End function
	.set _ZL29rocblas_internal_gemmt_kernelIiLi16ELi32ELi8ELc67ELc67ELc85ELb0ELb0EfPKfPKS1_PKPfEviT_T9_T10_S7_lS9_S7_lS8_T11_S7_li.num_vgpr, 48
	.set _ZL29rocblas_internal_gemmt_kernelIiLi16ELi32ELi8ELc67ELc67ELc85ELb0ELb0EfPKfPKS1_PKPfEviT_T9_T10_S7_lS9_S7_lS8_T11_S7_li.num_agpr, 0
	.set _ZL29rocblas_internal_gemmt_kernelIiLi16ELi32ELi8ELc67ELc67ELc85ELb0ELb0EfPKfPKS1_PKPfEviT_T9_T10_S7_lS9_S7_lS8_T11_S7_li.numbered_sgpr, 26
	.set _ZL29rocblas_internal_gemmt_kernelIiLi16ELi32ELi8ELc67ELc67ELc85ELb0ELb0EfPKfPKS1_PKPfEviT_T9_T10_S7_lS9_S7_lS8_T11_S7_li.num_named_barrier, 0
	.set _ZL29rocblas_internal_gemmt_kernelIiLi16ELi32ELi8ELc67ELc67ELc85ELb0ELb0EfPKfPKS1_PKPfEviT_T9_T10_S7_lS9_S7_lS8_T11_S7_li.private_seg_size, 0
	.set _ZL29rocblas_internal_gemmt_kernelIiLi16ELi32ELi8ELc67ELc67ELc85ELb0ELb0EfPKfPKS1_PKPfEviT_T9_T10_S7_lS9_S7_lS8_T11_S7_li.uses_vcc, 1
	.set _ZL29rocblas_internal_gemmt_kernelIiLi16ELi32ELi8ELc67ELc67ELc85ELb0ELb0EfPKfPKS1_PKPfEviT_T9_T10_S7_lS9_S7_lS8_T11_S7_li.uses_flat_scratch, 0
	.set _ZL29rocblas_internal_gemmt_kernelIiLi16ELi32ELi8ELc67ELc67ELc85ELb0ELb0EfPKfPKS1_PKPfEviT_T9_T10_S7_lS9_S7_lS8_T11_S7_li.has_dyn_sized_stack, 0
	.set _ZL29rocblas_internal_gemmt_kernelIiLi16ELi32ELi8ELc67ELc67ELc85ELb0ELb0EfPKfPKS1_PKPfEviT_T9_T10_S7_lS9_S7_lS8_T11_S7_li.has_recursion, 0
	.set _ZL29rocblas_internal_gemmt_kernelIiLi16ELi32ELi8ELc67ELc67ELc85ELb0ELb0EfPKfPKS1_PKPfEviT_T9_T10_S7_lS9_S7_lS8_T11_S7_li.has_indirect_call, 0
	.section	.AMDGPU.csdata,"",@progbits
; Kernel info:
; codeLenInByte = 1268
; TotalNumSgprs: 32
; NumVgprs: 48
; NumAgprs: 0
; TotalNumVgprs: 48
; ScratchSize: 0
; MemoryBound: 0
; FloatMode: 240
; IeeeMode: 1
; LDSByteSize: 2048 bytes/workgroup (compile time only)
; SGPRBlocks: 3
; VGPRBlocks: 5
; NumSGPRsForWavesPerEU: 32
; NumVGPRsForWavesPerEU: 48
; AccumOffset: 48
; Occupancy: 8
; WaveLimiterHint : 1
; COMPUTE_PGM_RSRC2:SCRATCH_EN: 0
; COMPUTE_PGM_RSRC2:USER_SGPR: 2
; COMPUTE_PGM_RSRC2:TRAP_HANDLER: 0
; COMPUTE_PGM_RSRC2:TGID_X_EN: 1
; COMPUTE_PGM_RSRC2:TGID_Y_EN: 1
; COMPUTE_PGM_RSRC2:TGID_Z_EN: 1
; COMPUTE_PGM_RSRC2:TIDIG_COMP_CNT: 1
; COMPUTE_PGM_RSRC3_GFX90A:ACCUM_OFFSET: 11
; COMPUTE_PGM_RSRC3_GFX90A:TG_SPLIT: 0
	.section	.text._ZL29rocblas_internal_gemmt_kernelIiLi16ELi32ELi8ELc78ELc78ELc76ELb0ELb0EfPKfPKS1_PKPfEviT_T9_T10_S7_lS9_S7_lS8_T11_S7_li,"axG",@progbits,_ZL29rocblas_internal_gemmt_kernelIiLi16ELi32ELi8ELc78ELc78ELc76ELb0ELb0EfPKfPKS1_PKPfEviT_T9_T10_S7_lS9_S7_lS8_T11_S7_li,comdat
	.globl	_ZL29rocblas_internal_gemmt_kernelIiLi16ELi32ELi8ELc78ELc78ELc76ELb0ELb0EfPKfPKS1_PKPfEviT_T9_T10_S7_lS9_S7_lS8_T11_S7_li ; -- Begin function _ZL29rocblas_internal_gemmt_kernelIiLi16ELi32ELi8ELc78ELc78ELc76ELb0ELb0EfPKfPKS1_PKPfEviT_T9_T10_S7_lS9_S7_lS8_T11_S7_li
	.p2align	8
	.type	_ZL29rocblas_internal_gemmt_kernelIiLi16ELi32ELi8ELc78ELc78ELc76ELb0ELb0EfPKfPKS1_PKPfEviT_T9_T10_S7_lS9_S7_lS8_T11_S7_li,@function
_ZL29rocblas_internal_gemmt_kernelIiLi16ELi32ELi8ELc78ELc78ELc76ELb0ELb0EfPKfPKS1_PKPfEviT_T9_T10_S7_lS9_S7_lS8_T11_S7_li: ; @_ZL29rocblas_internal_gemmt_kernelIiLi16ELi32ELi8ELc78ELc78ELc76ELb0ELb0EfPKfPKS1_PKPfEviT_T9_T10_S7_lS9_S7_lS8_T11_S7_li
; %bb.0:
	s_load_dwordx4 s[8:11], s[0:1], 0x38
	s_load_dwordx4 s[12:15], s[0:1], 0x8
	s_waitcnt lgkmcnt(0)
	s_load_dword s18, s[10:11], 0x0
	s_load_dwordx2 s[16:17], s[0:1], 0x0
	s_load_dword s19, s[12:13], 0x0
	s_waitcnt lgkmcnt(0)
	v_cmp_neq_f32_e64 s[6:7], s18, 1.0
	s_and_b64 vcc, exec, s[6:7]
	s_cbranch_vccnz .LBB297_2
; %bb.1:
	s_cmp_lg_u32 s17, 0
	s_cselect_b64 s[6:7], -1, 0
	v_cmp_neq_f32_e64 s[10:11], s19, 0
	s_and_b64 s[6:7], s[6:7], s[10:11]
.LBB297_2:
	s_andn2_b64 vcc, exec, s[6:7]
	s_cbranch_vccnz .LBB297_26
; %bb.3:
	s_load_dwordx2 s[10:11], s[0:1], 0x48
	s_mov_b32 s5, 0
	s_lshl_b64 s[6:7], s[4:5], 3
	v_mov_b32_e32 v3, 0
	v_and_b32_e32 v8, 0x3ff, v0
	s_waitcnt lgkmcnt(0)
	s_add_u32 s10, s10, s6
	s_addc_u32 s11, s11, s7
	s_load_dwordx2 s[10:11], s[10:11], 0x0
	s_lshl_b32 s4, s2, 5
	s_lshl_b32 s20, s3, 5
	s_cmp_lt_i32 s17, 1
	v_cmp_eq_f32_e64 s[2:3], s19, 0
	s_cselect_b64 s[12:13], -1, 0
	s_or_b64 s[2:3], s[2:3], s[12:13]
	v_bfe_u32 v9, v0, 10, 10
	s_and_b64 vcc, exec, s[2:3]
	v_mov_b32_e32 v2, v3
	v_mov_b32_e32 v1, v3
	;; [unrolled: 1-line block ×3, first 2 shown]
	s_cbranch_vccnz .LBB297_10
; %bb.4:
	s_load_dword s12, s[0:1], 0x18
	s_load_dwordx4 s[24:27], s[0:1], 0x20
	s_load_dword s21, s[0:1], 0x30
	v_lshl_add_u32 v0, v9, 4, v8
	v_lshrrev_b32_e32 v11, 5, v0
	v_and_b32_e32 v4, 31, v0
	s_waitcnt lgkmcnt(0)
	s_ashr_i32 s13, s12, 31
	s_add_u32 s2, s26, s6
	s_addc_u32 s3, s27, s7
	s_load_dwordx2 s[22:23], s[2:3], 0x0
	s_add_u32 s2, s14, s6
	s_addc_u32 s3, s15, s7
	s_load_dwordx2 s[6:7], s[2:3], 0x0
	v_lshrrev_b32_e32 v1, 3, v0
	v_or_b32_e32 v0, s4, v4
	v_mad_i64_i32 v[2:3], s[14:15], v11, s12, 0
	v_cmp_gt_i32_e32 vcc, s16, v0
	v_lshlrev_b32_e32 v0, 2, v4
	s_lshl_b64 s[14:15], s[24:25], 2
	v_add_u32_e32 v4, s4, v4
	v_and_b32_e32 v10, 7, v8
	v_lshl_add_u64 v[2:3], v[2:3], 2, s[14:15]
	v_ashrrev_i32_e32 v5, 31, v4
	v_add_u32_e32 v6, s20, v1
	v_lshl_or_b32 v12, v11, 7, v0
	v_lshlrev_b32_e32 v0, 2, v10
	v_lshl_add_u64 v[2:3], v[4:5], 2, v[2:3]
	v_lshl_or_b32 v1, v1, 5, v0
	s_waitcnt lgkmcnt(0)
	v_lshl_add_u64 v[4:5], s[6:7], 0, v[2:3]
	v_mad_i64_i32 v[2:3], s[6:7], s21, v6, 0
	v_add_u32_e32 v13, 0x400, v1
	v_mov_b32_e32 v1, 0x400
	s_lshl_b64 s[6:7], s[8:9], 2
	v_lshl_add_u32 v15, v9, 5, v1
	v_lshl_add_u64 v[2:3], v[2:3], 2, s[6:7]
	v_mov_b32_e32 v1, 0
	v_lshl_add_u64 v[2:3], v[2:3], 0, v[0:1]
	v_cmp_gt_i32_e64 s[2:3], s16, v6
	v_lshlrev_b32_e32 v14, 2, v8
	s_lshl_b64 s[12:13], s[12:13], 5
	v_lshl_add_u64 v[6:7], s[22:23], 0, v[2:3]
	v_mov_b32_e32 v0, v1
	v_mov_b32_e32 v2, v1
	;; [unrolled: 1-line block ×3, first 2 shown]
	s_branch .LBB297_6
.LBB297_5:                              ;   in Loop: Header=BB297_6 Depth=1
	s_or_b64 exec, exec, s[6:7]
	s_waitcnt vmcnt(0) lgkmcnt(0)
	ds_write_b32 v13, v16
	s_waitcnt lgkmcnt(0)
	s_barrier
	ds_read_b128 v[16:19], v15
	ds_read_b128 v[20:23], v15 offset:16
	ds_read2_b32 v[32:33], v14 offset1:16
	ds_read2_b32 v[34:35], v14 offset0:32 offset1:48
	ds_read2_b32 v[36:37], v14 offset0:64 offset1:80
	;; [unrolled: 1-line block ×4, first 2 shown]
	ds_read_b128 v[24:27], v15 offset:512
	ds_read_b128 v[28:31], v15 offset:528
	ds_read2_b32 v[42:43], v14 offset0:160 offset1:176
	ds_read2_b32 v[44:45], v14 offset0:192 offset1:208
	;; [unrolled: 1-line block ×3, first 2 shown]
	s_waitcnt lgkmcnt(9)
	v_pk_fma_f32 v[2:3], v[32:33], v[16:17], v[2:3] op_sel_hi:[1,0,1]
	s_waitcnt lgkmcnt(4)
	v_pk_fma_f32 v[0:1], v[32:33], v[24:25], v[0:1] op_sel_hi:[1,0,1]
	v_pk_fma_f32 v[2:3], v[34:35], v[16:17], v[2:3] op_sel:[0,1,0]
	v_mov_b32_e32 v16, v19
	v_pk_fma_f32 v[2:3], v[36:37], v[18:19], v[2:3] op_sel_hi:[1,0,1]
	v_pk_fma_f32 v[0:1], v[34:35], v[24:25], v[0:1] op_sel:[0,1,0]
	v_pk_fma_f32 v[2:3], v[38:39], v[16:17], v[2:3] op_sel_hi:[1,0,1]
	v_mov_b32_e32 v16, v23
	v_pk_fma_f32 v[2:3], v[40:41], v[20:21], v[2:3] op_sel_hi:[1,0,1]
	v_pk_fma_f32 v[0:1], v[36:37], v[26:27], v[0:1] op_sel_hi:[1,0,1]
	s_waitcnt lgkmcnt(2)
	v_pk_fma_f32 v[2:3], v[42:43], v[20:21], v[2:3] op_sel:[0,1,0]
	s_add_i32 s5, s5, 8
	s_waitcnt lgkmcnt(1)
	v_pk_fma_f32 v[2:3], v[44:45], v[22:23], v[2:3] op_sel_hi:[1,0,1]
	v_lshl_add_u64 v[4:5], v[4:5], 0, s[12:13]
	s_waitcnt lgkmcnt(0)
	v_pk_fma_f32 v[2:3], v[46:47], v[16:17], v[2:3] op_sel_hi:[1,0,1]
	v_mov_b32_e32 v16, v27
	v_pk_fma_f32 v[0:1], v[38:39], v[16:17], v[0:1] op_sel_hi:[1,0,1]
	v_mov_b32_e32 v16, v31
	v_pk_fma_f32 v[0:1], v[40:41], v[28:29], v[0:1] op_sel_hi:[1,0,1]
	s_cmp_lt_i32 s5, s17
	v_pk_fma_f32 v[0:1], v[42:43], v[28:29], v[0:1] op_sel:[0,1,0]
	v_lshl_add_u64 v[6:7], v[6:7], 0, 32
	v_pk_fma_f32 v[0:1], v[44:45], v[30:31], v[0:1] op_sel_hi:[1,0,1]
	s_nop 0
	v_pk_fma_f32 v[0:1], v[46:47], v[16:17], v[0:1] op_sel_hi:[1,0,1]
	s_barrier
	s_cbranch_scc0 .LBB297_10
.LBB297_6:                              ; =>This Inner Loop Header: Depth=1
	v_add_u32_e32 v16, s5, v11
	v_cmp_gt_i32_e64 s[6:7], s17, v16
	s_and_b64 s[8:9], vcc, s[6:7]
	v_mov_b32_e32 v16, 0
	s_and_saveexec_b64 s[6:7], s[8:9]
	s_cbranch_execz .LBB297_8
; %bb.7:                                ;   in Loop: Header=BB297_6 Depth=1
	flat_load_dword v16, v[4:5]
.LBB297_8:                              ;   in Loop: Header=BB297_6 Depth=1
	s_or_b64 exec, exec, s[6:7]
	s_waitcnt vmcnt(0) lgkmcnt(0)
	ds_write_b32 v12, v16
	v_add_u32_e32 v16, s5, v10
	v_cmp_gt_i32_e64 s[6:7], s17, v16
	s_and_b64 s[8:9], s[6:7], s[2:3]
	v_mov_b32_e32 v16, 0
	s_and_saveexec_b64 s[6:7], s[8:9]
	s_cbranch_execz .LBB297_5
; %bb.9:                                ;   in Loop: Header=BB297_6 Depth=1
	flat_load_dword v16, v[6:7]
	s_branch .LBB297_5
.LBB297_10:
	s_load_dwordx2 s[2:3], s[0:1], 0x58
	s_load_dword s12, s[0:1], 0x50
	v_add_u32_e32 v10, s20, v9
	v_add_u32_e32 v4, s4, v8
	v_cmp_le_i32_e32 vcc, v10, v4
	s_waitcnt lgkmcnt(0)
	s_lshl_b64 s[0:1], s[2:3], 2
	s_add_u32 s6, s10, s0
	s_addc_u32 s7, s11, s1
	v_mad_i64_i32 v[6:7], s[0:1], v10, s12, 0
	v_cmp_neq_f32_e64 s[0:1], s18, 0
	v_lshl_add_u64 v[8:9], v[6:7], 2, s[6:7]
	v_cmp_gt_i32_e64 s[2:3], s16, v4
	v_cndmask_b32_e64 v6, 0, 1, s[0:1]
	s_and_b64 s[8:9], vcc, s[2:3]
	v_ashrrev_i32_e32 v5, 31, v4
	v_cmp_ne_u32_e64 s[0:1], 1, v6
	s_and_saveexec_b64 s[4:5], s[8:9]
	s_cbranch_execz .LBB297_14
; %bb.11:
	v_mul_f32_e32 v2, s19, v2
	s_and_b64 vcc, exec, s[0:1]
	v_lshl_add_u64 v[6:7], v[4:5], 2, v[8:9]
	s_cbranch_vccnz .LBB297_13
; %bb.12:
	flat_load_dword v11, v[6:7]
	s_waitcnt vmcnt(0) lgkmcnt(0)
	v_fmac_f32_e32 v2, s18, v11
.LBB297_13:
	flat_store_dword v[6:7], v2
.LBB297_14:
	s_or_b64 exec, exec, s[4:5]
	v_add_u32_e32 v6, 16, v4
	v_cmp_le_i32_e32 vcc, v10, v6
	v_cmp_gt_i32_e64 s[4:5], s16, v6
	s_and_b64 s[10:11], vcc, s[4:5]
	v_ashrrev_i32_e32 v7, 31, v6
	s_and_saveexec_b64 s[8:9], s[10:11]
	s_cbranch_execz .LBB297_18
; %bb.15:
	v_mul_f32_e32 v11, s19, v3
	s_and_b64 vcc, exec, s[0:1]
	v_lshl_add_u64 v[2:3], v[6:7], 2, v[8:9]
	s_cbranch_vccnz .LBB297_17
; %bb.16:
	flat_load_dword v8, v[2:3]
	s_waitcnt vmcnt(0) lgkmcnt(0)
	v_fmac_f32_e32 v11, s18, v8
.LBB297_17:
	flat_store_dword v[2:3], v11
.LBB297_18:
	s_or_b64 exec, exec, s[8:9]
	v_add_u32_e32 v8, 16, v10
	v_mad_i64_i32 v[2:3], s[8:9], v8, s12, 0
	v_cmp_le_i32_e32 vcc, v8, v4
	v_lshl_add_u64 v[2:3], v[2:3], 2, s[6:7]
	s_and_b64 s[6:7], vcc, s[2:3]
	s_and_saveexec_b64 s[2:3], s[6:7]
	s_cbranch_execz .LBB297_22
; %bb.19:
	v_mul_f32_e32 v0, s19, v0
	s_and_b64 vcc, exec, s[0:1]
	v_lshl_add_u64 v[4:5], v[4:5], 2, v[2:3]
	s_cbranch_vccnz .LBB297_21
; %bb.20:
	flat_load_dword v9, v[4:5]
	s_waitcnt vmcnt(0) lgkmcnt(0)
	v_fmac_f32_e32 v0, s18, v9
.LBB297_21:
	flat_store_dword v[4:5], v0
.LBB297_22:
	s_or_b64 exec, exec, s[2:3]
	v_cmp_le_i32_e32 vcc, v8, v6
	s_and_b64 s[2:3], vcc, s[4:5]
	s_and_saveexec_b64 s[4:5], s[2:3]
	s_cbranch_execz .LBB297_26
; %bb.23:
	v_mul_f32_e32 v4, s19, v1
	s_and_b64 vcc, exec, s[0:1]
	v_lshl_add_u64 v[0:1], v[6:7], 2, v[2:3]
	s_cbranch_vccnz .LBB297_25
; %bb.24:
	flat_load_dword v2, v[0:1]
	s_waitcnt vmcnt(0) lgkmcnt(0)
	v_fmac_f32_e32 v4, s18, v2
.LBB297_25:
	flat_store_dword v[0:1], v4
.LBB297_26:
	s_endpgm
	.section	.rodata,"a",@progbits
	.p2align	6, 0x0
	.amdhsa_kernel _ZL29rocblas_internal_gemmt_kernelIiLi16ELi32ELi8ELc78ELc78ELc76ELb0ELb0EfPKfPKS1_PKPfEviT_T9_T10_S7_lS9_S7_lS8_T11_S7_li
		.amdhsa_group_segment_fixed_size 2048
		.amdhsa_private_segment_fixed_size 0
		.amdhsa_kernarg_size 100
		.amdhsa_user_sgpr_count 2
		.amdhsa_user_sgpr_dispatch_ptr 0
		.amdhsa_user_sgpr_queue_ptr 0
		.amdhsa_user_sgpr_kernarg_segment_ptr 1
		.amdhsa_user_sgpr_dispatch_id 0
		.amdhsa_user_sgpr_kernarg_preload_length 0
		.amdhsa_user_sgpr_kernarg_preload_offset 0
		.amdhsa_user_sgpr_private_segment_size 0
		.amdhsa_uses_dynamic_stack 0
		.amdhsa_enable_private_segment 0
		.amdhsa_system_sgpr_workgroup_id_x 1
		.amdhsa_system_sgpr_workgroup_id_y 1
		.amdhsa_system_sgpr_workgroup_id_z 1
		.amdhsa_system_sgpr_workgroup_info 0
		.amdhsa_system_vgpr_workitem_id 1
		.amdhsa_next_free_vgpr 48
		.amdhsa_next_free_sgpr 28
		.amdhsa_accum_offset 48
		.amdhsa_reserve_vcc 1
		.amdhsa_float_round_mode_32 0
		.amdhsa_float_round_mode_16_64 0
		.amdhsa_float_denorm_mode_32 3
		.amdhsa_float_denorm_mode_16_64 3
		.amdhsa_dx10_clamp 1
		.amdhsa_ieee_mode 1
		.amdhsa_fp16_overflow 0
		.amdhsa_tg_split 0
		.amdhsa_exception_fp_ieee_invalid_op 0
		.amdhsa_exception_fp_denorm_src 0
		.amdhsa_exception_fp_ieee_div_zero 0
		.amdhsa_exception_fp_ieee_overflow 0
		.amdhsa_exception_fp_ieee_underflow 0
		.amdhsa_exception_fp_ieee_inexact 0
		.amdhsa_exception_int_div_zero 0
	.end_amdhsa_kernel
	.section	.text._ZL29rocblas_internal_gemmt_kernelIiLi16ELi32ELi8ELc78ELc78ELc76ELb0ELb0EfPKfPKS1_PKPfEviT_T9_T10_S7_lS9_S7_lS8_T11_S7_li,"axG",@progbits,_ZL29rocblas_internal_gemmt_kernelIiLi16ELi32ELi8ELc78ELc78ELc76ELb0ELb0EfPKfPKS1_PKPfEviT_T9_T10_S7_lS9_S7_lS8_T11_S7_li,comdat
.Lfunc_end297:
	.size	_ZL29rocblas_internal_gemmt_kernelIiLi16ELi32ELi8ELc78ELc78ELc76ELb0ELb0EfPKfPKS1_PKPfEviT_T9_T10_S7_lS9_S7_lS8_T11_S7_li, .Lfunc_end297-_ZL29rocblas_internal_gemmt_kernelIiLi16ELi32ELi8ELc78ELc78ELc76ELb0ELb0EfPKfPKS1_PKPfEviT_T9_T10_S7_lS9_S7_lS8_T11_S7_li
                                        ; -- End function
	.set _ZL29rocblas_internal_gemmt_kernelIiLi16ELi32ELi8ELc78ELc78ELc76ELb0ELb0EfPKfPKS1_PKPfEviT_T9_T10_S7_lS9_S7_lS8_T11_S7_li.num_vgpr, 48
	.set _ZL29rocblas_internal_gemmt_kernelIiLi16ELi32ELi8ELc78ELc78ELc76ELb0ELb0EfPKfPKS1_PKPfEviT_T9_T10_S7_lS9_S7_lS8_T11_S7_li.num_agpr, 0
	.set _ZL29rocblas_internal_gemmt_kernelIiLi16ELi32ELi8ELc78ELc78ELc76ELb0ELb0EfPKfPKS1_PKPfEviT_T9_T10_S7_lS9_S7_lS8_T11_S7_li.numbered_sgpr, 28
	.set _ZL29rocblas_internal_gemmt_kernelIiLi16ELi32ELi8ELc78ELc78ELc76ELb0ELb0EfPKfPKS1_PKPfEviT_T9_T10_S7_lS9_S7_lS8_T11_S7_li.num_named_barrier, 0
	.set _ZL29rocblas_internal_gemmt_kernelIiLi16ELi32ELi8ELc78ELc78ELc76ELb0ELb0EfPKfPKS1_PKPfEviT_T9_T10_S7_lS9_S7_lS8_T11_S7_li.private_seg_size, 0
	.set _ZL29rocblas_internal_gemmt_kernelIiLi16ELi32ELi8ELc78ELc78ELc76ELb0ELb0EfPKfPKS1_PKPfEviT_T9_T10_S7_lS9_S7_lS8_T11_S7_li.uses_vcc, 1
	.set _ZL29rocblas_internal_gemmt_kernelIiLi16ELi32ELi8ELc78ELc78ELc76ELb0ELb0EfPKfPKS1_PKPfEviT_T9_T10_S7_lS9_S7_lS8_T11_S7_li.uses_flat_scratch, 0
	.set _ZL29rocblas_internal_gemmt_kernelIiLi16ELi32ELi8ELc78ELc78ELc76ELb0ELb0EfPKfPKS1_PKPfEviT_T9_T10_S7_lS9_S7_lS8_T11_S7_li.has_dyn_sized_stack, 0
	.set _ZL29rocblas_internal_gemmt_kernelIiLi16ELi32ELi8ELc78ELc78ELc76ELb0ELb0EfPKfPKS1_PKPfEviT_T9_T10_S7_lS9_S7_lS8_T11_S7_li.has_recursion, 0
	.set _ZL29rocblas_internal_gemmt_kernelIiLi16ELi32ELi8ELc78ELc78ELc76ELb0ELb0EfPKfPKS1_PKPfEviT_T9_T10_S7_lS9_S7_lS8_T11_S7_li.has_indirect_call, 0
	.section	.AMDGPU.csdata,"",@progbits
; Kernel info:
; codeLenInByte = 1260
; TotalNumSgprs: 34
; NumVgprs: 48
; NumAgprs: 0
; TotalNumVgprs: 48
; ScratchSize: 0
; MemoryBound: 0
; FloatMode: 240
; IeeeMode: 1
; LDSByteSize: 2048 bytes/workgroup (compile time only)
; SGPRBlocks: 4
; VGPRBlocks: 5
; NumSGPRsForWavesPerEU: 34
; NumVGPRsForWavesPerEU: 48
; AccumOffset: 48
; Occupancy: 8
; WaveLimiterHint : 1
; COMPUTE_PGM_RSRC2:SCRATCH_EN: 0
; COMPUTE_PGM_RSRC2:USER_SGPR: 2
; COMPUTE_PGM_RSRC2:TRAP_HANDLER: 0
; COMPUTE_PGM_RSRC2:TGID_X_EN: 1
; COMPUTE_PGM_RSRC2:TGID_Y_EN: 1
; COMPUTE_PGM_RSRC2:TGID_Z_EN: 1
; COMPUTE_PGM_RSRC2:TIDIG_COMP_CNT: 1
; COMPUTE_PGM_RSRC3_GFX90A:ACCUM_OFFSET: 11
; COMPUTE_PGM_RSRC3_GFX90A:TG_SPLIT: 0
	.section	.text._ZL29rocblas_internal_gemmt_kernelIiLi16ELi32ELi8ELc78ELc84ELc76ELb0ELb0EfPKfPKS1_PKPfEviT_T9_T10_S7_lS9_S7_lS8_T11_S7_li,"axG",@progbits,_ZL29rocblas_internal_gemmt_kernelIiLi16ELi32ELi8ELc78ELc84ELc76ELb0ELb0EfPKfPKS1_PKPfEviT_T9_T10_S7_lS9_S7_lS8_T11_S7_li,comdat
	.globl	_ZL29rocblas_internal_gemmt_kernelIiLi16ELi32ELi8ELc78ELc84ELc76ELb0ELb0EfPKfPKS1_PKPfEviT_T9_T10_S7_lS9_S7_lS8_T11_S7_li ; -- Begin function _ZL29rocblas_internal_gemmt_kernelIiLi16ELi32ELi8ELc78ELc84ELc76ELb0ELb0EfPKfPKS1_PKPfEviT_T9_T10_S7_lS9_S7_lS8_T11_S7_li
	.p2align	8
	.type	_ZL29rocblas_internal_gemmt_kernelIiLi16ELi32ELi8ELc78ELc84ELc76ELb0ELb0EfPKfPKS1_PKPfEviT_T9_T10_S7_lS9_S7_lS8_T11_S7_li,@function
_ZL29rocblas_internal_gemmt_kernelIiLi16ELi32ELi8ELc78ELc84ELc76ELb0ELb0EfPKfPKS1_PKPfEviT_T9_T10_S7_lS9_S7_lS8_T11_S7_li: ; @_ZL29rocblas_internal_gemmt_kernelIiLi16ELi32ELi8ELc78ELc84ELc76ELb0ELb0EfPKfPKS1_PKPfEviT_T9_T10_S7_lS9_S7_lS8_T11_S7_li
; %bb.0:
	s_load_dwordx4 s[8:11], s[0:1], 0x38
	s_load_dwordx4 s[12:15], s[0:1], 0x8
	s_waitcnt lgkmcnt(0)
	s_load_dword s18, s[10:11], 0x0
	s_load_dwordx2 s[16:17], s[0:1], 0x0
	s_load_dword s19, s[12:13], 0x0
	s_waitcnt lgkmcnt(0)
	v_cmp_neq_f32_e64 s[6:7], s18, 1.0
	s_and_b64 vcc, exec, s[6:7]
	s_cbranch_vccnz .LBB298_2
; %bb.1:
	s_cmp_lg_u32 s17, 0
	s_cselect_b64 s[6:7], -1, 0
	v_cmp_neq_f32_e64 s[10:11], s19, 0
	s_and_b64 s[6:7], s[6:7], s[10:11]
.LBB298_2:
	s_andn2_b64 vcc, exec, s[6:7]
	s_cbranch_vccnz .LBB298_26
; %bb.3:
	s_load_dwordx2 s[10:11], s[0:1], 0x48
	s_mov_b32 s5, 0
	s_lshl_b64 s[6:7], s[4:5], 3
	v_mov_b32_e32 v3, 0
	v_and_b32_e32 v8, 0x3ff, v0
	s_waitcnt lgkmcnt(0)
	s_add_u32 s10, s10, s6
	s_addc_u32 s11, s11, s7
	s_load_dwordx2 s[10:11], s[10:11], 0x0
	s_lshl_b32 s4, s2, 5
	s_lshl_b32 s20, s3, 5
	s_cmp_lt_i32 s17, 1
	v_cmp_eq_f32_e64 s[2:3], s19, 0
	s_cselect_b64 s[12:13], -1, 0
	s_or_b64 s[2:3], s[2:3], s[12:13]
	v_bfe_u32 v9, v0, 10, 10
	s_and_b64 vcc, exec, s[2:3]
	v_mov_b32_e32 v2, v3
	v_mov_b32_e32 v1, v3
	;; [unrolled: 1-line block ×3, first 2 shown]
	s_cbranch_vccnz .LBB298_10
; %bb.4:
	s_load_dword s12, s[0:1], 0x18
	s_load_dwordx4 s[24:27], s[0:1], 0x20
	s_load_dword s22, s[0:1], 0x30
	v_lshl_add_u32 v1, v9, 4, v8
	v_and_b32_e32 v4, 31, v1
	s_waitcnt lgkmcnt(0)
	s_ashr_i32 s13, s12, 31
	v_lshrrev_b32_e32 v11, 5, v1
	s_ashr_i32 s23, s22, 31
	s_add_u32 s2, s26, s6
	v_lshrrev_b32_e32 v2, 3, v1
	v_or_b32_e32 v1, s4, v4
	s_addc_u32 s3, s27, s7
	v_and_b32_e32 v10, 7, v8
	s_load_dwordx2 s[26:27], s[2:3], 0x0
	s_add_u32 s2, s14, s6
	v_cmp_gt_i32_e32 vcc, s16, v1
	v_lshlrev_b32_e32 v1, 2, v4
	s_addc_u32 s3, s15, s7
	v_lshl_or_b32 v12, v11, 7, v1
	v_lshlrev_b32_e32 v1, 2, v10
	v_add_u32_e32 v0, s20, v2
	s_load_dwordx2 s[6:7], s[2:3], 0x0
	v_lshl_or_b32 v1, v2, 5, v1
	v_mov_b32_e32 v2, 0x400
	v_lshl_add_u32 v15, v9, 5, v2
	v_mad_i64_i32 v[2:3], s[14:15], v11, s12, 0
	s_lshl_b64 s[14:15], s[24:25], 2
	v_add_u32_e32 v4, s4, v4
	v_lshl_add_u64 v[2:3], v[2:3], 2, s[14:15]
	v_ashrrev_i32_e32 v5, 31, v4
	v_lshl_add_u64 v[2:3], v[4:5], 2, v[2:3]
	s_waitcnt lgkmcnt(0)
	v_lshl_add_u64 v[4:5], s[6:7], 0, v[2:3]
	v_mad_i64_i32 v[2:3], s[6:7], s22, v10, 0
	s_lshl_b64 s[6:7], s[8:9], 2
	v_add_u32_e32 v13, 0x400, v1
	v_ashrrev_i32_e32 v1, 31, v0
	v_lshl_add_u64 v[2:3], v[2:3], 2, s[6:7]
	v_cmp_gt_i32_e64 s[2:3], s16, v0
	v_lshl_add_u64 v[0:1], v[0:1], 2, v[2:3]
	v_lshl_add_u64 v[6:7], s[26:27], 0, v[0:1]
	v_mov_b32_e32 v0, 0
	v_lshlrev_b32_e32 v14, 2, v8
	s_lshl_b64 s[12:13], s[12:13], 5
	s_lshl_b64 s[8:9], s[22:23], 5
	v_mov_b32_e32 v1, v0
	v_mov_b32_e32 v2, v0
	;; [unrolled: 1-line block ×3, first 2 shown]
	s_branch .LBB298_6
.LBB298_5:                              ;   in Loop: Header=BB298_6 Depth=1
	s_or_b64 exec, exec, s[6:7]
	s_waitcnt vmcnt(0) lgkmcnt(0)
	ds_write_b32 v13, v16
	s_waitcnt lgkmcnt(0)
	s_barrier
	ds_read_b128 v[16:19], v15
	ds_read_b128 v[20:23], v15 offset:16
	ds_read2_b32 v[32:33], v14 offset1:16
	ds_read2_b32 v[34:35], v14 offset0:32 offset1:48
	ds_read2_b32 v[36:37], v14 offset0:64 offset1:80
	;; [unrolled: 1-line block ×4, first 2 shown]
	ds_read_b128 v[24:27], v15 offset:512
	ds_read_b128 v[28:31], v15 offset:528
	ds_read2_b32 v[42:43], v14 offset0:160 offset1:176
	ds_read2_b32 v[44:45], v14 offset0:192 offset1:208
	;; [unrolled: 1-line block ×3, first 2 shown]
	s_waitcnt lgkmcnt(9)
	v_pk_fma_f32 v[2:3], v[32:33], v[16:17], v[2:3] op_sel_hi:[1,0,1]
	s_waitcnt lgkmcnt(4)
	v_pk_fma_f32 v[0:1], v[32:33], v[24:25], v[0:1] op_sel_hi:[1,0,1]
	v_pk_fma_f32 v[2:3], v[34:35], v[16:17], v[2:3] op_sel:[0,1,0]
	v_mov_b32_e32 v16, v19
	v_pk_fma_f32 v[2:3], v[36:37], v[18:19], v[2:3] op_sel_hi:[1,0,1]
	v_pk_fma_f32 v[0:1], v[34:35], v[24:25], v[0:1] op_sel:[0,1,0]
	v_pk_fma_f32 v[2:3], v[38:39], v[16:17], v[2:3] op_sel_hi:[1,0,1]
	v_mov_b32_e32 v16, v23
	v_pk_fma_f32 v[2:3], v[40:41], v[20:21], v[2:3] op_sel_hi:[1,0,1]
	v_pk_fma_f32 v[0:1], v[36:37], v[26:27], v[0:1] op_sel_hi:[1,0,1]
	s_waitcnt lgkmcnt(2)
	v_pk_fma_f32 v[2:3], v[42:43], v[20:21], v[2:3] op_sel:[0,1,0]
	s_add_i32 s5, s5, 8
	s_waitcnt lgkmcnt(1)
	v_pk_fma_f32 v[2:3], v[44:45], v[22:23], v[2:3] op_sel_hi:[1,0,1]
	v_lshl_add_u64 v[4:5], v[4:5], 0, s[12:13]
	s_waitcnt lgkmcnt(0)
	v_pk_fma_f32 v[2:3], v[46:47], v[16:17], v[2:3] op_sel_hi:[1,0,1]
	v_mov_b32_e32 v16, v27
	v_pk_fma_f32 v[0:1], v[38:39], v[16:17], v[0:1] op_sel_hi:[1,0,1]
	v_mov_b32_e32 v16, v31
	v_pk_fma_f32 v[0:1], v[40:41], v[28:29], v[0:1] op_sel_hi:[1,0,1]
	s_cmp_lt_i32 s5, s17
	v_pk_fma_f32 v[0:1], v[42:43], v[28:29], v[0:1] op_sel:[0,1,0]
	v_lshl_add_u64 v[6:7], v[6:7], 0, s[8:9]
	v_pk_fma_f32 v[0:1], v[44:45], v[30:31], v[0:1] op_sel_hi:[1,0,1]
	s_nop 0
	v_pk_fma_f32 v[0:1], v[46:47], v[16:17], v[0:1] op_sel_hi:[1,0,1]
	s_barrier
	s_cbranch_scc0 .LBB298_10
.LBB298_6:                              ; =>This Inner Loop Header: Depth=1
	v_add_u32_e32 v16, s5, v11
	v_cmp_gt_i32_e64 s[6:7], s17, v16
	s_and_b64 s[14:15], vcc, s[6:7]
	v_mov_b32_e32 v16, 0
	s_and_saveexec_b64 s[6:7], s[14:15]
	s_cbranch_execz .LBB298_8
; %bb.7:                                ;   in Loop: Header=BB298_6 Depth=1
	flat_load_dword v16, v[4:5]
.LBB298_8:                              ;   in Loop: Header=BB298_6 Depth=1
	s_or_b64 exec, exec, s[6:7]
	s_waitcnt vmcnt(0) lgkmcnt(0)
	ds_write_b32 v12, v16
	v_add_u32_e32 v16, s5, v10
	v_cmp_gt_i32_e64 s[6:7], s17, v16
	s_and_b64 s[14:15], s[6:7], s[2:3]
	v_mov_b32_e32 v16, 0
	s_and_saveexec_b64 s[6:7], s[14:15]
	s_cbranch_execz .LBB298_5
; %bb.9:                                ;   in Loop: Header=BB298_6 Depth=1
	flat_load_dword v16, v[6:7]
	s_branch .LBB298_5
.LBB298_10:
	s_load_dwordx2 s[2:3], s[0:1], 0x58
	s_load_dword s12, s[0:1], 0x50
	v_add_u32_e32 v10, s20, v9
	v_add_u32_e32 v4, s4, v8
	v_cmp_le_i32_e32 vcc, v10, v4
	s_waitcnt lgkmcnt(0)
	s_lshl_b64 s[0:1], s[2:3], 2
	s_add_u32 s6, s10, s0
	s_addc_u32 s7, s11, s1
	v_mad_i64_i32 v[6:7], s[0:1], v10, s12, 0
	v_cmp_neq_f32_e64 s[0:1], s18, 0
	v_lshl_add_u64 v[8:9], v[6:7], 2, s[6:7]
	v_cmp_gt_i32_e64 s[2:3], s16, v4
	v_cndmask_b32_e64 v6, 0, 1, s[0:1]
	s_and_b64 s[8:9], vcc, s[2:3]
	v_ashrrev_i32_e32 v5, 31, v4
	v_cmp_ne_u32_e64 s[0:1], 1, v6
	s_and_saveexec_b64 s[4:5], s[8:9]
	s_cbranch_execz .LBB298_14
; %bb.11:
	v_mul_f32_e32 v2, s19, v2
	s_and_b64 vcc, exec, s[0:1]
	v_lshl_add_u64 v[6:7], v[4:5], 2, v[8:9]
	s_cbranch_vccnz .LBB298_13
; %bb.12:
	flat_load_dword v11, v[6:7]
	s_waitcnt vmcnt(0) lgkmcnt(0)
	v_fmac_f32_e32 v2, s18, v11
.LBB298_13:
	flat_store_dword v[6:7], v2
.LBB298_14:
	s_or_b64 exec, exec, s[4:5]
	v_add_u32_e32 v6, 16, v4
	v_cmp_le_i32_e32 vcc, v10, v6
	v_cmp_gt_i32_e64 s[4:5], s16, v6
	s_and_b64 s[10:11], vcc, s[4:5]
	v_ashrrev_i32_e32 v7, 31, v6
	s_and_saveexec_b64 s[8:9], s[10:11]
	s_cbranch_execz .LBB298_18
; %bb.15:
	v_mul_f32_e32 v11, s19, v3
	s_and_b64 vcc, exec, s[0:1]
	v_lshl_add_u64 v[2:3], v[6:7], 2, v[8:9]
	s_cbranch_vccnz .LBB298_17
; %bb.16:
	flat_load_dword v8, v[2:3]
	s_waitcnt vmcnt(0) lgkmcnt(0)
	v_fmac_f32_e32 v11, s18, v8
.LBB298_17:
	flat_store_dword v[2:3], v11
.LBB298_18:
	s_or_b64 exec, exec, s[8:9]
	v_add_u32_e32 v8, 16, v10
	v_mad_i64_i32 v[2:3], s[8:9], v8, s12, 0
	v_cmp_le_i32_e32 vcc, v8, v4
	v_lshl_add_u64 v[2:3], v[2:3], 2, s[6:7]
	s_and_b64 s[6:7], vcc, s[2:3]
	s_and_saveexec_b64 s[2:3], s[6:7]
	s_cbranch_execz .LBB298_22
; %bb.19:
	v_mul_f32_e32 v0, s19, v0
	s_and_b64 vcc, exec, s[0:1]
	v_lshl_add_u64 v[4:5], v[4:5], 2, v[2:3]
	s_cbranch_vccnz .LBB298_21
; %bb.20:
	flat_load_dword v9, v[4:5]
	s_waitcnt vmcnt(0) lgkmcnt(0)
	v_fmac_f32_e32 v0, s18, v9
.LBB298_21:
	flat_store_dword v[4:5], v0
.LBB298_22:
	s_or_b64 exec, exec, s[2:3]
	v_cmp_le_i32_e32 vcc, v8, v6
	s_and_b64 s[2:3], vcc, s[4:5]
	s_and_saveexec_b64 s[4:5], s[2:3]
	s_cbranch_execz .LBB298_26
; %bb.23:
	v_mul_f32_e32 v4, s19, v1
	s_and_b64 vcc, exec, s[0:1]
	v_lshl_add_u64 v[0:1], v[6:7], 2, v[2:3]
	s_cbranch_vccnz .LBB298_25
; %bb.24:
	flat_load_dword v2, v[0:1]
	s_waitcnt vmcnt(0) lgkmcnt(0)
	v_fmac_f32_e32 v4, s18, v2
.LBB298_25:
	flat_store_dword v[0:1], v4
.LBB298_26:
	s_endpgm
	.section	.rodata,"a",@progbits
	.p2align	6, 0x0
	.amdhsa_kernel _ZL29rocblas_internal_gemmt_kernelIiLi16ELi32ELi8ELc78ELc84ELc76ELb0ELb0EfPKfPKS1_PKPfEviT_T9_T10_S7_lS9_S7_lS8_T11_S7_li
		.amdhsa_group_segment_fixed_size 2048
		.amdhsa_private_segment_fixed_size 0
		.amdhsa_kernarg_size 100
		.amdhsa_user_sgpr_count 2
		.amdhsa_user_sgpr_dispatch_ptr 0
		.amdhsa_user_sgpr_queue_ptr 0
		.amdhsa_user_sgpr_kernarg_segment_ptr 1
		.amdhsa_user_sgpr_dispatch_id 0
		.amdhsa_user_sgpr_kernarg_preload_length 0
		.amdhsa_user_sgpr_kernarg_preload_offset 0
		.amdhsa_user_sgpr_private_segment_size 0
		.amdhsa_uses_dynamic_stack 0
		.amdhsa_enable_private_segment 0
		.amdhsa_system_sgpr_workgroup_id_x 1
		.amdhsa_system_sgpr_workgroup_id_y 1
		.amdhsa_system_sgpr_workgroup_id_z 1
		.amdhsa_system_sgpr_workgroup_info 0
		.amdhsa_system_vgpr_workitem_id 1
		.amdhsa_next_free_vgpr 48
		.amdhsa_next_free_sgpr 28
		.amdhsa_accum_offset 48
		.amdhsa_reserve_vcc 1
		.amdhsa_float_round_mode_32 0
		.amdhsa_float_round_mode_16_64 0
		.amdhsa_float_denorm_mode_32 3
		.amdhsa_float_denorm_mode_16_64 3
		.amdhsa_dx10_clamp 1
		.amdhsa_ieee_mode 1
		.amdhsa_fp16_overflow 0
		.amdhsa_tg_split 0
		.amdhsa_exception_fp_ieee_invalid_op 0
		.amdhsa_exception_fp_denorm_src 0
		.amdhsa_exception_fp_ieee_div_zero 0
		.amdhsa_exception_fp_ieee_overflow 0
		.amdhsa_exception_fp_ieee_underflow 0
		.amdhsa_exception_fp_ieee_inexact 0
		.amdhsa_exception_int_div_zero 0
	.end_amdhsa_kernel
	.section	.text._ZL29rocblas_internal_gemmt_kernelIiLi16ELi32ELi8ELc78ELc84ELc76ELb0ELb0EfPKfPKS1_PKPfEviT_T9_T10_S7_lS9_S7_lS8_T11_S7_li,"axG",@progbits,_ZL29rocblas_internal_gemmt_kernelIiLi16ELi32ELi8ELc78ELc84ELc76ELb0ELb0EfPKfPKS1_PKPfEviT_T9_T10_S7_lS9_S7_lS8_T11_S7_li,comdat
.Lfunc_end298:
	.size	_ZL29rocblas_internal_gemmt_kernelIiLi16ELi32ELi8ELc78ELc84ELc76ELb0ELb0EfPKfPKS1_PKPfEviT_T9_T10_S7_lS9_S7_lS8_T11_S7_li, .Lfunc_end298-_ZL29rocblas_internal_gemmt_kernelIiLi16ELi32ELi8ELc78ELc84ELc76ELb0ELb0EfPKfPKS1_PKPfEviT_T9_T10_S7_lS9_S7_lS8_T11_S7_li
                                        ; -- End function
	.set _ZL29rocblas_internal_gemmt_kernelIiLi16ELi32ELi8ELc78ELc84ELc76ELb0ELb0EfPKfPKS1_PKPfEviT_T9_T10_S7_lS9_S7_lS8_T11_S7_li.num_vgpr, 48
	.set _ZL29rocblas_internal_gemmt_kernelIiLi16ELi32ELi8ELc78ELc84ELc76ELb0ELb0EfPKfPKS1_PKPfEviT_T9_T10_S7_lS9_S7_lS8_T11_S7_li.num_agpr, 0
	.set _ZL29rocblas_internal_gemmt_kernelIiLi16ELi32ELi8ELc78ELc84ELc76ELb0ELb0EfPKfPKS1_PKPfEviT_T9_T10_S7_lS9_S7_lS8_T11_S7_li.numbered_sgpr, 28
	.set _ZL29rocblas_internal_gemmt_kernelIiLi16ELi32ELi8ELc78ELc84ELc76ELb0ELb0EfPKfPKS1_PKPfEviT_T9_T10_S7_lS9_S7_lS8_T11_S7_li.num_named_barrier, 0
	.set _ZL29rocblas_internal_gemmt_kernelIiLi16ELi32ELi8ELc78ELc84ELc76ELb0ELb0EfPKfPKS1_PKPfEviT_T9_T10_S7_lS9_S7_lS8_T11_S7_li.private_seg_size, 0
	.set _ZL29rocblas_internal_gemmt_kernelIiLi16ELi32ELi8ELc78ELc84ELc76ELb0ELb0EfPKfPKS1_PKPfEviT_T9_T10_S7_lS9_S7_lS8_T11_S7_li.uses_vcc, 1
	.set _ZL29rocblas_internal_gemmt_kernelIiLi16ELi32ELi8ELc78ELc84ELc76ELb0ELb0EfPKfPKS1_PKPfEviT_T9_T10_S7_lS9_S7_lS8_T11_S7_li.uses_flat_scratch, 0
	.set _ZL29rocblas_internal_gemmt_kernelIiLi16ELi32ELi8ELc78ELc84ELc76ELb0ELb0EfPKfPKS1_PKPfEviT_T9_T10_S7_lS9_S7_lS8_T11_S7_li.has_dyn_sized_stack, 0
	.set _ZL29rocblas_internal_gemmt_kernelIiLi16ELi32ELi8ELc78ELc84ELc76ELb0ELb0EfPKfPKS1_PKPfEviT_T9_T10_S7_lS9_S7_lS8_T11_S7_li.has_recursion, 0
	.set _ZL29rocblas_internal_gemmt_kernelIiLi16ELi32ELi8ELc78ELc84ELc76ELb0ELb0EfPKfPKS1_PKPfEviT_T9_T10_S7_lS9_S7_lS8_T11_S7_li.has_indirect_call, 0
	.section	.AMDGPU.csdata,"",@progbits
; Kernel info:
; codeLenInByte = 1272
; TotalNumSgprs: 34
; NumVgprs: 48
; NumAgprs: 0
; TotalNumVgprs: 48
; ScratchSize: 0
; MemoryBound: 0
; FloatMode: 240
; IeeeMode: 1
; LDSByteSize: 2048 bytes/workgroup (compile time only)
; SGPRBlocks: 4
; VGPRBlocks: 5
; NumSGPRsForWavesPerEU: 34
; NumVGPRsForWavesPerEU: 48
; AccumOffset: 48
; Occupancy: 8
; WaveLimiterHint : 1
; COMPUTE_PGM_RSRC2:SCRATCH_EN: 0
; COMPUTE_PGM_RSRC2:USER_SGPR: 2
; COMPUTE_PGM_RSRC2:TRAP_HANDLER: 0
; COMPUTE_PGM_RSRC2:TGID_X_EN: 1
; COMPUTE_PGM_RSRC2:TGID_Y_EN: 1
; COMPUTE_PGM_RSRC2:TGID_Z_EN: 1
; COMPUTE_PGM_RSRC2:TIDIG_COMP_CNT: 1
; COMPUTE_PGM_RSRC3_GFX90A:ACCUM_OFFSET: 11
; COMPUTE_PGM_RSRC3_GFX90A:TG_SPLIT: 0
	.section	.text._ZL29rocblas_internal_gemmt_kernelIiLi16ELi32ELi8ELc78ELc67ELc76ELb0ELb0EfPKfPKS1_PKPfEviT_T9_T10_S7_lS9_S7_lS8_T11_S7_li,"axG",@progbits,_ZL29rocblas_internal_gemmt_kernelIiLi16ELi32ELi8ELc78ELc67ELc76ELb0ELb0EfPKfPKS1_PKPfEviT_T9_T10_S7_lS9_S7_lS8_T11_S7_li,comdat
	.globl	_ZL29rocblas_internal_gemmt_kernelIiLi16ELi32ELi8ELc78ELc67ELc76ELb0ELb0EfPKfPKS1_PKPfEviT_T9_T10_S7_lS9_S7_lS8_T11_S7_li ; -- Begin function _ZL29rocblas_internal_gemmt_kernelIiLi16ELi32ELi8ELc78ELc67ELc76ELb0ELb0EfPKfPKS1_PKPfEviT_T9_T10_S7_lS9_S7_lS8_T11_S7_li
	.p2align	8
	.type	_ZL29rocblas_internal_gemmt_kernelIiLi16ELi32ELi8ELc78ELc67ELc76ELb0ELb0EfPKfPKS1_PKPfEviT_T9_T10_S7_lS9_S7_lS8_T11_S7_li,@function
_ZL29rocblas_internal_gemmt_kernelIiLi16ELi32ELi8ELc78ELc67ELc76ELb0ELb0EfPKfPKS1_PKPfEviT_T9_T10_S7_lS9_S7_lS8_T11_S7_li: ; @_ZL29rocblas_internal_gemmt_kernelIiLi16ELi32ELi8ELc78ELc67ELc76ELb0ELb0EfPKfPKS1_PKPfEviT_T9_T10_S7_lS9_S7_lS8_T11_S7_li
; %bb.0:
	s_load_dwordx4 s[8:11], s[0:1], 0x38
	s_load_dwordx4 s[12:15], s[0:1], 0x8
	s_waitcnt lgkmcnt(0)
	s_load_dword s18, s[10:11], 0x0
	s_load_dwordx2 s[16:17], s[0:1], 0x0
	s_load_dword s19, s[12:13], 0x0
	s_waitcnt lgkmcnt(0)
	v_cmp_neq_f32_e64 s[6:7], s18, 1.0
	s_and_b64 vcc, exec, s[6:7]
	s_cbranch_vccnz .LBB299_2
; %bb.1:
	s_cmp_lg_u32 s17, 0
	s_cselect_b64 s[6:7], -1, 0
	v_cmp_neq_f32_e64 s[10:11], s19, 0
	s_and_b64 s[6:7], s[6:7], s[10:11]
.LBB299_2:
	s_andn2_b64 vcc, exec, s[6:7]
	s_cbranch_vccnz .LBB299_26
; %bb.3:
	s_load_dwordx2 s[10:11], s[0:1], 0x48
	s_mov_b32 s5, 0
	s_lshl_b64 s[6:7], s[4:5], 3
	v_mov_b32_e32 v3, 0
	v_and_b32_e32 v8, 0x3ff, v0
	s_waitcnt lgkmcnt(0)
	s_add_u32 s10, s10, s6
	s_addc_u32 s11, s11, s7
	s_load_dwordx2 s[10:11], s[10:11], 0x0
	s_lshl_b32 s4, s2, 5
	s_lshl_b32 s20, s3, 5
	s_cmp_lt_i32 s17, 1
	v_cmp_eq_f32_e64 s[2:3], s19, 0
	s_cselect_b64 s[12:13], -1, 0
	s_or_b64 s[2:3], s[2:3], s[12:13]
	v_bfe_u32 v9, v0, 10, 10
	s_and_b64 vcc, exec, s[2:3]
	v_mov_b32_e32 v2, v3
	v_mov_b32_e32 v1, v3
	;; [unrolled: 1-line block ×3, first 2 shown]
	s_cbranch_vccnz .LBB299_10
; %bb.4:
	s_load_dword s12, s[0:1], 0x18
	s_load_dwordx4 s[24:27], s[0:1], 0x20
	s_load_dword s22, s[0:1], 0x30
	v_lshl_add_u32 v1, v9, 4, v8
	v_and_b32_e32 v4, 31, v1
	s_waitcnt lgkmcnt(0)
	s_ashr_i32 s13, s12, 31
	v_lshrrev_b32_e32 v11, 5, v1
	s_ashr_i32 s23, s22, 31
	s_add_u32 s2, s26, s6
	v_lshrrev_b32_e32 v2, 3, v1
	v_or_b32_e32 v1, s4, v4
	s_addc_u32 s3, s27, s7
	v_and_b32_e32 v10, 7, v8
	s_load_dwordx2 s[26:27], s[2:3], 0x0
	s_add_u32 s2, s14, s6
	v_cmp_gt_i32_e32 vcc, s16, v1
	v_lshlrev_b32_e32 v1, 2, v4
	s_addc_u32 s3, s15, s7
	v_lshl_or_b32 v12, v11, 7, v1
	v_lshlrev_b32_e32 v1, 2, v10
	v_add_u32_e32 v0, s20, v2
	s_load_dwordx2 s[6:7], s[2:3], 0x0
	v_lshl_or_b32 v1, v2, 5, v1
	v_mov_b32_e32 v2, 0x400
	v_lshl_add_u32 v15, v9, 5, v2
	v_mad_i64_i32 v[2:3], s[14:15], v11, s12, 0
	s_lshl_b64 s[14:15], s[24:25], 2
	v_add_u32_e32 v4, s4, v4
	v_lshl_add_u64 v[2:3], v[2:3], 2, s[14:15]
	v_ashrrev_i32_e32 v5, 31, v4
	v_lshl_add_u64 v[2:3], v[4:5], 2, v[2:3]
	s_waitcnt lgkmcnt(0)
	v_lshl_add_u64 v[4:5], s[6:7], 0, v[2:3]
	v_mad_i64_i32 v[2:3], s[6:7], s22, v10, 0
	s_lshl_b64 s[6:7], s[8:9], 2
	v_add_u32_e32 v13, 0x400, v1
	v_ashrrev_i32_e32 v1, 31, v0
	v_lshl_add_u64 v[2:3], v[2:3], 2, s[6:7]
	v_cmp_gt_i32_e64 s[2:3], s16, v0
	v_lshl_add_u64 v[0:1], v[0:1], 2, v[2:3]
	v_lshl_add_u64 v[6:7], s[26:27], 0, v[0:1]
	v_mov_b32_e32 v0, 0
	v_lshlrev_b32_e32 v14, 2, v8
	s_lshl_b64 s[12:13], s[12:13], 5
	s_lshl_b64 s[8:9], s[22:23], 5
	v_mov_b32_e32 v1, v0
	v_mov_b32_e32 v2, v0
	;; [unrolled: 1-line block ×3, first 2 shown]
	s_branch .LBB299_6
.LBB299_5:                              ;   in Loop: Header=BB299_6 Depth=1
	s_or_b64 exec, exec, s[6:7]
	s_waitcnt vmcnt(0) lgkmcnt(0)
	ds_write_b32 v13, v16
	s_waitcnt lgkmcnt(0)
	s_barrier
	ds_read_b128 v[16:19], v15
	ds_read_b128 v[20:23], v15 offset:16
	ds_read2_b32 v[32:33], v14 offset1:16
	ds_read2_b32 v[34:35], v14 offset0:32 offset1:48
	ds_read2_b32 v[36:37], v14 offset0:64 offset1:80
	;; [unrolled: 1-line block ×4, first 2 shown]
	ds_read_b128 v[24:27], v15 offset:512
	ds_read_b128 v[28:31], v15 offset:528
	ds_read2_b32 v[42:43], v14 offset0:160 offset1:176
	ds_read2_b32 v[44:45], v14 offset0:192 offset1:208
	;; [unrolled: 1-line block ×3, first 2 shown]
	s_waitcnt lgkmcnt(9)
	v_pk_fma_f32 v[2:3], v[32:33], v[16:17], v[2:3] op_sel_hi:[1,0,1]
	s_waitcnt lgkmcnt(4)
	v_pk_fma_f32 v[0:1], v[32:33], v[24:25], v[0:1] op_sel_hi:[1,0,1]
	v_pk_fma_f32 v[2:3], v[34:35], v[16:17], v[2:3] op_sel:[0,1,0]
	v_mov_b32_e32 v16, v19
	v_pk_fma_f32 v[2:3], v[36:37], v[18:19], v[2:3] op_sel_hi:[1,0,1]
	v_pk_fma_f32 v[0:1], v[34:35], v[24:25], v[0:1] op_sel:[0,1,0]
	v_pk_fma_f32 v[2:3], v[38:39], v[16:17], v[2:3] op_sel_hi:[1,0,1]
	v_mov_b32_e32 v16, v23
	v_pk_fma_f32 v[2:3], v[40:41], v[20:21], v[2:3] op_sel_hi:[1,0,1]
	v_pk_fma_f32 v[0:1], v[36:37], v[26:27], v[0:1] op_sel_hi:[1,0,1]
	s_waitcnt lgkmcnt(2)
	v_pk_fma_f32 v[2:3], v[42:43], v[20:21], v[2:3] op_sel:[0,1,0]
	s_add_i32 s5, s5, 8
	s_waitcnt lgkmcnt(1)
	v_pk_fma_f32 v[2:3], v[44:45], v[22:23], v[2:3] op_sel_hi:[1,0,1]
	v_lshl_add_u64 v[4:5], v[4:5], 0, s[12:13]
	s_waitcnt lgkmcnt(0)
	v_pk_fma_f32 v[2:3], v[46:47], v[16:17], v[2:3] op_sel_hi:[1,0,1]
	v_mov_b32_e32 v16, v27
	v_pk_fma_f32 v[0:1], v[38:39], v[16:17], v[0:1] op_sel_hi:[1,0,1]
	v_mov_b32_e32 v16, v31
	v_pk_fma_f32 v[0:1], v[40:41], v[28:29], v[0:1] op_sel_hi:[1,0,1]
	s_cmp_lt_i32 s5, s17
	v_pk_fma_f32 v[0:1], v[42:43], v[28:29], v[0:1] op_sel:[0,1,0]
	v_lshl_add_u64 v[6:7], v[6:7], 0, s[8:9]
	v_pk_fma_f32 v[0:1], v[44:45], v[30:31], v[0:1] op_sel_hi:[1,0,1]
	s_nop 0
	v_pk_fma_f32 v[0:1], v[46:47], v[16:17], v[0:1] op_sel_hi:[1,0,1]
	s_barrier
	s_cbranch_scc0 .LBB299_10
.LBB299_6:                              ; =>This Inner Loop Header: Depth=1
	v_add_u32_e32 v16, s5, v11
	v_cmp_gt_i32_e64 s[6:7], s17, v16
	s_and_b64 s[14:15], vcc, s[6:7]
	v_mov_b32_e32 v16, 0
	s_and_saveexec_b64 s[6:7], s[14:15]
	s_cbranch_execz .LBB299_8
; %bb.7:                                ;   in Loop: Header=BB299_6 Depth=1
	flat_load_dword v16, v[4:5]
.LBB299_8:                              ;   in Loop: Header=BB299_6 Depth=1
	s_or_b64 exec, exec, s[6:7]
	s_waitcnt vmcnt(0) lgkmcnt(0)
	ds_write_b32 v12, v16
	v_add_u32_e32 v16, s5, v10
	v_cmp_gt_i32_e64 s[6:7], s17, v16
	s_and_b64 s[14:15], s[6:7], s[2:3]
	v_mov_b32_e32 v16, 0
	s_and_saveexec_b64 s[6:7], s[14:15]
	s_cbranch_execz .LBB299_5
; %bb.9:                                ;   in Loop: Header=BB299_6 Depth=1
	flat_load_dword v16, v[6:7]
	s_branch .LBB299_5
.LBB299_10:
	s_load_dwordx2 s[2:3], s[0:1], 0x58
	s_load_dword s12, s[0:1], 0x50
	v_add_u32_e32 v10, s20, v9
	v_add_u32_e32 v4, s4, v8
	v_cmp_le_i32_e32 vcc, v10, v4
	s_waitcnt lgkmcnt(0)
	s_lshl_b64 s[0:1], s[2:3], 2
	s_add_u32 s6, s10, s0
	s_addc_u32 s7, s11, s1
	v_mad_i64_i32 v[6:7], s[0:1], v10, s12, 0
	v_cmp_neq_f32_e64 s[0:1], s18, 0
	v_lshl_add_u64 v[8:9], v[6:7], 2, s[6:7]
	v_cmp_gt_i32_e64 s[2:3], s16, v4
	v_cndmask_b32_e64 v6, 0, 1, s[0:1]
	s_and_b64 s[8:9], vcc, s[2:3]
	v_ashrrev_i32_e32 v5, 31, v4
	v_cmp_ne_u32_e64 s[0:1], 1, v6
	s_and_saveexec_b64 s[4:5], s[8:9]
	s_cbranch_execz .LBB299_14
; %bb.11:
	v_mul_f32_e32 v2, s19, v2
	s_and_b64 vcc, exec, s[0:1]
	v_lshl_add_u64 v[6:7], v[4:5], 2, v[8:9]
	s_cbranch_vccnz .LBB299_13
; %bb.12:
	flat_load_dword v11, v[6:7]
	s_waitcnt vmcnt(0) lgkmcnt(0)
	v_fmac_f32_e32 v2, s18, v11
.LBB299_13:
	flat_store_dword v[6:7], v2
.LBB299_14:
	s_or_b64 exec, exec, s[4:5]
	v_add_u32_e32 v6, 16, v4
	v_cmp_le_i32_e32 vcc, v10, v6
	v_cmp_gt_i32_e64 s[4:5], s16, v6
	s_and_b64 s[10:11], vcc, s[4:5]
	v_ashrrev_i32_e32 v7, 31, v6
	s_and_saveexec_b64 s[8:9], s[10:11]
	s_cbranch_execz .LBB299_18
; %bb.15:
	v_mul_f32_e32 v11, s19, v3
	s_and_b64 vcc, exec, s[0:1]
	v_lshl_add_u64 v[2:3], v[6:7], 2, v[8:9]
	s_cbranch_vccnz .LBB299_17
; %bb.16:
	flat_load_dword v8, v[2:3]
	s_waitcnt vmcnt(0) lgkmcnt(0)
	v_fmac_f32_e32 v11, s18, v8
.LBB299_17:
	flat_store_dword v[2:3], v11
.LBB299_18:
	s_or_b64 exec, exec, s[8:9]
	v_add_u32_e32 v8, 16, v10
	v_mad_i64_i32 v[2:3], s[8:9], v8, s12, 0
	v_cmp_le_i32_e32 vcc, v8, v4
	v_lshl_add_u64 v[2:3], v[2:3], 2, s[6:7]
	s_and_b64 s[6:7], vcc, s[2:3]
	s_and_saveexec_b64 s[2:3], s[6:7]
	s_cbranch_execz .LBB299_22
; %bb.19:
	v_mul_f32_e32 v0, s19, v0
	s_and_b64 vcc, exec, s[0:1]
	v_lshl_add_u64 v[4:5], v[4:5], 2, v[2:3]
	s_cbranch_vccnz .LBB299_21
; %bb.20:
	flat_load_dword v9, v[4:5]
	s_waitcnt vmcnt(0) lgkmcnt(0)
	v_fmac_f32_e32 v0, s18, v9
.LBB299_21:
	flat_store_dword v[4:5], v0
.LBB299_22:
	s_or_b64 exec, exec, s[2:3]
	v_cmp_le_i32_e32 vcc, v8, v6
	s_and_b64 s[2:3], vcc, s[4:5]
	s_and_saveexec_b64 s[4:5], s[2:3]
	s_cbranch_execz .LBB299_26
; %bb.23:
	v_mul_f32_e32 v4, s19, v1
	s_and_b64 vcc, exec, s[0:1]
	v_lshl_add_u64 v[0:1], v[6:7], 2, v[2:3]
	s_cbranch_vccnz .LBB299_25
; %bb.24:
	flat_load_dword v2, v[0:1]
	s_waitcnt vmcnt(0) lgkmcnt(0)
	v_fmac_f32_e32 v4, s18, v2
.LBB299_25:
	flat_store_dword v[0:1], v4
.LBB299_26:
	s_endpgm
	.section	.rodata,"a",@progbits
	.p2align	6, 0x0
	.amdhsa_kernel _ZL29rocblas_internal_gemmt_kernelIiLi16ELi32ELi8ELc78ELc67ELc76ELb0ELb0EfPKfPKS1_PKPfEviT_T9_T10_S7_lS9_S7_lS8_T11_S7_li
		.amdhsa_group_segment_fixed_size 2048
		.amdhsa_private_segment_fixed_size 0
		.amdhsa_kernarg_size 100
		.amdhsa_user_sgpr_count 2
		.amdhsa_user_sgpr_dispatch_ptr 0
		.amdhsa_user_sgpr_queue_ptr 0
		.amdhsa_user_sgpr_kernarg_segment_ptr 1
		.amdhsa_user_sgpr_dispatch_id 0
		.amdhsa_user_sgpr_kernarg_preload_length 0
		.amdhsa_user_sgpr_kernarg_preload_offset 0
		.amdhsa_user_sgpr_private_segment_size 0
		.amdhsa_uses_dynamic_stack 0
		.amdhsa_enable_private_segment 0
		.amdhsa_system_sgpr_workgroup_id_x 1
		.amdhsa_system_sgpr_workgroup_id_y 1
		.amdhsa_system_sgpr_workgroup_id_z 1
		.amdhsa_system_sgpr_workgroup_info 0
		.amdhsa_system_vgpr_workitem_id 1
		.amdhsa_next_free_vgpr 48
		.amdhsa_next_free_sgpr 28
		.amdhsa_accum_offset 48
		.amdhsa_reserve_vcc 1
		.amdhsa_float_round_mode_32 0
		.amdhsa_float_round_mode_16_64 0
		.amdhsa_float_denorm_mode_32 3
		.amdhsa_float_denorm_mode_16_64 3
		.amdhsa_dx10_clamp 1
		.amdhsa_ieee_mode 1
		.amdhsa_fp16_overflow 0
		.amdhsa_tg_split 0
		.amdhsa_exception_fp_ieee_invalid_op 0
		.amdhsa_exception_fp_denorm_src 0
		.amdhsa_exception_fp_ieee_div_zero 0
		.amdhsa_exception_fp_ieee_overflow 0
		.amdhsa_exception_fp_ieee_underflow 0
		.amdhsa_exception_fp_ieee_inexact 0
		.amdhsa_exception_int_div_zero 0
	.end_amdhsa_kernel
	.section	.text._ZL29rocblas_internal_gemmt_kernelIiLi16ELi32ELi8ELc78ELc67ELc76ELb0ELb0EfPKfPKS1_PKPfEviT_T9_T10_S7_lS9_S7_lS8_T11_S7_li,"axG",@progbits,_ZL29rocblas_internal_gemmt_kernelIiLi16ELi32ELi8ELc78ELc67ELc76ELb0ELb0EfPKfPKS1_PKPfEviT_T9_T10_S7_lS9_S7_lS8_T11_S7_li,comdat
.Lfunc_end299:
	.size	_ZL29rocblas_internal_gemmt_kernelIiLi16ELi32ELi8ELc78ELc67ELc76ELb0ELb0EfPKfPKS1_PKPfEviT_T9_T10_S7_lS9_S7_lS8_T11_S7_li, .Lfunc_end299-_ZL29rocblas_internal_gemmt_kernelIiLi16ELi32ELi8ELc78ELc67ELc76ELb0ELb0EfPKfPKS1_PKPfEviT_T9_T10_S7_lS9_S7_lS8_T11_S7_li
                                        ; -- End function
	.set _ZL29rocblas_internal_gemmt_kernelIiLi16ELi32ELi8ELc78ELc67ELc76ELb0ELb0EfPKfPKS1_PKPfEviT_T9_T10_S7_lS9_S7_lS8_T11_S7_li.num_vgpr, 48
	.set _ZL29rocblas_internal_gemmt_kernelIiLi16ELi32ELi8ELc78ELc67ELc76ELb0ELb0EfPKfPKS1_PKPfEviT_T9_T10_S7_lS9_S7_lS8_T11_S7_li.num_agpr, 0
	.set _ZL29rocblas_internal_gemmt_kernelIiLi16ELi32ELi8ELc78ELc67ELc76ELb0ELb0EfPKfPKS1_PKPfEviT_T9_T10_S7_lS9_S7_lS8_T11_S7_li.numbered_sgpr, 28
	.set _ZL29rocblas_internal_gemmt_kernelIiLi16ELi32ELi8ELc78ELc67ELc76ELb0ELb0EfPKfPKS1_PKPfEviT_T9_T10_S7_lS9_S7_lS8_T11_S7_li.num_named_barrier, 0
	.set _ZL29rocblas_internal_gemmt_kernelIiLi16ELi32ELi8ELc78ELc67ELc76ELb0ELb0EfPKfPKS1_PKPfEviT_T9_T10_S7_lS9_S7_lS8_T11_S7_li.private_seg_size, 0
	.set _ZL29rocblas_internal_gemmt_kernelIiLi16ELi32ELi8ELc78ELc67ELc76ELb0ELb0EfPKfPKS1_PKPfEviT_T9_T10_S7_lS9_S7_lS8_T11_S7_li.uses_vcc, 1
	.set _ZL29rocblas_internal_gemmt_kernelIiLi16ELi32ELi8ELc78ELc67ELc76ELb0ELb0EfPKfPKS1_PKPfEviT_T9_T10_S7_lS9_S7_lS8_T11_S7_li.uses_flat_scratch, 0
	.set _ZL29rocblas_internal_gemmt_kernelIiLi16ELi32ELi8ELc78ELc67ELc76ELb0ELb0EfPKfPKS1_PKPfEviT_T9_T10_S7_lS9_S7_lS8_T11_S7_li.has_dyn_sized_stack, 0
	.set _ZL29rocblas_internal_gemmt_kernelIiLi16ELi32ELi8ELc78ELc67ELc76ELb0ELb0EfPKfPKS1_PKPfEviT_T9_T10_S7_lS9_S7_lS8_T11_S7_li.has_recursion, 0
	.set _ZL29rocblas_internal_gemmt_kernelIiLi16ELi32ELi8ELc78ELc67ELc76ELb0ELb0EfPKfPKS1_PKPfEviT_T9_T10_S7_lS9_S7_lS8_T11_S7_li.has_indirect_call, 0
	.section	.AMDGPU.csdata,"",@progbits
; Kernel info:
; codeLenInByte = 1272
; TotalNumSgprs: 34
; NumVgprs: 48
; NumAgprs: 0
; TotalNumVgprs: 48
; ScratchSize: 0
; MemoryBound: 0
; FloatMode: 240
; IeeeMode: 1
; LDSByteSize: 2048 bytes/workgroup (compile time only)
; SGPRBlocks: 4
; VGPRBlocks: 5
; NumSGPRsForWavesPerEU: 34
; NumVGPRsForWavesPerEU: 48
; AccumOffset: 48
; Occupancy: 8
; WaveLimiterHint : 1
; COMPUTE_PGM_RSRC2:SCRATCH_EN: 0
; COMPUTE_PGM_RSRC2:USER_SGPR: 2
; COMPUTE_PGM_RSRC2:TRAP_HANDLER: 0
; COMPUTE_PGM_RSRC2:TGID_X_EN: 1
; COMPUTE_PGM_RSRC2:TGID_Y_EN: 1
; COMPUTE_PGM_RSRC2:TGID_Z_EN: 1
; COMPUTE_PGM_RSRC2:TIDIG_COMP_CNT: 1
; COMPUTE_PGM_RSRC3_GFX90A:ACCUM_OFFSET: 11
; COMPUTE_PGM_RSRC3_GFX90A:TG_SPLIT: 0
	.section	.text._ZL29rocblas_internal_gemmt_kernelIiLi16ELi32ELi8ELc84ELc78ELc76ELb0ELb0EfPKfPKS1_PKPfEviT_T9_T10_S7_lS9_S7_lS8_T11_S7_li,"axG",@progbits,_ZL29rocblas_internal_gemmt_kernelIiLi16ELi32ELi8ELc84ELc78ELc76ELb0ELb0EfPKfPKS1_PKPfEviT_T9_T10_S7_lS9_S7_lS8_T11_S7_li,comdat
	.globl	_ZL29rocblas_internal_gemmt_kernelIiLi16ELi32ELi8ELc84ELc78ELc76ELb0ELb0EfPKfPKS1_PKPfEviT_T9_T10_S7_lS9_S7_lS8_T11_S7_li ; -- Begin function _ZL29rocblas_internal_gemmt_kernelIiLi16ELi32ELi8ELc84ELc78ELc76ELb0ELb0EfPKfPKS1_PKPfEviT_T9_T10_S7_lS9_S7_lS8_T11_S7_li
	.p2align	8
	.type	_ZL29rocblas_internal_gemmt_kernelIiLi16ELi32ELi8ELc84ELc78ELc76ELb0ELb0EfPKfPKS1_PKPfEviT_T9_T10_S7_lS9_S7_lS8_T11_S7_li,@function
_ZL29rocblas_internal_gemmt_kernelIiLi16ELi32ELi8ELc84ELc78ELc76ELb0ELb0EfPKfPKS1_PKPfEviT_T9_T10_S7_lS9_S7_lS8_T11_S7_li: ; @_ZL29rocblas_internal_gemmt_kernelIiLi16ELi32ELi8ELc84ELc78ELc76ELb0ELb0EfPKfPKS1_PKPfEviT_T9_T10_S7_lS9_S7_lS8_T11_S7_li
; %bb.0:
	s_load_dwordx4 s[8:11], s[0:1], 0x38
	s_load_dwordx4 s[12:15], s[0:1], 0x8
	s_waitcnt lgkmcnt(0)
	s_load_dword s18, s[10:11], 0x0
	s_load_dwordx2 s[16:17], s[0:1], 0x0
	s_load_dword s19, s[12:13], 0x0
	s_waitcnt lgkmcnt(0)
	v_cmp_neq_f32_e64 s[6:7], s18, 1.0
	s_and_b64 vcc, exec, s[6:7]
	s_cbranch_vccnz .LBB300_2
; %bb.1:
	s_cmp_lg_u32 s17, 0
	s_cselect_b64 s[6:7], -1, 0
	v_cmp_neq_f32_e64 s[10:11], s19, 0
	s_and_b64 s[6:7], s[6:7], s[10:11]
.LBB300_2:
	s_andn2_b64 vcc, exec, s[6:7]
	s_cbranch_vccnz .LBB300_26
; %bb.3:
	s_load_dwordx2 s[10:11], s[0:1], 0x48
	s_mov_b32 s5, 0
	s_lshl_b64 s[6:7], s[4:5], 3
	v_mov_b32_e32 v3, 0
	v_and_b32_e32 v8, 0x3ff, v0
	s_waitcnt lgkmcnt(0)
	s_add_u32 s10, s10, s6
	s_addc_u32 s11, s11, s7
	s_load_dwordx2 s[10:11], s[10:11], 0x0
	s_lshl_b32 s4, s2, 5
	s_lshl_b32 s12, s3, 5
	s_cmp_lt_i32 s17, 1
	v_cmp_eq_f32_e64 s[2:3], s19, 0
	s_cselect_b64 s[20:21], -1, 0
	s_or_b64 s[2:3], s[2:3], s[20:21]
	v_bfe_u32 v9, v0, 10, 10
	s_and_b64 vcc, exec, s[2:3]
	v_mov_b32_e32 v2, v3
	v_mov_b32_e32 v1, v3
	;; [unrolled: 1-line block ×3, first 2 shown]
	s_cbranch_vccnz .LBB300_10
; %bb.4:
	s_load_dword s13, s[0:1], 0x18
	s_load_dwordx4 s[20:23], s[0:1], 0x20
	s_load_dword s24, s[0:1], 0x30
	v_lshl_add_u32 v0, v9, 4, v8
	v_lshrrev_b32_e32 v11, 5, v0
	v_lshrrev_b32_e32 v1, 3, v0
	v_and_b32_e32 v0, 31, v0
	v_or_b32_e32 v2, s4, v0
	s_waitcnt lgkmcnt(0)
	s_add_u32 s2, s22, s6
	v_and_b32_e32 v10, 7, v8
	s_addc_u32 s3, s23, s7
	v_cmp_gt_i32_e32 vcc, s16, v2
	v_lshlrev_b32_e32 v2, 2, v0
	s_load_dwordx2 s[22:23], s[2:3], 0x0
	s_add_u32 s2, s14, s6
	v_lshl_or_b32 v12, v11, 7, v2
	v_lshlrev_b32_e32 v2, 2, v10
	v_add_u32_e32 v3, s12, v1
	s_addc_u32 s3, s15, s7
	v_lshl_or_b32 v1, v1, 5, v2
	s_load_dwordx2 s[6:7], s[2:3], 0x0
	v_add_u32_e32 v13, 0x400, v1
	v_mov_b32_e32 v1, 0x400
	v_add_u32_e32 v0, s4, v0
	v_lshl_add_u32 v15, v9, 5, v1
	v_mad_i64_i32 v[0:1], s[14:15], s13, v0, 0
	s_lshl_b64 s[14:15], s[20:21], 2
	s_nop 0
	v_lshl_add_u64 v[4:5], v[0:1], 2, s[14:15]
	v_lshlrev_b32_e32 v0, 2, v11
	v_mov_b32_e32 v1, 0
	v_lshl_add_u64 v[4:5], v[4:5], 0, v[0:1]
	s_waitcnt lgkmcnt(0)
	v_lshl_add_u64 v[4:5], s[6:7], 0, v[4:5]
	v_mad_i64_i32 v[6:7], s[6:7], s24, v3, 0
	s_lshl_b64 s[6:7], s[8:9], 2
	v_cmp_gt_i32_e64 s[2:3], s16, v3
	v_lshl_add_u64 v[6:7], v[6:7], 2, s[6:7]
	v_mov_b32_e32 v3, v1
	v_lshl_add_u64 v[2:3], v[6:7], 0, v[2:3]
	v_lshlrev_b32_e32 v14, 2, v8
	v_lshl_add_u64 v[6:7], s[22:23], 0, v[2:3]
	v_mov_b32_e32 v0, v1
	v_mov_b32_e32 v2, v1
	;; [unrolled: 1-line block ×3, first 2 shown]
	s_branch .LBB300_6
.LBB300_5:                              ;   in Loop: Header=BB300_6 Depth=1
	s_or_b64 exec, exec, s[6:7]
	s_waitcnt vmcnt(0) lgkmcnt(0)
	ds_write_b32 v13, v16
	s_waitcnt lgkmcnt(0)
	s_barrier
	ds_read_b128 v[16:19], v15
	ds_read_b128 v[20:23], v15 offset:16
	ds_read2_b32 v[32:33], v14 offset1:16
	ds_read2_b32 v[34:35], v14 offset0:32 offset1:48
	ds_read2_b32 v[36:37], v14 offset0:64 offset1:80
	;; [unrolled: 1-line block ×4, first 2 shown]
	ds_read_b128 v[24:27], v15 offset:512
	ds_read_b128 v[28:31], v15 offset:528
	ds_read2_b32 v[42:43], v14 offset0:160 offset1:176
	ds_read2_b32 v[44:45], v14 offset0:192 offset1:208
	ds_read2_b32 v[46:47], v14 offset0:224 offset1:240
	s_waitcnt lgkmcnt(9)
	v_pk_fma_f32 v[2:3], v[32:33], v[16:17], v[2:3] op_sel_hi:[1,0,1]
	s_waitcnt lgkmcnt(4)
	v_pk_fma_f32 v[0:1], v[32:33], v[24:25], v[0:1] op_sel_hi:[1,0,1]
	v_pk_fma_f32 v[2:3], v[34:35], v[16:17], v[2:3] op_sel:[0,1,0]
	v_mov_b32_e32 v16, v19
	v_pk_fma_f32 v[2:3], v[36:37], v[18:19], v[2:3] op_sel_hi:[1,0,1]
	v_pk_fma_f32 v[0:1], v[34:35], v[24:25], v[0:1] op_sel:[0,1,0]
	v_pk_fma_f32 v[2:3], v[38:39], v[16:17], v[2:3] op_sel_hi:[1,0,1]
	v_mov_b32_e32 v16, v23
	v_pk_fma_f32 v[2:3], v[40:41], v[20:21], v[2:3] op_sel_hi:[1,0,1]
	v_pk_fma_f32 v[0:1], v[36:37], v[26:27], v[0:1] op_sel_hi:[1,0,1]
	s_waitcnt lgkmcnt(2)
	v_pk_fma_f32 v[2:3], v[42:43], v[20:21], v[2:3] op_sel:[0,1,0]
	s_add_i32 s5, s5, 8
	s_waitcnt lgkmcnt(1)
	v_pk_fma_f32 v[2:3], v[44:45], v[22:23], v[2:3] op_sel_hi:[1,0,1]
	v_lshl_add_u64 v[4:5], v[4:5], 0, 32
	s_waitcnt lgkmcnt(0)
	v_pk_fma_f32 v[2:3], v[46:47], v[16:17], v[2:3] op_sel_hi:[1,0,1]
	v_mov_b32_e32 v16, v27
	v_pk_fma_f32 v[0:1], v[38:39], v[16:17], v[0:1] op_sel_hi:[1,0,1]
	v_mov_b32_e32 v16, v31
	v_pk_fma_f32 v[0:1], v[40:41], v[28:29], v[0:1] op_sel_hi:[1,0,1]
	s_cmp_lt_i32 s5, s17
	v_pk_fma_f32 v[0:1], v[42:43], v[28:29], v[0:1] op_sel:[0,1,0]
	v_lshl_add_u64 v[6:7], v[6:7], 0, 32
	v_pk_fma_f32 v[0:1], v[44:45], v[30:31], v[0:1] op_sel_hi:[1,0,1]
	s_nop 0
	v_pk_fma_f32 v[0:1], v[46:47], v[16:17], v[0:1] op_sel_hi:[1,0,1]
	s_barrier
	s_cbranch_scc0 .LBB300_10
.LBB300_6:                              ; =>This Inner Loop Header: Depth=1
	v_add_u32_e32 v16, s5, v11
	v_cmp_gt_i32_e64 s[6:7], s17, v16
	s_and_b64 s[8:9], vcc, s[6:7]
	v_mov_b32_e32 v16, 0
	s_and_saveexec_b64 s[6:7], s[8:9]
	s_cbranch_execz .LBB300_8
; %bb.7:                                ;   in Loop: Header=BB300_6 Depth=1
	flat_load_dword v16, v[4:5]
.LBB300_8:                              ;   in Loop: Header=BB300_6 Depth=1
	s_or_b64 exec, exec, s[6:7]
	s_waitcnt vmcnt(0) lgkmcnt(0)
	ds_write_b32 v12, v16
	v_add_u32_e32 v16, s5, v10
	v_cmp_gt_i32_e64 s[6:7], s17, v16
	s_and_b64 s[8:9], s[6:7], s[2:3]
	v_mov_b32_e32 v16, 0
	s_and_saveexec_b64 s[6:7], s[8:9]
	s_cbranch_execz .LBB300_5
; %bb.9:                                ;   in Loop: Header=BB300_6 Depth=1
	flat_load_dword v16, v[6:7]
	s_branch .LBB300_5
.LBB300_10:
	s_load_dwordx2 s[2:3], s[0:1], 0x58
	s_load_dword s13, s[0:1], 0x50
	v_add_u32_e32 v10, s12, v9
	v_add_u32_e32 v4, s4, v8
	v_cmp_le_i32_e32 vcc, v10, v4
	s_waitcnt lgkmcnt(0)
	s_lshl_b64 s[0:1], s[2:3], 2
	s_add_u32 s6, s10, s0
	s_addc_u32 s7, s11, s1
	v_mad_i64_i32 v[6:7], s[0:1], v10, s13, 0
	v_cmp_neq_f32_e64 s[0:1], s18, 0
	v_lshl_add_u64 v[8:9], v[6:7], 2, s[6:7]
	v_cmp_gt_i32_e64 s[2:3], s16, v4
	v_cndmask_b32_e64 v6, 0, 1, s[0:1]
	s_and_b64 s[8:9], vcc, s[2:3]
	v_ashrrev_i32_e32 v5, 31, v4
	v_cmp_ne_u32_e64 s[0:1], 1, v6
	s_and_saveexec_b64 s[4:5], s[8:9]
	s_cbranch_execz .LBB300_14
; %bb.11:
	v_mul_f32_e32 v2, s19, v2
	s_and_b64 vcc, exec, s[0:1]
	v_lshl_add_u64 v[6:7], v[4:5], 2, v[8:9]
	s_cbranch_vccnz .LBB300_13
; %bb.12:
	flat_load_dword v11, v[6:7]
	s_waitcnt vmcnt(0) lgkmcnt(0)
	v_fmac_f32_e32 v2, s18, v11
.LBB300_13:
	flat_store_dword v[6:7], v2
.LBB300_14:
	s_or_b64 exec, exec, s[4:5]
	v_add_u32_e32 v6, 16, v4
	v_cmp_le_i32_e32 vcc, v10, v6
	v_cmp_gt_i32_e64 s[4:5], s16, v6
	s_and_b64 s[10:11], vcc, s[4:5]
	v_ashrrev_i32_e32 v7, 31, v6
	s_and_saveexec_b64 s[8:9], s[10:11]
	s_cbranch_execz .LBB300_18
; %bb.15:
	v_mul_f32_e32 v11, s19, v3
	s_and_b64 vcc, exec, s[0:1]
	v_lshl_add_u64 v[2:3], v[6:7], 2, v[8:9]
	s_cbranch_vccnz .LBB300_17
; %bb.16:
	flat_load_dword v8, v[2:3]
	s_waitcnt vmcnt(0) lgkmcnt(0)
	v_fmac_f32_e32 v11, s18, v8
.LBB300_17:
	flat_store_dword v[2:3], v11
.LBB300_18:
	s_or_b64 exec, exec, s[8:9]
	v_add_u32_e32 v8, 16, v10
	v_mad_i64_i32 v[2:3], s[8:9], v8, s13, 0
	v_cmp_le_i32_e32 vcc, v8, v4
	v_lshl_add_u64 v[2:3], v[2:3], 2, s[6:7]
	s_and_b64 s[6:7], vcc, s[2:3]
	s_and_saveexec_b64 s[2:3], s[6:7]
	s_cbranch_execz .LBB300_22
; %bb.19:
	v_mul_f32_e32 v0, s19, v0
	s_and_b64 vcc, exec, s[0:1]
	v_lshl_add_u64 v[4:5], v[4:5], 2, v[2:3]
	s_cbranch_vccnz .LBB300_21
; %bb.20:
	flat_load_dword v9, v[4:5]
	s_waitcnt vmcnt(0) lgkmcnt(0)
	v_fmac_f32_e32 v0, s18, v9
.LBB300_21:
	flat_store_dword v[4:5], v0
.LBB300_22:
	s_or_b64 exec, exec, s[2:3]
	v_cmp_le_i32_e32 vcc, v8, v6
	s_and_b64 s[2:3], vcc, s[4:5]
	s_and_saveexec_b64 s[4:5], s[2:3]
	s_cbranch_execz .LBB300_26
; %bb.23:
	v_mul_f32_e32 v4, s19, v1
	s_and_b64 vcc, exec, s[0:1]
	v_lshl_add_u64 v[0:1], v[6:7], 2, v[2:3]
	s_cbranch_vccnz .LBB300_25
; %bb.24:
	flat_load_dword v2, v[0:1]
	s_waitcnt vmcnt(0) lgkmcnt(0)
	v_fmac_f32_e32 v4, s18, v2
.LBB300_25:
	flat_store_dword v[0:1], v4
.LBB300_26:
	s_endpgm
	.section	.rodata,"a",@progbits
	.p2align	6, 0x0
	.amdhsa_kernel _ZL29rocblas_internal_gemmt_kernelIiLi16ELi32ELi8ELc84ELc78ELc76ELb0ELb0EfPKfPKS1_PKPfEviT_T9_T10_S7_lS9_S7_lS8_T11_S7_li
		.amdhsa_group_segment_fixed_size 2048
		.amdhsa_private_segment_fixed_size 0
		.amdhsa_kernarg_size 100
		.amdhsa_user_sgpr_count 2
		.amdhsa_user_sgpr_dispatch_ptr 0
		.amdhsa_user_sgpr_queue_ptr 0
		.amdhsa_user_sgpr_kernarg_segment_ptr 1
		.amdhsa_user_sgpr_dispatch_id 0
		.amdhsa_user_sgpr_kernarg_preload_length 0
		.amdhsa_user_sgpr_kernarg_preload_offset 0
		.amdhsa_user_sgpr_private_segment_size 0
		.amdhsa_uses_dynamic_stack 0
		.amdhsa_enable_private_segment 0
		.amdhsa_system_sgpr_workgroup_id_x 1
		.amdhsa_system_sgpr_workgroup_id_y 1
		.amdhsa_system_sgpr_workgroup_id_z 1
		.amdhsa_system_sgpr_workgroup_info 0
		.amdhsa_system_vgpr_workitem_id 1
		.amdhsa_next_free_vgpr 48
		.amdhsa_next_free_sgpr 25
		.amdhsa_accum_offset 48
		.amdhsa_reserve_vcc 1
		.amdhsa_float_round_mode_32 0
		.amdhsa_float_round_mode_16_64 0
		.amdhsa_float_denorm_mode_32 3
		.amdhsa_float_denorm_mode_16_64 3
		.amdhsa_dx10_clamp 1
		.amdhsa_ieee_mode 1
		.amdhsa_fp16_overflow 0
		.amdhsa_tg_split 0
		.amdhsa_exception_fp_ieee_invalid_op 0
		.amdhsa_exception_fp_denorm_src 0
		.amdhsa_exception_fp_ieee_div_zero 0
		.amdhsa_exception_fp_ieee_overflow 0
		.amdhsa_exception_fp_ieee_underflow 0
		.amdhsa_exception_fp_ieee_inexact 0
		.amdhsa_exception_int_div_zero 0
	.end_amdhsa_kernel
	.section	.text._ZL29rocblas_internal_gemmt_kernelIiLi16ELi32ELi8ELc84ELc78ELc76ELb0ELb0EfPKfPKS1_PKPfEviT_T9_T10_S7_lS9_S7_lS8_T11_S7_li,"axG",@progbits,_ZL29rocblas_internal_gemmt_kernelIiLi16ELi32ELi8ELc84ELc78ELc76ELb0ELb0EfPKfPKS1_PKPfEviT_T9_T10_S7_lS9_S7_lS8_T11_S7_li,comdat
.Lfunc_end300:
	.size	_ZL29rocblas_internal_gemmt_kernelIiLi16ELi32ELi8ELc84ELc78ELc76ELb0ELb0EfPKfPKS1_PKPfEviT_T9_T10_S7_lS9_S7_lS8_T11_S7_li, .Lfunc_end300-_ZL29rocblas_internal_gemmt_kernelIiLi16ELi32ELi8ELc84ELc78ELc76ELb0ELb0EfPKfPKS1_PKPfEviT_T9_T10_S7_lS9_S7_lS8_T11_S7_li
                                        ; -- End function
	.set _ZL29rocblas_internal_gemmt_kernelIiLi16ELi32ELi8ELc84ELc78ELc76ELb0ELb0EfPKfPKS1_PKPfEviT_T9_T10_S7_lS9_S7_lS8_T11_S7_li.num_vgpr, 48
	.set _ZL29rocblas_internal_gemmt_kernelIiLi16ELi32ELi8ELc84ELc78ELc76ELb0ELb0EfPKfPKS1_PKPfEviT_T9_T10_S7_lS9_S7_lS8_T11_S7_li.num_agpr, 0
	.set _ZL29rocblas_internal_gemmt_kernelIiLi16ELi32ELi8ELc84ELc78ELc76ELb0ELb0EfPKfPKS1_PKPfEviT_T9_T10_S7_lS9_S7_lS8_T11_S7_li.numbered_sgpr, 25
	.set _ZL29rocblas_internal_gemmt_kernelIiLi16ELi32ELi8ELc84ELc78ELc76ELb0ELb0EfPKfPKS1_PKPfEviT_T9_T10_S7_lS9_S7_lS8_T11_S7_li.num_named_barrier, 0
	.set _ZL29rocblas_internal_gemmt_kernelIiLi16ELi32ELi8ELc84ELc78ELc76ELb0ELb0EfPKfPKS1_PKPfEviT_T9_T10_S7_lS9_S7_lS8_T11_S7_li.private_seg_size, 0
	.set _ZL29rocblas_internal_gemmt_kernelIiLi16ELi32ELi8ELc84ELc78ELc76ELb0ELb0EfPKfPKS1_PKPfEviT_T9_T10_S7_lS9_S7_lS8_T11_S7_li.uses_vcc, 1
	.set _ZL29rocblas_internal_gemmt_kernelIiLi16ELi32ELi8ELc84ELc78ELc76ELb0ELb0EfPKfPKS1_PKPfEviT_T9_T10_S7_lS9_S7_lS8_T11_S7_li.uses_flat_scratch, 0
	.set _ZL29rocblas_internal_gemmt_kernelIiLi16ELi32ELi8ELc84ELc78ELc76ELb0ELb0EfPKfPKS1_PKPfEviT_T9_T10_S7_lS9_S7_lS8_T11_S7_li.has_dyn_sized_stack, 0
	.set _ZL29rocblas_internal_gemmt_kernelIiLi16ELi32ELi8ELc84ELc78ELc76ELb0ELb0EfPKfPKS1_PKPfEviT_T9_T10_S7_lS9_S7_lS8_T11_S7_li.has_recursion, 0
	.set _ZL29rocblas_internal_gemmt_kernelIiLi16ELi32ELi8ELc84ELc78ELc76ELb0ELb0EfPKfPKS1_PKPfEviT_T9_T10_S7_lS9_S7_lS8_T11_S7_li.has_indirect_call, 0
	.section	.AMDGPU.csdata,"",@progbits
; Kernel info:
; codeLenInByte = 1260
; TotalNumSgprs: 31
; NumVgprs: 48
; NumAgprs: 0
; TotalNumVgprs: 48
; ScratchSize: 0
; MemoryBound: 0
; FloatMode: 240
; IeeeMode: 1
; LDSByteSize: 2048 bytes/workgroup (compile time only)
; SGPRBlocks: 3
; VGPRBlocks: 5
; NumSGPRsForWavesPerEU: 31
; NumVGPRsForWavesPerEU: 48
; AccumOffset: 48
; Occupancy: 8
; WaveLimiterHint : 1
; COMPUTE_PGM_RSRC2:SCRATCH_EN: 0
; COMPUTE_PGM_RSRC2:USER_SGPR: 2
; COMPUTE_PGM_RSRC2:TRAP_HANDLER: 0
; COMPUTE_PGM_RSRC2:TGID_X_EN: 1
; COMPUTE_PGM_RSRC2:TGID_Y_EN: 1
; COMPUTE_PGM_RSRC2:TGID_Z_EN: 1
; COMPUTE_PGM_RSRC2:TIDIG_COMP_CNT: 1
; COMPUTE_PGM_RSRC3_GFX90A:ACCUM_OFFSET: 11
; COMPUTE_PGM_RSRC3_GFX90A:TG_SPLIT: 0
	.section	.text._ZL29rocblas_internal_gemmt_kernelIiLi16ELi32ELi8ELc84ELc84ELc76ELb0ELb0EfPKfPKS1_PKPfEviT_T9_T10_S7_lS9_S7_lS8_T11_S7_li,"axG",@progbits,_ZL29rocblas_internal_gemmt_kernelIiLi16ELi32ELi8ELc84ELc84ELc76ELb0ELb0EfPKfPKS1_PKPfEviT_T9_T10_S7_lS9_S7_lS8_T11_S7_li,comdat
	.globl	_ZL29rocblas_internal_gemmt_kernelIiLi16ELi32ELi8ELc84ELc84ELc76ELb0ELb0EfPKfPKS1_PKPfEviT_T9_T10_S7_lS9_S7_lS8_T11_S7_li ; -- Begin function _ZL29rocblas_internal_gemmt_kernelIiLi16ELi32ELi8ELc84ELc84ELc76ELb0ELb0EfPKfPKS1_PKPfEviT_T9_T10_S7_lS9_S7_lS8_T11_S7_li
	.p2align	8
	.type	_ZL29rocblas_internal_gemmt_kernelIiLi16ELi32ELi8ELc84ELc84ELc76ELb0ELb0EfPKfPKS1_PKPfEviT_T9_T10_S7_lS9_S7_lS8_T11_S7_li,@function
_ZL29rocblas_internal_gemmt_kernelIiLi16ELi32ELi8ELc84ELc84ELc76ELb0ELb0EfPKfPKS1_PKPfEviT_T9_T10_S7_lS9_S7_lS8_T11_S7_li: ; @_ZL29rocblas_internal_gemmt_kernelIiLi16ELi32ELi8ELc84ELc84ELc76ELb0ELb0EfPKfPKS1_PKPfEviT_T9_T10_S7_lS9_S7_lS8_T11_S7_li
; %bb.0:
	s_load_dwordx4 s[8:11], s[0:1], 0x38
	s_load_dwordx4 s[12:15], s[0:1], 0x8
	s_waitcnt lgkmcnt(0)
	s_load_dword s18, s[10:11], 0x0
	s_load_dwordx2 s[16:17], s[0:1], 0x0
	s_load_dword s19, s[12:13], 0x0
	s_waitcnt lgkmcnt(0)
	v_cmp_neq_f32_e64 s[6:7], s18, 1.0
	s_and_b64 vcc, exec, s[6:7]
	s_cbranch_vccnz .LBB301_2
; %bb.1:
	s_cmp_lg_u32 s17, 0
	s_cselect_b64 s[6:7], -1, 0
	v_cmp_neq_f32_e64 s[10:11], s19, 0
	s_and_b64 s[6:7], s[6:7], s[10:11]
.LBB301_2:
	s_andn2_b64 vcc, exec, s[6:7]
	s_cbranch_vccnz .LBB301_26
; %bb.3:
	s_load_dwordx2 s[10:11], s[0:1], 0x48
	s_mov_b32 s5, 0
	s_lshl_b64 s[6:7], s[4:5], 3
	v_mov_b32_e32 v3, 0
	v_and_b32_e32 v8, 0x3ff, v0
	s_waitcnt lgkmcnt(0)
	s_add_u32 s10, s10, s6
	s_addc_u32 s11, s11, s7
	s_load_dwordx2 s[10:11], s[10:11], 0x0
	s_lshl_b32 s4, s2, 5
	s_lshl_b32 s12, s3, 5
	s_cmp_lt_i32 s17, 1
	v_cmp_eq_f32_e64 s[2:3], s19, 0
	s_cselect_b64 s[20:21], -1, 0
	s_or_b64 s[2:3], s[2:3], s[20:21]
	v_bfe_u32 v9, v0, 10, 10
	s_and_b64 vcc, exec, s[2:3]
	v_mov_b32_e32 v2, v3
	v_mov_b32_e32 v1, v3
	;; [unrolled: 1-line block ×3, first 2 shown]
	s_cbranch_vccnz .LBB301_10
; %bb.4:
	s_load_dword s13, s[0:1], 0x18
	s_load_dword s24, s[0:1], 0x30
	s_load_dwordx4 s[20:23], s[0:1], 0x20
	v_lshl_add_u32 v0, v9, 4, v8
	v_lshrrev_b32_e32 v11, 5, v0
	v_lshrrev_b32_e32 v1, 3, v0
	s_waitcnt lgkmcnt(0)
	s_ashr_i32 s25, s24, 31
	v_and_b32_e32 v0, 31, v0
	v_or_b32_e32 v3, s4, v0
	s_add_u32 s2, s22, s6
	v_and_b32_e32 v10, 7, v8
	s_addc_u32 s3, s23, s7
	v_cmp_gt_i32_e32 vcc, s16, v3
	v_lshlrev_b32_e32 v3, 2, v0
	s_load_dwordx2 s[22:23], s[2:3], 0x0
	s_add_u32 s2, s14, s6
	v_lshl_or_b32 v12, v11, 7, v3
	v_lshlrev_b32_e32 v3, 2, v10
	v_add_u32_e32 v2, s12, v1
	s_addc_u32 s3, s15, s7
	v_lshl_or_b32 v1, v1, 5, v3
	s_load_dwordx2 s[6:7], s[2:3], 0x0
	v_add_u32_e32 v13, 0x400, v1
	v_mov_b32_e32 v1, 0x400
	v_add_u32_e32 v0, s4, v0
	v_lshl_add_u32 v15, v9, 5, v1
	v_mad_i64_i32 v[0:1], s[14:15], s13, v0, 0
	s_lshl_b64 s[14:15], s[20:21], 2
	s_nop 0
	v_lshl_add_u64 v[4:5], v[0:1], 2, s[14:15]
	v_lshlrev_b32_e32 v0, 2, v11
	v_mov_b32_e32 v1, 0
	v_lshl_add_u64 v[4:5], v[4:5], 0, v[0:1]
	s_waitcnt lgkmcnt(0)
	v_lshl_add_u64 v[4:5], s[6:7], 0, v[4:5]
	v_mad_i64_i32 v[6:7], s[6:7], s24, v10, 0
	s_lshl_b64 s[6:7], s[8:9], 2
	v_ashrrev_i32_e32 v3, 31, v2
	v_lshl_add_u64 v[6:7], v[6:7], 2, s[6:7]
	v_cmp_gt_i32_e64 s[2:3], s16, v2
	v_lshl_add_u64 v[2:3], v[2:3], 2, v[6:7]
	v_lshlrev_b32_e32 v14, 2, v8
	v_lshl_add_u64 v[6:7], s[22:23], 0, v[2:3]
	s_lshl_b64 s[8:9], s[24:25], 5
	v_mov_b32_e32 v0, v1
	v_mov_b32_e32 v2, v1
	;; [unrolled: 1-line block ×3, first 2 shown]
	s_branch .LBB301_6
.LBB301_5:                              ;   in Loop: Header=BB301_6 Depth=1
	s_or_b64 exec, exec, s[6:7]
	s_waitcnt vmcnt(0) lgkmcnt(0)
	ds_write_b32 v13, v16
	s_waitcnt lgkmcnt(0)
	s_barrier
	ds_read_b128 v[16:19], v15
	ds_read_b128 v[20:23], v15 offset:16
	ds_read2_b32 v[32:33], v14 offset1:16
	ds_read2_b32 v[34:35], v14 offset0:32 offset1:48
	ds_read2_b32 v[36:37], v14 offset0:64 offset1:80
	;; [unrolled: 1-line block ×4, first 2 shown]
	ds_read_b128 v[24:27], v15 offset:512
	ds_read_b128 v[28:31], v15 offset:528
	ds_read2_b32 v[42:43], v14 offset0:160 offset1:176
	ds_read2_b32 v[44:45], v14 offset0:192 offset1:208
	;; [unrolled: 1-line block ×3, first 2 shown]
	s_waitcnt lgkmcnt(9)
	v_pk_fma_f32 v[2:3], v[32:33], v[16:17], v[2:3] op_sel_hi:[1,0,1]
	s_waitcnt lgkmcnt(4)
	v_pk_fma_f32 v[0:1], v[32:33], v[24:25], v[0:1] op_sel_hi:[1,0,1]
	v_pk_fma_f32 v[2:3], v[34:35], v[16:17], v[2:3] op_sel:[0,1,0]
	v_mov_b32_e32 v16, v19
	v_pk_fma_f32 v[2:3], v[36:37], v[18:19], v[2:3] op_sel_hi:[1,0,1]
	v_pk_fma_f32 v[0:1], v[34:35], v[24:25], v[0:1] op_sel:[0,1,0]
	v_pk_fma_f32 v[2:3], v[38:39], v[16:17], v[2:3] op_sel_hi:[1,0,1]
	v_mov_b32_e32 v16, v23
	v_pk_fma_f32 v[2:3], v[40:41], v[20:21], v[2:3] op_sel_hi:[1,0,1]
	v_pk_fma_f32 v[0:1], v[36:37], v[26:27], v[0:1] op_sel_hi:[1,0,1]
	s_waitcnt lgkmcnt(2)
	v_pk_fma_f32 v[2:3], v[42:43], v[20:21], v[2:3] op_sel:[0,1,0]
	s_add_i32 s5, s5, 8
	s_waitcnt lgkmcnt(1)
	v_pk_fma_f32 v[2:3], v[44:45], v[22:23], v[2:3] op_sel_hi:[1,0,1]
	v_lshl_add_u64 v[4:5], v[4:5], 0, 32
	s_waitcnt lgkmcnt(0)
	v_pk_fma_f32 v[2:3], v[46:47], v[16:17], v[2:3] op_sel_hi:[1,0,1]
	v_mov_b32_e32 v16, v27
	v_pk_fma_f32 v[0:1], v[38:39], v[16:17], v[0:1] op_sel_hi:[1,0,1]
	v_mov_b32_e32 v16, v31
	v_pk_fma_f32 v[0:1], v[40:41], v[28:29], v[0:1] op_sel_hi:[1,0,1]
	s_cmp_lt_i32 s5, s17
	v_pk_fma_f32 v[0:1], v[42:43], v[28:29], v[0:1] op_sel:[0,1,0]
	v_lshl_add_u64 v[6:7], v[6:7], 0, s[8:9]
	v_pk_fma_f32 v[0:1], v[44:45], v[30:31], v[0:1] op_sel_hi:[1,0,1]
	s_nop 0
	v_pk_fma_f32 v[0:1], v[46:47], v[16:17], v[0:1] op_sel_hi:[1,0,1]
	s_barrier
	s_cbranch_scc0 .LBB301_10
.LBB301_6:                              ; =>This Inner Loop Header: Depth=1
	v_add_u32_e32 v16, s5, v11
	v_cmp_gt_i32_e64 s[6:7], s17, v16
	s_and_b64 s[14:15], vcc, s[6:7]
	v_mov_b32_e32 v16, 0
	s_and_saveexec_b64 s[6:7], s[14:15]
	s_cbranch_execz .LBB301_8
; %bb.7:                                ;   in Loop: Header=BB301_6 Depth=1
	flat_load_dword v16, v[4:5]
.LBB301_8:                              ;   in Loop: Header=BB301_6 Depth=1
	s_or_b64 exec, exec, s[6:7]
	s_waitcnt vmcnt(0) lgkmcnt(0)
	ds_write_b32 v12, v16
	v_add_u32_e32 v16, s5, v10
	v_cmp_gt_i32_e64 s[6:7], s17, v16
	s_and_b64 s[14:15], s[6:7], s[2:3]
	v_mov_b32_e32 v16, 0
	s_and_saveexec_b64 s[6:7], s[14:15]
	s_cbranch_execz .LBB301_5
; %bb.9:                                ;   in Loop: Header=BB301_6 Depth=1
	flat_load_dword v16, v[6:7]
	s_branch .LBB301_5
.LBB301_10:
	s_load_dwordx2 s[2:3], s[0:1], 0x58
	s_load_dword s13, s[0:1], 0x50
	v_add_u32_e32 v10, s12, v9
	v_add_u32_e32 v4, s4, v8
	v_cmp_le_i32_e32 vcc, v10, v4
	s_waitcnt lgkmcnt(0)
	s_lshl_b64 s[0:1], s[2:3], 2
	s_add_u32 s6, s10, s0
	s_addc_u32 s7, s11, s1
	v_mad_i64_i32 v[6:7], s[0:1], v10, s13, 0
	v_cmp_neq_f32_e64 s[0:1], s18, 0
	v_lshl_add_u64 v[8:9], v[6:7], 2, s[6:7]
	v_cmp_gt_i32_e64 s[2:3], s16, v4
	v_cndmask_b32_e64 v6, 0, 1, s[0:1]
	s_and_b64 s[8:9], vcc, s[2:3]
	v_ashrrev_i32_e32 v5, 31, v4
	v_cmp_ne_u32_e64 s[0:1], 1, v6
	s_and_saveexec_b64 s[4:5], s[8:9]
	s_cbranch_execz .LBB301_14
; %bb.11:
	v_mul_f32_e32 v2, s19, v2
	s_and_b64 vcc, exec, s[0:1]
	v_lshl_add_u64 v[6:7], v[4:5], 2, v[8:9]
	s_cbranch_vccnz .LBB301_13
; %bb.12:
	flat_load_dword v11, v[6:7]
	s_waitcnt vmcnt(0) lgkmcnt(0)
	v_fmac_f32_e32 v2, s18, v11
.LBB301_13:
	flat_store_dword v[6:7], v2
.LBB301_14:
	s_or_b64 exec, exec, s[4:5]
	v_add_u32_e32 v6, 16, v4
	v_cmp_le_i32_e32 vcc, v10, v6
	v_cmp_gt_i32_e64 s[4:5], s16, v6
	s_and_b64 s[10:11], vcc, s[4:5]
	v_ashrrev_i32_e32 v7, 31, v6
	s_and_saveexec_b64 s[8:9], s[10:11]
	s_cbranch_execz .LBB301_18
; %bb.15:
	v_mul_f32_e32 v11, s19, v3
	s_and_b64 vcc, exec, s[0:1]
	v_lshl_add_u64 v[2:3], v[6:7], 2, v[8:9]
	s_cbranch_vccnz .LBB301_17
; %bb.16:
	flat_load_dword v8, v[2:3]
	s_waitcnt vmcnt(0) lgkmcnt(0)
	v_fmac_f32_e32 v11, s18, v8
.LBB301_17:
	flat_store_dword v[2:3], v11
.LBB301_18:
	s_or_b64 exec, exec, s[8:9]
	v_add_u32_e32 v8, 16, v10
	v_mad_i64_i32 v[2:3], s[8:9], v8, s13, 0
	v_cmp_le_i32_e32 vcc, v8, v4
	v_lshl_add_u64 v[2:3], v[2:3], 2, s[6:7]
	s_and_b64 s[6:7], vcc, s[2:3]
	s_and_saveexec_b64 s[2:3], s[6:7]
	s_cbranch_execz .LBB301_22
; %bb.19:
	v_mul_f32_e32 v0, s19, v0
	s_and_b64 vcc, exec, s[0:1]
	v_lshl_add_u64 v[4:5], v[4:5], 2, v[2:3]
	s_cbranch_vccnz .LBB301_21
; %bb.20:
	flat_load_dword v9, v[4:5]
	s_waitcnt vmcnt(0) lgkmcnt(0)
	v_fmac_f32_e32 v0, s18, v9
.LBB301_21:
	flat_store_dword v[4:5], v0
.LBB301_22:
	s_or_b64 exec, exec, s[2:3]
	v_cmp_le_i32_e32 vcc, v8, v6
	s_and_b64 s[2:3], vcc, s[4:5]
	s_and_saveexec_b64 s[4:5], s[2:3]
	s_cbranch_execz .LBB301_26
; %bb.23:
	v_mul_f32_e32 v4, s19, v1
	s_and_b64 vcc, exec, s[0:1]
	v_lshl_add_u64 v[0:1], v[6:7], 2, v[2:3]
	s_cbranch_vccnz .LBB301_25
; %bb.24:
	flat_load_dword v2, v[0:1]
	s_waitcnt vmcnt(0) lgkmcnt(0)
	v_fmac_f32_e32 v4, s18, v2
.LBB301_25:
	flat_store_dword v[0:1], v4
.LBB301_26:
	s_endpgm
	.section	.rodata,"a",@progbits
	.p2align	6, 0x0
	.amdhsa_kernel _ZL29rocblas_internal_gemmt_kernelIiLi16ELi32ELi8ELc84ELc84ELc76ELb0ELb0EfPKfPKS1_PKPfEviT_T9_T10_S7_lS9_S7_lS8_T11_S7_li
		.amdhsa_group_segment_fixed_size 2048
		.amdhsa_private_segment_fixed_size 0
		.amdhsa_kernarg_size 100
		.amdhsa_user_sgpr_count 2
		.amdhsa_user_sgpr_dispatch_ptr 0
		.amdhsa_user_sgpr_queue_ptr 0
		.amdhsa_user_sgpr_kernarg_segment_ptr 1
		.amdhsa_user_sgpr_dispatch_id 0
		.amdhsa_user_sgpr_kernarg_preload_length 0
		.amdhsa_user_sgpr_kernarg_preload_offset 0
		.amdhsa_user_sgpr_private_segment_size 0
		.amdhsa_uses_dynamic_stack 0
		.amdhsa_enable_private_segment 0
		.amdhsa_system_sgpr_workgroup_id_x 1
		.amdhsa_system_sgpr_workgroup_id_y 1
		.amdhsa_system_sgpr_workgroup_id_z 1
		.amdhsa_system_sgpr_workgroup_info 0
		.amdhsa_system_vgpr_workitem_id 1
		.amdhsa_next_free_vgpr 48
		.amdhsa_next_free_sgpr 26
		.amdhsa_accum_offset 48
		.amdhsa_reserve_vcc 1
		.amdhsa_float_round_mode_32 0
		.amdhsa_float_round_mode_16_64 0
		.amdhsa_float_denorm_mode_32 3
		.amdhsa_float_denorm_mode_16_64 3
		.amdhsa_dx10_clamp 1
		.amdhsa_ieee_mode 1
		.amdhsa_fp16_overflow 0
		.amdhsa_tg_split 0
		.amdhsa_exception_fp_ieee_invalid_op 0
		.amdhsa_exception_fp_denorm_src 0
		.amdhsa_exception_fp_ieee_div_zero 0
		.amdhsa_exception_fp_ieee_overflow 0
		.amdhsa_exception_fp_ieee_underflow 0
		.amdhsa_exception_fp_ieee_inexact 0
		.amdhsa_exception_int_div_zero 0
	.end_amdhsa_kernel
	.section	.text._ZL29rocblas_internal_gemmt_kernelIiLi16ELi32ELi8ELc84ELc84ELc76ELb0ELb0EfPKfPKS1_PKPfEviT_T9_T10_S7_lS9_S7_lS8_T11_S7_li,"axG",@progbits,_ZL29rocblas_internal_gemmt_kernelIiLi16ELi32ELi8ELc84ELc84ELc76ELb0ELb0EfPKfPKS1_PKPfEviT_T9_T10_S7_lS9_S7_lS8_T11_S7_li,comdat
.Lfunc_end301:
	.size	_ZL29rocblas_internal_gemmt_kernelIiLi16ELi32ELi8ELc84ELc84ELc76ELb0ELb0EfPKfPKS1_PKPfEviT_T9_T10_S7_lS9_S7_lS8_T11_S7_li, .Lfunc_end301-_ZL29rocblas_internal_gemmt_kernelIiLi16ELi32ELi8ELc84ELc84ELc76ELb0ELb0EfPKfPKS1_PKPfEviT_T9_T10_S7_lS9_S7_lS8_T11_S7_li
                                        ; -- End function
	.set _ZL29rocblas_internal_gemmt_kernelIiLi16ELi32ELi8ELc84ELc84ELc76ELb0ELb0EfPKfPKS1_PKPfEviT_T9_T10_S7_lS9_S7_lS8_T11_S7_li.num_vgpr, 48
	.set _ZL29rocblas_internal_gemmt_kernelIiLi16ELi32ELi8ELc84ELc84ELc76ELb0ELb0EfPKfPKS1_PKPfEviT_T9_T10_S7_lS9_S7_lS8_T11_S7_li.num_agpr, 0
	.set _ZL29rocblas_internal_gemmt_kernelIiLi16ELi32ELi8ELc84ELc84ELc76ELb0ELb0EfPKfPKS1_PKPfEviT_T9_T10_S7_lS9_S7_lS8_T11_S7_li.numbered_sgpr, 26
	.set _ZL29rocblas_internal_gemmt_kernelIiLi16ELi32ELi8ELc84ELc84ELc76ELb0ELb0EfPKfPKS1_PKPfEviT_T9_T10_S7_lS9_S7_lS8_T11_S7_li.num_named_barrier, 0
	.set _ZL29rocblas_internal_gemmt_kernelIiLi16ELi32ELi8ELc84ELc84ELc76ELb0ELb0EfPKfPKS1_PKPfEviT_T9_T10_S7_lS9_S7_lS8_T11_S7_li.private_seg_size, 0
	.set _ZL29rocblas_internal_gemmt_kernelIiLi16ELi32ELi8ELc84ELc84ELc76ELb0ELb0EfPKfPKS1_PKPfEviT_T9_T10_S7_lS9_S7_lS8_T11_S7_li.uses_vcc, 1
	.set _ZL29rocblas_internal_gemmt_kernelIiLi16ELi32ELi8ELc84ELc84ELc76ELb0ELb0EfPKfPKS1_PKPfEviT_T9_T10_S7_lS9_S7_lS8_T11_S7_li.uses_flat_scratch, 0
	.set _ZL29rocblas_internal_gemmt_kernelIiLi16ELi32ELi8ELc84ELc84ELc76ELb0ELb0EfPKfPKS1_PKPfEviT_T9_T10_S7_lS9_S7_lS8_T11_S7_li.has_dyn_sized_stack, 0
	.set _ZL29rocblas_internal_gemmt_kernelIiLi16ELi32ELi8ELc84ELc84ELc76ELb0ELb0EfPKfPKS1_PKPfEviT_T9_T10_S7_lS9_S7_lS8_T11_S7_li.has_recursion, 0
	.set _ZL29rocblas_internal_gemmt_kernelIiLi16ELi32ELi8ELc84ELc84ELc76ELb0ELb0EfPKfPKS1_PKPfEviT_T9_T10_S7_lS9_S7_lS8_T11_S7_li.has_indirect_call, 0
	.section	.AMDGPU.csdata,"",@progbits
; Kernel info:
; codeLenInByte = 1268
; TotalNumSgprs: 32
; NumVgprs: 48
; NumAgprs: 0
; TotalNumVgprs: 48
; ScratchSize: 0
; MemoryBound: 0
; FloatMode: 240
; IeeeMode: 1
; LDSByteSize: 2048 bytes/workgroup (compile time only)
; SGPRBlocks: 3
; VGPRBlocks: 5
; NumSGPRsForWavesPerEU: 32
; NumVGPRsForWavesPerEU: 48
; AccumOffset: 48
; Occupancy: 8
; WaveLimiterHint : 1
; COMPUTE_PGM_RSRC2:SCRATCH_EN: 0
; COMPUTE_PGM_RSRC2:USER_SGPR: 2
; COMPUTE_PGM_RSRC2:TRAP_HANDLER: 0
; COMPUTE_PGM_RSRC2:TGID_X_EN: 1
; COMPUTE_PGM_RSRC2:TGID_Y_EN: 1
; COMPUTE_PGM_RSRC2:TGID_Z_EN: 1
; COMPUTE_PGM_RSRC2:TIDIG_COMP_CNT: 1
; COMPUTE_PGM_RSRC3_GFX90A:ACCUM_OFFSET: 11
; COMPUTE_PGM_RSRC3_GFX90A:TG_SPLIT: 0
	.section	.text._ZL29rocblas_internal_gemmt_kernelIiLi16ELi32ELi8ELc84ELc67ELc76ELb0ELb0EfPKfPKS1_PKPfEviT_T9_T10_S7_lS9_S7_lS8_T11_S7_li,"axG",@progbits,_ZL29rocblas_internal_gemmt_kernelIiLi16ELi32ELi8ELc84ELc67ELc76ELb0ELb0EfPKfPKS1_PKPfEviT_T9_T10_S7_lS9_S7_lS8_T11_S7_li,comdat
	.globl	_ZL29rocblas_internal_gemmt_kernelIiLi16ELi32ELi8ELc84ELc67ELc76ELb0ELb0EfPKfPKS1_PKPfEviT_T9_T10_S7_lS9_S7_lS8_T11_S7_li ; -- Begin function _ZL29rocblas_internal_gemmt_kernelIiLi16ELi32ELi8ELc84ELc67ELc76ELb0ELb0EfPKfPKS1_PKPfEviT_T9_T10_S7_lS9_S7_lS8_T11_S7_li
	.p2align	8
	.type	_ZL29rocblas_internal_gemmt_kernelIiLi16ELi32ELi8ELc84ELc67ELc76ELb0ELb0EfPKfPKS1_PKPfEviT_T9_T10_S7_lS9_S7_lS8_T11_S7_li,@function
_ZL29rocblas_internal_gemmt_kernelIiLi16ELi32ELi8ELc84ELc67ELc76ELb0ELb0EfPKfPKS1_PKPfEviT_T9_T10_S7_lS9_S7_lS8_T11_S7_li: ; @_ZL29rocblas_internal_gemmt_kernelIiLi16ELi32ELi8ELc84ELc67ELc76ELb0ELb0EfPKfPKS1_PKPfEviT_T9_T10_S7_lS9_S7_lS8_T11_S7_li
; %bb.0:
	s_load_dwordx4 s[8:11], s[0:1], 0x38
	s_load_dwordx4 s[12:15], s[0:1], 0x8
	s_waitcnt lgkmcnt(0)
	s_load_dword s18, s[10:11], 0x0
	s_load_dwordx2 s[16:17], s[0:1], 0x0
	s_load_dword s19, s[12:13], 0x0
	s_waitcnt lgkmcnt(0)
	v_cmp_neq_f32_e64 s[6:7], s18, 1.0
	s_and_b64 vcc, exec, s[6:7]
	s_cbranch_vccnz .LBB302_2
; %bb.1:
	s_cmp_lg_u32 s17, 0
	s_cselect_b64 s[6:7], -1, 0
	v_cmp_neq_f32_e64 s[10:11], s19, 0
	s_and_b64 s[6:7], s[6:7], s[10:11]
.LBB302_2:
	s_andn2_b64 vcc, exec, s[6:7]
	s_cbranch_vccnz .LBB302_26
; %bb.3:
	s_load_dwordx2 s[10:11], s[0:1], 0x48
	s_mov_b32 s5, 0
	s_lshl_b64 s[6:7], s[4:5], 3
	v_mov_b32_e32 v3, 0
	v_and_b32_e32 v8, 0x3ff, v0
	s_waitcnt lgkmcnt(0)
	s_add_u32 s10, s10, s6
	s_addc_u32 s11, s11, s7
	s_load_dwordx2 s[10:11], s[10:11], 0x0
	s_lshl_b32 s4, s2, 5
	s_lshl_b32 s12, s3, 5
	s_cmp_lt_i32 s17, 1
	v_cmp_eq_f32_e64 s[2:3], s19, 0
	s_cselect_b64 s[20:21], -1, 0
	s_or_b64 s[2:3], s[2:3], s[20:21]
	v_bfe_u32 v9, v0, 10, 10
	s_and_b64 vcc, exec, s[2:3]
	v_mov_b32_e32 v2, v3
	v_mov_b32_e32 v1, v3
	;; [unrolled: 1-line block ×3, first 2 shown]
	s_cbranch_vccnz .LBB302_10
; %bb.4:
	s_load_dword s13, s[0:1], 0x18
	s_load_dword s24, s[0:1], 0x30
	s_load_dwordx4 s[20:23], s[0:1], 0x20
	v_lshl_add_u32 v0, v9, 4, v8
	v_lshrrev_b32_e32 v11, 5, v0
	v_lshrrev_b32_e32 v1, 3, v0
	s_waitcnt lgkmcnt(0)
	s_ashr_i32 s25, s24, 31
	v_and_b32_e32 v0, 31, v0
	v_or_b32_e32 v3, s4, v0
	s_add_u32 s2, s22, s6
	v_and_b32_e32 v10, 7, v8
	s_addc_u32 s3, s23, s7
	v_cmp_gt_i32_e32 vcc, s16, v3
	v_lshlrev_b32_e32 v3, 2, v0
	s_load_dwordx2 s[22:23], s[2:3], 0x0
	s_add_u32 s2, s14, s6
	v_lshl_or_b32 v12, v11, 7, v3
	v_lshlrev_b32_e32 v3, 2, v10
	v_add_u32_e32 v2, s12, v1
	s_addc_u32 s3, s15, s7
	v_lshl_or_b32 v1, v1, 5, v3
	s_load_dwordx2 s[6:7], s[2:3], 0x0
	v_add_u32_e32 v13, 0x400, v1
	v_mov_b32_e32 v1, 0x400
	v_add_u32_e32 v0, s4, v0
	v_lshl_add_u32 v15, v9, 5, v1
	v_mad_i64_i32 v[0:1], s[14:15], s13, v0, 0
	s_lshl_b64 s[14:15], s[20:21], 2
	s_nop 0
	v_lshl_add_u64 v[4:5], v[0:1], 2, s[14:15]
	v_lshlrev_b32_e32 v0, 2, v11
	v_mov_b32_e32 v1, 0
	v_lshl_add_u64 v[4:5], v[4:5], 0, v[0:1]
	s_waitcnt lgkmcnt(0)
	v_lshl_add_u64 v[4:5], s[6:7], 0, v[4:5]
	v_mad_i64_i32 v[6:7], s[6:7], s24, v10, 0
	s_lshl_b64 s[6:7], s[8:9], 2
	v_ashrrev_i32_e32 v3, 31, v2
	v_lshl_add_u64 v[6:7], v[6:7], 2, s[6:7]
	v_cmp_gt_i32_e64 s[2:3], s16, v2
	v_lshl_add_u64 v[2:3], v[2:3], 2, v[6:7]
	v_lshlrev_b32_e32 v14, 2, v8
	v_lshl_add_u64 v[6:7], s[22:23], 0, v[2:3]
	s_lshl_b64 s[8:9], s[24:25], 5
	v_mov_b32_e32 v0, v1
	v_mov_b32_e32 v2, v1
	;; [unrolled: 1-line block ×3, first 2 shown]
	s_branch .LBB302_6
.LBB302_5:                              ;   in Loop: Header=BB302_6 Depth=1
	s_or_b64 exec, exec, s[6:7]
	s_waitcnt vmcnt(0) lgkmcnt(0)
	ds_write_b32 v13, v16
	s_waitcnt lgkmcnt(0)
	s_barrier
	ds_read_b128 v[16:19], v15
	ds_read_b128 v[20:23], v15 offset:16
	ds_read2_b32 v[32:33], v14 offset1:16
	ds_read2_b32 v[34:35], v14 offset0:32 offset1:48
	ds_read2_b32 v[36:37], v14 offset0:64 offset1:80
	;; [unrolled: 1-line block ×4, first 2 shown]
	ds_read_b128 v[24:27], v15 offset:512
	ds_read_b128 v[28:31], v15 offset:528
	ds_read2_b32 v[42:43], v14 offset0:160 offset1:176
	ds_read2_b32 v[44:45], v14 offset0:192 offset1:208
	;; [unrolled: 1-line block ×3, first 2 shown]
	s_waitcnt lgkmcnt(9)
	v_pk_fma_f32 v[2:3], v[32:33], v[16:17], v[2:3] op_sel_hi:[1,0,1]
	s_waitcnt lgkmcnt(4)
	v_pk_fma_f32 v[0:1], v[32:33], v[24:25], v[0:1] op_sel_hi:[1,0,1]
	v_pk_fma_f32 v[2:3], v[34:35], v[16:17], v[2:3] op_sel:[0,1,0]
	v_mov_b32_e32 v16, v19
	v_pk_fma_f32 v[2:3], v[36:37], v[18:19], v[2:3] op_sel_hi:[1,0,1]
	v_pk_fma_f32 v[0:1], v[34:35], v[24:25], v[0:1] op_sel:[0,1,0]
	v_pk_fma_f32 v[2:3], v[38:39], v[16:17], v[2:3] op_sel_hi:[1,0,1]
	v_mov_b32_e32 v16, v23
	v_pk_fma_f32 v[2:3], v[40:41], v[20:21], v[2:3] op_sel_hi:[1,0,1]
	v_pk_fma_f32 v[0:1], v[36:37], v[26:27], v[0:1] op_sel_hi:[1,0,1]
	s_waitcnt lgkmcnt(2)
	v_pk_fma_f32 v[2:3], v[42:43], v[20:21], v[2:3] op_sel:[0,1,0]
	s_add_i32 s5, s5, 8
	s_waitcnt lgkmcnt(1)
	v_pk_fma_f32 v[2:3], v[44:45], v[22:23], v[2:3] op_sel_hi:[1,0,1]
	v_lshl_add_u64 v[4:5], v[4:5], 0, 32
	s_waitcnt lgkmcnt(0)
	v_pk_fma_f32 v[2:3], v[46:47], v[16:17], v[2:3] op_sel_hi:[1,0,1]
	v_mov_b32_e32 v16, v27
	v_pk_fma_f32 v[0:1], v[38:39], v[16:17], v[0:1] op_sel_hi:[1,0,1]
	v_mov_b32_e32 v16, v31
	v_pk_fma_f32 v[0:1], v[40:41], v[28:29], v[0:1] op_sel_hi:[1,0,1]
	s_cmp_lt_i32 s5, s17
	v_pk_fma_f32 v[0:1], v[42:43], v[28:29], v[0:1] op_sel:[0,1,0]
	v_lshl_add_u64 v[6:7], v[6:7], 0, s[8:9]
	v_pk_fma_f32 v[0:1], v[44:45], v[30:31], v[0:1] op_sel_hi:[1,0,1]
	s_nop 0
	v_pk_fma_f32 v[0:1], v[46:47], v[16:17], v[0:1] op_sel_hi:[1,0,1]
	s_barrier
	s_cbranch_scc0 .LBB302_10
.LBB302_6:                              ; =>This Inner Loop Header: Depth=1
	v_add_u32_e32 v16, s5, v11
	v_cmp_gt_i32_e64 s[6:7], s17, v16
	s_and_b64 s[14:15], vcc, s[6:7]
	v_mov_b32_e32 v16, 0
	s_and_saveexec_b64 s[6:7], s[14:15]
	s_cbranch_execz .LBB302_8
; %bb.7:                                ;   in Loop: Header=BB302_6 Depth=1
	flat_load_dword v16, v[4:5]
.LBB302_8:                              ;   in Loop: Header=BB302_6 Depth=1
	s_or_b64 exec, exec, s[6:7]
	s_waitcnt vmcnt(0) lgkmcnt(0)
	ds_write_b32 v12, v16
	v_add_u32_e32 v16, s5, v10
	v_cmp_gt_i32_e64 s[6:7], s17, v16
	s_and_b64 s[14:15], s[6:7], s[2:3]
	v_mov_b32_e32 v16, 0
	s_and_saveexec_b64 s[6:7], s[14:15]
	s_cbranch_execz .LBB302_5
; %bb.9:                                ;   in Loop: Header=BB302_6 Depth=1
	flat_load_dword v16, v[6:7]
	s_branch .LBB302_5
.LBB302_10:
	s_load_dwordx2 s[2:3], s[0:1], 0x58
	s_load_dword s13, s[0:1], 0x50
	v_add_u32_e32 v10, s12, v9
	v_add_u32_e32 v4, s4, v8
	v_cmp_le_i32_e32 vcc, v10, v4
	s_waitcnt lgkmcnt(0)
	s_lshl_b64 s[0:1], s[2:3], 2
	s_add_u32 s6, s10, s0
	s_addc_u32 s7, s11, s1
	v_mad_i64_i32 v[6:7], s[0:1], v10, s13, 0
	v_cmp_neq_f32_e64 s[0:1], s18, 0
	v_lshl_add_u64 v[8:9], v[6:7], 2, s[6:7]
	v_cmp_gt_i32_e64 s[2:3], s16, v4
	v_cndmask_b32_e64 v6, 0, 1, s[0:1]
	s_and_b64 s[8:9], vcc, s[2:3]
	v_ashrrev_i32_e32 v5, 31, v4
	v_cmp_ne_u32_e64 s[0:1], 1, v6
	s_and_saveexec_b64 s[4:5], s[8:9]
	s_cbranch_execz .LBB302_14
; %bb.11:
	v_mul_f32_e32 v2, s19, v2
	s_and_b64 vcc, exec, s[0:1]
	v_lshl_add_u64 v[6:7], v[4:5], 2, v[8:9]
	s_cbranch_vccnz .LBB302_13
; %bb.12:
	flat_load_dword v11, v[6:7]
	s_waitcnt vmcnt(0) lgkmcnt(0)
	v_fmac_f32_e32 v2, s18, v11
.LBB302_13:
	flat_store_dword v[6:7], v2
.LBB302_14:
	s_or_b64 exec, exec, s[4:5]
	v_add_u32_e32 v6, 16, v4
	v_cmp_le_i32_e32 vcc, v10, v6
	v_cmp_gt_i32_e64 s[4:5], s16, v6
	s_and_b64 s[10:11], vcc, s[4:5]
	v_ashrrev_i32_e32 v7, 31, v6
	s_and_saveexec_b64 s[8:9], s[10:11]
	s_cbranch_execz .LBB302_18
; %bb.15:
	v_mul_f32_e32 v11, s19, v3
	s_and_b64 vcc, exec, s[0:1]
	v_lshl_add_u64 v[2:3], v[6:7], 2, v[8:9]
	s_cbranch_vccnz .LBB302_17
; %bb.16:
	flat_load_dword v8, v[2:3]
	s_waitcnt vmcnt(0) lgkmcnt(0)
	v_fmac_f32_e32 v11, s18, v8
.LBB302_17:
	flat_store_dword v[2:3], v11
.LBB302_18:
	s_or_b64 exec, exec, s[8:9]
	v_add_u32_e32 v8, 16, v10
	v_mad_i64_i32 v[2:3], s[8:9], v8, s13, 0
	v_cmp_le_i32_e32 vcc, v8, v4
	v_lshl_add_u64 v[2:3], v[2:3], 2, s[6:7]
	s_and_b64 s[6:7], vcc, s[2:3]
	s_and_saveexec_b64 s[2:3], s[6:7]
	s_cbranch_execz .LBB302_22
; %bb.19:
	v_mul_f32_e32 v0, s19, v0
	s_and_b64 vcc, exec, s[0:1]
	v_lshl_add_u64 v[4:5], v[4:5], 2, v[2:3]
	s_cbranch_vccnz .LBB302_21
; %bb.20:
	flat_load_dword v9, v[4:5]
	s_waitcnt vmcnt(0) lgkmcnt(0)
	v_fmac_f32_e32 v0, s18, v9
.LBB302_21:
	flat_store_dword v[4:5], v0
.LBB302_22:
	s_or_b64 exec, exec, s[2:3]
	v_cmp_le_i32_e32 vcc, v8, v6
	s_and_b64 s[2:3], vcc, s[4:5]
	s_and_saveexec_b64 s[4:5], s[2:3]
	s_cbranch_execz .LBB302_26
; %bb.23:
	v_mul_f32_e32 v4, s19, v1
	s_and_b64 vcc, exec, s[0:1]
	v_lshl_add_u64 v[0:1], v[6:7], 2, v[2:3]
	s_cbranch_vccnz .LBB302_25
; %bb.24:
	flat_load_dword v2, v[0:1]
	s_waitcnt vmcnt(0) lgkmcnt(0)
	v_fmac_f32_e32 v4, s18, v2
.LBB302_25:
	flat_store_dword v[0:1], v4
.LBB302_26:
	s_endpgm
	.section	.rodata,"a",@progbits
	.p2align	6, 0x0
	.amdhsa_kernel _ZL29rocblas_internal_gemmt_kernelIiLi16ELi32ELi8ELc84ELc67ELc76ELb0ELb0EfPKfPKS1_PKPfEviT_T9_T10_S7_lS9_S7_lS8_T11_S7_li
		.amdhsa_group_segment_fixed_size 2048
		.amdhsa_private_segment_fixed_size 0
		.amdhsa_kernarg_size 100
		.amdhsa_user_sgpr_count 2
		.amdhsa_user_sgpr_dispatch_ptr 0
		.amdhsa_user_sgpr_queue_ptr 0
		.amdhsa_user_sgpr_kernarg_segment_ptr 1
		.amdhsa_user_sgpr_dispatch_id 0
		.amdhsa_user_sgpr_kernarg_preload_length 0
		.amdhsa_user_sgpr_kernarg_preload_offset 0
		.amdhsa_user_sgpr_private_segment_size 0
		.amdhsa_uses_dynamic_stack 0
		.amdhsa_enable_private_segment 0
		.amdhsa_system_sgpr_workgroup_id_x 1
		.amdhsa_system_sgpr_workgroup_id_y 1
		.amdhsa_system_sgpr_workgroup_id_z 1
		.amdhsa_system_sgpr_workgroup_info 0
		.amdhsa_system_vgpr_workitem_id 1
		.amdhsa_next_free_vgpr 48
		.amdhsa_next_free_sgpr 26
		.amdhsa_accum_offset 48
		.amdhsa_reserve_vcc 1
		.amdhsa_float_round_mode_32 0
		.amdhsa_float_round_mode_16_64 0
		.amdhsa_float_denorm_mode_32 3
		.amdhsa_float_denorm_mode_16_64 3
		.amdhsa_dx10_clamp 1
		.amdhsa_ieee_mode 1
		.amdhsa_fp16_overflow 0
		.amdhsa_tg_split 0
		.amdhsa_exception_fp_ieee_invalid_op 0
		.amdhsa_exception_fp_denorm_src 0
		.amdhsa_exception_fp_ieee_div_zero 0
		.amdhsa_exception_fp_ieee_overflow 0
		.amdhsa_exception_fp_ieee_underflow 0
		.amdhsa_exception_fp_ieee_inexact 0
		.amdhsa_exception_int_div_zero 0
	.end_amdhsa_kernel
	.section	.text._ZL29rocblas_internal_gemmt_kernelIiLi16ELi32ELi8ELc84ELc67ELc76ELb0ELb0EfPKfPKS1_PKPfEviT_T9_T10_S7_lS9_S7_lS8_T11_S7_li,"axG",@progbits,_ZL29rocblas_internal_gemmt_kernelIiLi16ELi32ELi8ELc84ELc67ELc76ELb0ELb0EfPKfPKS1_PKPfEviT_T9_T10_S7_lS9_S7_lS8_T11_S7_li,comdat
.Lfunc_end302:
	.size	_ZL29rocblas_internal_gemmt_kernelIiLi16ELi32ELi8ELc84ELc67ELc76ELb0ELb0EfPKfPKS1_PKPfEviT_T9_T10_S7_lS9_S7_lS8_T11_S7_li, .Lfunc_end302-_ZL29rocblas_internal_gemmt_kernelIiLi16ELi32ELi8ELc84ELc67ELc76ELb0ELb0EfPKfPKS1_PKPfEviT_T9_T10_S7_lS9_S7_lS8_T11_S7_li
                                        ; -- End function
	.set _ZL29rocblas_internal_gemmt_kernelIiLi16ELi32ELi8ELc84ELc67ELc76ELb0ELb0EfPKfPKS1_PKPfEviT_T9_T10_S7_lS9_S7_lS8_T11_S7_li.num_vgpr, 48
	.set _ZL29rocblas_internal_gemmt_kernelIiLi16ELi32ELi8ELc84ELc67ELc76ELb0ELb0EfPKfPKS1_PKPfEviT_T9_T10_S7_lS9_S7_lS8_T11_S7_li.num_agpr, 0
	.set _ZL29rocblas_internal_gemmt_kernelIiLi16ELi32ELi8ELc84ELc67ELc76ELb0ELb0EfPKfPKS1_PKPfEviT_T9_T10_S7_lS9_S7_lS8_T11_S7_li.numbered_sgpr, 26
	.set _ZL29rocblas_internal_gemmt_kernelIiLi16ELi32ELi8ELc84ELc67ELc76ELb0ELb0EfPKfPKS1_PKPfEviT_T9_T10_S7_lS9_S7_lS8_T11_S7_li.num_named_barrier, 0
	.set _ZL29rocblas_internal_gemmt_kernelIiLi16ELi32ELi8ELc84ELc67ELc76ELb0ELb0EfPKfPKS1_PKPfEviT_T9_T10_S7_lS9_S7_lS8_T11_S7_li.private_seg_size, 0
	.set _ZL29rocblas_internal_gemmt_kernelIiLi16ELi32ELi8ELc84ELc67ELc76ELb0ELb0EfPKfPKS1_PKPfEviT_T9_T10_S7_lS9_S7_lS8_T11_S7_li.uses_vcc, 1
	.set _ZL29rocblas_internal_gemmt_kernelIiLi16ELi32ELi8ELc84ELc67ELc76ELb0ELb0EfPKfPKS1_PKPfEviT_T9_T10_S7_lS9_S7_lS8_T11_S7_li.uses_flat_scratch, 0
	.set _ZL29rocblas_internal_gemmt_kernelIiLi16ELi32ELi8ELc84ELc67ELc76ELb0ELb0EfPKfPKS1_PKPfEviT_T9_T10_S7_lS9_S7_lS8_T11_S7_li.has_dyn_sized_stack, 0
	.set _ZL29rocblas_internal_gemmt_kernelIiLi16ELi32ELi8ELc84ELc67ELc76ELb0ELb0EfPKfPKS1_PKPfEviT_T9_T10_S7_lS9_S7_lS8_T11_S7_li.has_recursion, 0
	.set _ZL29rocblas_internal_gemmt_kernelIiLi16ELi32ELi8ELc84ELc67ELc76ELb0ELb0EfPKfPKS1_PKPfEviT_T9_T10_S7_lS9_S7_lS8_T11_S7_li.has_indirect_call, 0
	.section	.AMDGPU.csdata,"",@progbits
; Kernel info:
; codeLenInByte = 1268
; TotalNumSgprs: 32
; NumVgprs: 48
; NumAgprs: 0
; TotalNumVgprs: 48
; ScratchSize: 0
; MemoryBound: 0
; FloatMode: 240
; IeeeMode: 1
; LDSByteSize: 2048 bytes/workgroup (compile time only)
; SGPRBlocks: 3
; VGPRBlocks: 5
; NumSGPRsForWavesPerEU: 32
; NumVGPRsForWavesPerEU: 48
; AccumOffset: 48
; Occupancy: 8
; WaveLimiterHint : 1
; COMPUTE_PGM_RSRC2:SCRATCH_EN: 0
; COMPUTE_PGM_RSRC2:USER_SGPR: 2
; COMPUTE_PGM_RSRC2:TRAP_HANDLER: 0
; COMPUTE_PGM_RSRC2:TGID_X_EN: 1
; COMPUTE_PGM_RSRC2:TGID_Y_EN: 1
; COMPUTE_PGM_RSRC2:TGID_Z_EN: 1
; COMPUTE_PGM_RSRC2:TIDIG_COMP_CNT: 1
; COMPUTE_PGM_RSRC3_GFX90A:ACCUM_OFFSET: 11
; COMPUTE_PGM_RSRC3_GFX90A:TG_SPLIT: 0
	.section	.text._ZL29rocblas_internal_gemmt_kernelIiLi16ELi32ELi8ELc67ELc78ELc76ELb0ELb0EfPKfPKS1_PKPfEviT_T9_T10_S7_lS9_S7_lS8_T11_S7_li,"axG",@progbits,_ZL29rocblas_internal_gemmt_kernelIiLi16ELi32ELi8ELc67ELc78ELc76ELb0ELb0EfPKfPKS1_PKPfEviT_T9_T10_S7_lS9_S7_lS8_T11_S7_li,comdat
	.globl	_ZL29rocblas_internal_gemmt_kernelIiLi16ELi32ELi8ELc67ELc78ELc76ELb0ELb0EfPKfPKS1_PKPfEviT_T9_T10_S7_lS9_S7_lS8_T11_S7_li ; -- Begin function _ZL29rocblas_internal_gemmt_kernelIiLi16ELi32ELi8ELc67ELc78ELc76ELb0ELb0EfPKfPKS1_PKPfEviT_T9_T10_S7_lS9_S7_lS8_T11_S7_li
	.p2align	8
	.type	_ZL29rocblas_internal_gemmt_kernelIiLi16ELi32ELi8ELc67ELc78ELc76ELb0ELb0EfPKfPKS1_PKPfEviT_T9_T10_S7_lS9_S7_lS8_T11_S7_li,@function
_ZL29rocblas_internal_gemmt_kernelIiLi16ELi32ELi8ELc67ELc78ELc76ELb0ELb0EfPKfPKS1_PKPfEviT_T9_T10_S7_lS9_S7_lS8_T11_S7_li: ; @_ZL29rocblas_internal_gemmt_kernelIiLi16ELi32ELi8ELc67ELc78ELc76ELb0ELb0EfPKfPKS1_PKPfEviT_T9_T10_S7_lS9_S7_lS8_T11_S7_li
; %bb.0:
	s_load_dwordx4 s[8:11], s[0:1], 0x38
	s_load_dwordx4 s[12:15], s[0:1], 0x8
	s_waitcnt lgkmcnt(0)
	s_load_dword s18, s[10:11], 0x0
	s_load_dwordx2 s[16:17], s[0:1], 0x0
	s_load_dword s19, s[12:13], 0x0
	s_waitcnt lgkmcnt(0)
	v_cmp_neq_f32_e64 s[6:7], s18, 1.0
	s_and_b64 vcc, exec, s[6:7]
	s_cbranch_vccnz .LBB303_2
; %bb.1:
	s_cmp_lg_u32 s17, 0
	s_cselect_b64 s[6:7], -1, 0
	v_cmp_neq_f32_e64 s[10:11], s19, 0
	s_and_b64 s[6:7], s[6:7], s[10:11]
.LBB303_2:
	s_andn2_b64 vcc, exec, s[6:7]
	s_cbranch_vccnz .LBB303_26
; %bb.3:
	s_load_dwordx2 s[10:11], s[0:1], 0x48
	s_mov_b32 s5, 0
	s_lshl_b64 s[6:7], s[4:5], 3
	v_mov_b32_e32 v3, 0
	v_and_b32_e32 v8, 0x3ff, v0
	s_waitcnt lgkmcnt(0)
	s_add_u32 s10, s10, s6
	s_addc_u32 s11, s11, s7
	s_load_dwordx2 s[10:11], s[10:11], 0x0
	s_lshl_b32 s4, s2, 5
	s_lshl_b32 s12, s3, 5
	s_cmp_lt_i32 s17, 1
	v_cmp_eq_f32_e64 s[2:3], s19, 0
	s_cselect_b64 s[20:21], -1, 0
	s_or_b64 s[2:3], s[2:3], s[20:21]
	v_bfe_u32 v9, v0, 10, 10
	s_and_b64 vcc, exec, s[2:3]
	v_mov_b32_e32 v2, v3
	v_mov_b32_e32 v1, v3
	;; [unrolled: 1-line block ×3, first 2 shown]
	s_cbranch_vccnz .LBB303_10
; %bb.4:
	s_load_dword s13, s[0:1], 0x18
	s_load_dwordx4 s[20:23], s[0:1], 0x20
	s_load_dword s24, s[0:1], 0x30
	v_lshl_add_u32 v0, v9, 4, v8
	v_lshrrev_b32_e32 v11, 5, v0
	v_lshrrev_b32_e32 v1, 3, v0
	v_and_b32_e32 v0, 31, v0
	v_or_b32_e32 v2, s4, v0
	s_waitcnt lgkmcnt(0)
	s_add_u32 s2, s22, s6
	v_and_b32_e32 v10, 7, v8
	s_addc_u32 s3, s23, s7
	v_cmp_gt_i32_e32 vcc, s16, v2
	v_lshlrev_b32_e32 v2, 2, v0
	s_load_dwordx2 s[22:23], s[2:3], 0x0
	s_add_u32 s2, s14, s6
	v_lshl_or_b32 v12, v11, 7, v2
	v_lshlrev_b32_e32 v2, 2, v10
	v_add_u32_e32 v3, s12, v1
	s_addc_u32 s3, s15, s7
	v_lshl_or_b32 v1, v1, 5, v2
	s_load_dwordx2 s[6:7], s[2:3], 0x0
	v_add_u32_e32 v13, 0x400, v1
	v_mov_b32_e32 v1, 0x400
	v_add_u32_e32 v0, s4, v0
	v_lshl_add_u32 v15, v9, 5, v1
	v_mad_i64_i32 v[0:1], s[14:15], s13, v0, 0
	s_lshl_b64 s[14:15], s[20:21], 2
	s_nop 0
	v_lshl_add_u64 v[4:5], v[0:1], 2, s[14:15]
	v_lshlrev_b32_e32 v0, 2, v11
	v_mov_b32_e32 v1, 0
	v_lshl_add_u64 v[4:5], v[4:5], 0, v[0:1]
	s_waitcnt lgkmcnt(0)
	v_lshl_add_u64 v[4:5], s[6:7], 0, v[4:5]
	v_mad_i64_i32 v[6:7], s[6:7], s24, v3, 0
	s_lshl_b64 s[6:7], s[8:9], 2
	v_cmp_gt_i32_e64 s[2:3], s16, v3
	v_lshl_add_u64 v[6:7], v[6:7], 2, s[6:7]
	v_mov_b32_e32 v3, v1
	v_lshl_add_u64 v[2:3], v[6:7], 0, v[2:3]
	v_lshlrev_b32_e32 v14, 2, v8
	v_lshl_add_u64 v[6:7], s[22:23], 0, v[2:3]
	v_mov_b32_e32 v0, v1
	v_mov_b32_e32 v2, v1
	;; [unrolled: 1-line block ×3, first 2 shown]
	s_branch .LBB303_6
.LBB303_5:                              ;   in Loop: Header=BB303_6 Depth=1
	s_or_b64 exec, exec, s[6:7]
	s_waitcnt vmcnt(0) lgkmcnt(0)
	ds_write_b32 v13, v16
	s_waitcnt lgkmcnt(0)
	s_barrier
	ds_read_b128 v[16:19], v15
	ds_read_b128 v[20:23], v15 offset:16
	ds_read2_b32 v[32:33], v14 offset1:16
	ds_read2_b32 v[34:35], v14 offset0:32 offset1:48
	ds_read2_b32 v[36:37], v14 offset0:64 offset1:80
	;; [unrolled: 1-line block ×4, first 2 shown]
	ds_read_b128 v[24:27], v15 offset:512
	ds_read_b128 v[28:31], v15 offset:528
	ds_read2_b32 v[42:43], v14 offset0:160 offset1:176
	ds_read2_b32 v[44:45], v14 offset0:192 offset1:208
	;; [unrolled: 1-line block ×3, first 2 shown]
	s_waitcnt lgkmcnt(9)
	v_pk_fma_f32 v[2:3], v[32:33], v[16:17], v[2:3] op_sel_hi:[1,0,1]
	s_waitcnt lgkmcnt(4)
	v_pk_fma_f32 v[0:1], v[32:33], v[24:25], v[0:1] op_sel_hi:[1,0,1]
	v_pk_fma_f32 v[2:3], v[34:35], v[16:17], v[2:3] op_sel:[0,1,0]
	v_mov_b32_e32 v16, v19
	v_pk_fma_f32 v[2:3], v[36:37], v[18:19], v[2:3] op_sel_hi:[1,0,1]
	v_pk_fma_f32 v[0:1], v[34:35], v[24:25], v[0:1] op_sel:[0,1,0]
	v_pk_fma_f32 v[2:3], v[38:39], v[16:17], v[2:3] op_sel_hi:[1,0,1]
	v_mov_b32_e32 v16, v23
	v_pk_fma_f32 v[2:3], v[40:41], v[20:21], v[2:3] op_sel_hi:[1,0,1]
	v_pk_fma_f32 v[0:1], v[36:37], v[26:27], v[0:1] op_sel_hi:[1,0,1]
	s_waitcnt lgkmcnt(2)
	v_pk_fma_f32 v[2:3], v[42:43], v[20:21], v[2:3] op_sel:[0,1,0]
	s_add_i32 s5, s5, 8
	s_waitcnt lgkmcnt(1)
	v_pk_fma_f32 v[2:3], v[44:45], v[22:23], v[2:3] op_sel_hi:[1,0,1]
	v_lshl_add_u64 v[4:5], v[4:5], 0, 32
	s_waitcnt lgkmcnt(0)
	v_pk_fma_f32 v[2:3], v[46:47], v[16:17], v[2:3] op_sel_hi:[1,0,1]
	v_mov_b32_e32 v16, v27
	v_pk_fma_f32 v[0:1], v[38:39], v[16:17], v[0:1] op_sel_hi:[1,0,1]
	v_mov_b32_e32 v16, v31
	v_pk_fma_f32 v[0:1], v[40:41], v[28:29], v[0:1] op_sel_hi:[1,0,1]
	s_cmp_lt_i32 s5, s17
	v_pk_fma_f32 v[0:1], v[42:43], v[28:29], v[0:1] op_sel:[0,1,0]
	v_lshl_add_u64 v[6:7], v[6:7], 0, 32
	v_pk_fma_f32 v[0:1], v[44:45], v[30:31], v[0:1] op_sel_hi:[1,0,1]
	s_nop 0
	v_pk_fma_f32 v[0:1], v[46:47], v[16:17], v[0:1] op_sel_hi:[1,0,1]
	s_barrier
	s_cbranch_scc0 .LBB303_10
.LBB303_6:                              ; =>This Inner Loop Header: Depth=1
	v_add_u32_e32 v16, s5, v11
	v_cmp_gt_i32_e64 s[6:7], s17, v16
	s_and_b64 s[8:9], vcc, s[6:7]
	v_mov_b32_e32 v16, 0
	s_and_saveexec_b64 s[6:7], s[8:9]
	s_cbranch_execz .LBB303_8
; %bb.7:                                ;   in Loop: Header=BB303_6 Depth=1
	flat_load_dword v16, v[4:5]
.LBB303_8:                              ;   in Loop: Header=BB303_6 Depth=1
	s_or_b64 exec, exec, s[6:7]
	s_waitcnt vmcnt(0) lgkmcnt(0)
	ds_write_b32 v12, v16
	v_add_u32_e32 v16, s5, v10
	v_cmp_gt_i32_e64 s[6:7], s17, v16
	s_and_b64 s[8:9], s[6:7], s[2:3]
	v_mov_b32_e32 v16, 0
	s_and_saveexec_b64 s[6:7], s[8:9]
	s_cbranch_execz .LBB303_5
; %bb.9:                                ;   in Loop: Header=BB303_6 Depth=1
	flat_load_dword v16, v[6:7]
	s_branch .LBB303_5
.LBB303_10:
	s_load_dwordx2 s[2:3], s[0:1], 0x58
	s_load_dword s13, s[0:1], 0x50
	v_add_u32_e32 v10, s12, v9
	v_add_u32_e32 v4, s4, v8
	v_cmp_le_i32_e32 vcc, v10, v4
	s_waitcnt lgkmcnt(0)
	s_lshl_b64 s[0:1], s[2:3], 2
	s_add_u32 s6, s10, s0
	s_addc_u32 s7, s11, s1
	v_mad_i64_i32 v[6:7], s[0:1], v10, s13, 0
	v_cmp_neq_f32_e64 s[0:1], s18, 0
	v_lshl_add_u64 v[8:9], v[6:7], 2, s[6:7]
	v_cmp_gt_i32_e64 s[2:3], s16, v4
	v_cndmask_b32_e64 v6, 0, 1, s[0:1]
	s_and_b64 s[8:9], vcc, s[2:3]
	v_ashrrev_i32_e32 v5, 31, v4
	v_cmp_ne_u32_e64 s[0:1], 1, v6
	s_and_saveexec_b64 s[4:5], s[8:9]
	s_cbranch_execz .LBB303_14
; %bb.11:
	v_mul_f32_e32 v2, s19, v2
	s_and_b64 vcc, exec, s[0:1]
	v_lshl_add_u64 v[6:7], v[4:5], 2, v[8:9]
	s_cbranch_vccnz .LBB303_13
; %bb.12:
	flat_load_dword v11, v[6:7]
	s_waitcnt vmcnt(0) lgkmcnt(0)
	v_fmac_f32_e32 v2, s18, v11
.LBB303_13:
	flat_store_dword v[6:7], v2
.LBB303_14:
	s_or_b64 exec, exec, s[4:5]
	v_add_u32_e32 v6, 16, v4
	v_cmp_le_i32_e32 vcc, v10, v6
	v_cmp_gt_i32_e64 s[4:5], s16, v6
	s_and_b64 s[10:11], vcc, s[4:5]
	v_ashrrev_i32_e32 v7, 31, v6
	s_and_saveexec_b64 s[8:9], s[10:11]
	s_cbranch_execz .LBB303_18
; %bb.15:
	v_mul_f32_e32 v11, s19, v3
	s_and_b64 vcc, exec, s[0:1]
	v_lshl_add_u64 v[2:3], v[6:7], 2, v[8:9]
	s_cbranch_vccnz .LBB303_17
; %bb.16:
	flat_load_dword v8, v[2:3]
	s_waitcnt vmcnt(0) lgkmcnt(0)
	v_fmac_f32_e32 v11, s18, v8
.LBB303_17:
	flat_store_dword v[2:3], v11
.LBB303_18:
	s_or_b64 exec, exec, s[8:9]
	v_add_u32_e32 v8, 16, v10
	v_mad_i64_i32 v[2:3], s[8:9], v8, s13, 0
	v_cmp_le_i32_e32 vcc, v8, v4
	v_lshl_add_u64 v[2:3], v[2:3], 2, s[6:7]
	s_and_b64 s[6:7], vcc, s[2:3]
	s_and_saveexec_b64 s[2:3], s[6:7]
	s_cbranch_execz .LBB303_22
; %bb.19:
	v_mul_f32_e32 v0, s19, v0
	s_and_b64 vcc, exec, s[0:1]
	v_lshl_add_u64 v[4:5], v[4:5], 2, v[2:3]
	s_cbranch_vccnz .LBB303_21
; %bb.20:
	flat_load_dword v9, v[4:5]
	s_waitcnt vmcnt(0) lgkmcnt(0)
	v_fmac_f32_e32 v0, s18, v9
.LBB303_21:
	flat_store_dword v[4:5], v0
.LBB303_22:
	s_or_b64 exec, exec, s[2:3]
	v_cmp_le_i32_e32 vcc, v8, v6
	s_and_b64 s[2:3], vcc, s[4:5]
	s_and_saveexec_b64 s[4:5], s[2:3]
	s_cbranch_execz .LBB303_26
; %bb.23:
	v_mul_f32_e32 v4, s19, v1
	s_and_b64 vcc, exec, s[0:1]
	v_lshl_add_u64 v[0:1], v[6:7], 2, v[2:3]
	s_cbranch_vccnz .LBB303_25
; %bb.24:
	flat_load_dword v2, v[0:1]
	s_waitcnt vmcnt(0) lgkmcnt(0)
	v_fmac_f32_e32 v4, s18, v2
.LBB303_25:
	flat_store_dword v[0:1], v4
.LBB303_26:
	s_endpgm
	.section	.rodata,"a",@progbits
	.p2align	6, 0x0
	.amdhsa_kernel _ZL29rocblas_internal_gemmt_kernelIiLi16ELi32ELi8ELc67ELc78ELc76ELb0ELb0EfPKfPKS1_PKPfEviT_T9_T10_S7_lS9_S7_lS8_T11_S7_li
		.amdhsa_group_segment_fixed_size 2048
		.amdhsa_private_segment_fixed_size 0
		.amdhsa_kernarg_size 100
		.amdhsa_user_sgpr_count 2
		.amdhsa_user_sgpr_dispatch_ptr 0
		.amdhsa_user_sgpr_queue_ptr 0
		.amdhsa_user_sgpr_kernarg_segment_ptr 1
		.amdhsa_user_sgpr_dispatch_id 0
		.amdhsa_user_sgpr_kernarg_preload_length 0
		.amdhsa_user_sgpr_kernarg_preload_offset 0
		.amdhsa_user_sgpr_private_segment_size 0
		.amdhsa_uses_dynamic_stack 0
		.amdhsa_enable_private_segment 0
		.amdhsa_system_sgpr_workgroup_id_x 1
		.amdhsa_system_sgpr_workgroup_id_y 1
		.amdhsa_system_sgpr_workgroup_id_z 1
		.amdhsa_system_sgpr_workgroup_info 0
		.amdhsa_system_vgpr_workitem_id 1
		.amdhsa_next_free_vgpr 48
		.amdhsa_next_free_sgpr 25
		.amdhsa_accum_offset 48
		.amdhsa_reserve_vcc 1
		.amdhsa_float_round_mode_32 0
		.amdhsa_float_round_mode_16_64 0
		.amdhsa_float_denorm_mode_32 3
		.amdhsa_float_denorm_mode_16_64 3
		.amdhsa_dx10_clamp 1
		.amdhsa_ieee_mode 1
		.amdhsa_fp16_overflow 0
		.amdhsa_tg_split 0
		.amdhsa_exception_fp_ieee_invalid_op 0
		.amdhsa_exception_fp_denorm_src 0
		.amdhsa_exception_fp_ieee_div_zero 0
		.amdhsa_exception_fp_ieee_overflow 0
		.amdhsa_exception_fp_ieee_underflow 0
		.amdhsa_exception_fp_ieee_inexact 0
		.amdhsa_exception_int_div_zero 0
	.end_amdhsa_kernel
	.section	.text._ZL29rocblas_internal_gemmt_kernelIiLi16ELi32ELi8ELc67ELc78ELc76ELb0ELb0EfPKfPKS1_PKPfEviT_T9_T10_S7_lS9_S7_lS8_T11_S7_li,"axG",@progbits,_ZL29rocblas_internal_gemmt_kernelIiLi16ELi32ELi8ELc67ELc78ELc76ELb0ELb0EfPKfPKS1_PKPfEviT_T9_T10_S7_lS9_S7_lS8_T11_S7_li,comdat
.Lfunc_end303:
	.size	_ZL29rocblas_internal_gemmt_kernelIiLi16ELi32ELi8ELc67ELc78ELc76ELb0ELb0EfPKfPKS1_PKPfEviT_T9_T10_S7_lS9_S7_lS8_T11_S7_li, .Lfunc_end303-_ZL29rocblas_internal_gemmt_kernelIiLi16ELi32ELi8ELc67ELc78ELc76ELb0ELb0EfPKfPKS1_PKPfEviT_T9_T10_S7_lS9_S7_lS8_T11_S7_li
                                        ; -- End function
	.set _ZL29rocblas_internal_gemmt_kernelIiLi16ELi32ELi8ELc67ELc78ELc76ELb0ELb0EfPKfPKS1_PKPfEviT_T9_T10_S7_lS9_S7_lS8_T11_S7_li.num_vgpr, 48
	.set _ZL29rocblas_internal_gemmt_kernelIiLi16ELi32ELi8ELc67ELc78ELc76ELb0ELb0EfPKfPKS1_PKPfEviT_T9_T10_S7_lS9_S7_lS8_T11_S7_li.num_agpr, 0
	.set _ZL29rocblas_internal_gemmt_kernelIiLi16ELi32ELi8ELc67ELc78ELc76ELb0ELb0EfPKfPKS1_PKPfEviT_T9_T10_S7_lS9_S7_lS8_T11_S7_li.numbered_sgpr, 25
	.set _ZL29rocblas_internal_gemmt_kernelIiLi16ELi32ELi8ELc67ELc78ELc76ELb0ELb0EfPKfPKS1_PKPfEviT_T9_T10_S7_lS9_S7_lS8_T11_S7_li.num_named_barrier, 0
	.set _ZL29rocblas_internal_gemmt_kernelIiLi16ELi32ELi8ELc67ELc78ELc76ELb0ELb0EfPKfPKS1_PKPfEviT_T9_T10_S7_lS9_S7_lS8_T11_S7_li.private_seg_size, 0
	.set _ZL29rocblas_internal_gemmt_kernelIiLi16ELi32ELi8ELc67ELc78ELc76ELb0ELb0EfPKfPKS1_PKPfEviT_T9_T10_S7_lS9_S7_lS8_T11_S7_li.uses_vcc, 1
	.set _ZL29rocblas_internal_gemmt_kernelIiLi16ELi32ELi8ELc67ELc78ELc76ELb0ELb0EfPKfPKS1_PKPfEviT_T9_T10_S7_lS9_S7_lS8_T11_S7_li.uses_flat_scratch, 0
	.set _ZL29rocblas_internal_gemmt_kernelIiLi16ELi32ELi8ELc67ELc78ELc76ELb0ELb0EfPKfPKS1_PKPfEviT_T9_T10_S7_lS9_S7_lS8_T11_S7_li.has_dyn_sized_stack, 0
	.set _ZL29rocblas_internal_gemmt_kernelIiLi16ELi32ELi8ELc67ELc78ELc76ELb0ELb0EfPKfPKS1_PKPfEviT_T9_T10_S7_lS9_S7_lS8_T11_S7_li.has_recursion, 0
	.set _ZL29rocblas_internal_gemmt_kernelIiLi16ELi32ELi8ELc67ELc78ELc76ELb0ELb0EfPKfPKS1_PKPfEviT_T9_T10_S7_lS9_S7_lS8_T11_S7_li.has_indirect_call, 0
	.section	.AMDGPU.csdata,"",@progbits
; Kernel info:
; codeLenInByte = 1260
; TotalNumSgprs: 31
; NumVgprs: 48
; NumAgprs: 0
; TotalNumVgprs: 48
; ScratchSize: 0
; MemoryBound: 0
; FloatMode: 240
; IeeeMode: 1
; LDSByteSize: 2048 bytes/workgroup (compile time only)
; SGPRBlocks: 3
; VGPRBlocks: 5
; NumSGPRsForWavesPerEU: 31
; NumVGPRsForWavesPerEU: 48
; AccumOffset: 48
; Occupancy: 8
; WaveLimiterHint : 1
; COMPUTE_PGM_RSRC2:SCRATCH_EN: 0
; COMPUTE_PGM_RSRC2:USER_SGPR: 2
; COMPUTE_PGM_RSRC2:TRAP_HANDLER: 0
; COMPUTE_PGM_RSRC2:TGID_X_EN: 1
; COMPUTE_PGM_RSRC2:TGID_Y_EN: 1
; COMPUTE_PGM_RSRC2:TGID_Z_EN: 1
; COMPUTE_PGM_RSRC2:TIDIG_COMP_CNT: 1
; COMPUTE_PGM_RSRC3_GFX90A:ACCUM_OFFSET: 11
; COMPUTE_PGM_RSRC3_GFX90A:TG_SPLIT: 0
	.section	.text._ZL29rocblas_internal_gemmt_kernelIiLi16ELi32ELi8ELc67ELc84ELc76ELb0ELb0EfPKfPKS1_PKPfEviT_T9_T10_S7_lS9_S7_lS8_T11_S7_li,"axG",@progbits,_ZL29rocblas_internal_gemmt_kernelIiLi16ELi32ELi8ELc67ELc84ELc76ELb0ELb0EfPKfPKS1_PKPfEviT_T9_T10_S7_lS9_S7_lS8_T11_S7_li,comdat
	.globl	_ZL29rocblas_internal_gemmt_kernelIiLi16ELi32ELi8ELc67ELc84ELc76ELb0ELb0EfPKfPKS1_PKPfEviT_T9_T10_S7_lS9_S7_lS8_T11_S7_li ; -- Begin function _ZL29rocblas_internal_gemmt_kernelIiLi16ELi32ELi8ELc67ELc84ELc76ELb0ELb0EfPKfPKS1_PKPfEviT_T9_T10_S7_lS9_S7_lS8_T11_S7_li
	.p2align	8
	.type	_ZL29rocblas_internal_gemmt_kernelIiLi16ELi32ELi8ELc67ELc84ELc76ELb0ELb0EfPKfPKS1_PKPfEviT_T9_T10_S7_lS9_S7_lS8_T11_S7_li,@function
_ZL29rocblas_internal_gemmt_kernelIiLi16ELi32ELi8ELc67ELc84ELc76ELb0ELb0EfPKfPKS1_PKPfEviT_T9_T10_S7_lS9_S7_lS8_T11_S7_li: ; @_ZL29rocblas_internal_gemmt_kernelIiLi16ELi32ELi8ELc67ELc84ELc76ELb0ELb0EfPKfPKS1_PKPfEviT_T9_T10_S7_lS9_S7_lS8_T11_S7_li
; %bb.0:
	s_load_dwordx4 s[8:11], s[0:1], 0x38
	s_load_dwordx4 s[12:15], s[0:1], 0x8
	s_waitcnt lgkmcnt(0)
	s_load_dword s18, s[10:11], 0x0
	s_load_dwordx2 s[16:17], s[0:1], 0x0
	s_load_dword s19, s[12:13], 0x0
	s_waitcnt lgkmcnt(0)
	v_cmp_neq_f32_e64 s[6:7], s18, 1.0
	s_and_b64 vcc, exec, s[6:7]
	s_cbranch_vccnz .LBB304_2
; %bb.1:
	s_cmp_lg_u32 s17, 0
	s_cselect_b64 s[6:7], -1, 0
	v_cmp_neq_f32_e64 s[10:11], s19, 0
	s_and_b64 s[6:7], s[6:7], s[10:11]
.LBB304_2:
	s_andn2_b64 vcc, exec, s[6:7]
	s_cbranch_vccnz .LBB304_26
; %bb.3:
	s_load_dwordx2 s[10:11], s[0:1], 0x48
	s_mov_b32 s5, 0
	s_lshl_b64 s[6:7], s[4:5], 3
	v_mov_b32_e32 v3, 0
	v_and_b32_e32 v8, 0x3ff, v0
	s_waitcnt lgkmcnt(0)
	s_add_u32 s10, s10, s6
	s_addc_u32 s11, s11, s7
	s_load_dwordx2 s[10:11], s[10:11], 0x0
	s_lshl_b32 s4, s2, 5
	s_lshl_b32 s12, s3, 5
	s_cmp_lt_i32 s17, 1
	v_cmp_eq_f32_e64 s[2:3], s19, 0
	s_cselect_b64 s[20:21], -1, 0
	s_or_b64 s[2:3], s[2:3], s[20:21]
	v_bfe_u32 v9, v0, 10, 10
	s_and_b64 vcc, exec, s[2:3]
	v_mov_b32_e32 v2, v3
	v_mov_b32_e32 v1, v3
	;; [unrolled: 1-line block ×3, first 2 shown]
	s_cbranch_vccnz .LBB304_10
; %bb.4:
	s_load_dword s13, s[0:1], 0x18
	s_load_dword s24, s[0:1], 0x30
	s_load_dwordx4 s[20:23], s[0:1], 0x20
	v_lshl_add_u32 v0, v9, 4, v8
	v_lshrrev_b32_e32 v11, 5, v0
	v_lshrrev_b32_e32 v1, 3, v0
	s_waitcnt lgkmcnt(0)
	s_ashr_i32 s25, s24, 31
	v_and_b32_e32 v0, 31, v0
	v_or_b32_e32 v3, s4, v0
	s_add_u32 s2, s22, s6
	v_and_b32_e32 v10, 7, v8
	s_addc_u32 s3, s23, s7
	v_cmp_gt_i32_e32 vcc, s16, v3
	v_lshlrev_b32_e32 v3, 2, v0
	s_load_dwordx2 s[22:23], s[2:3], 0x0
	s_add_u32 s2, s14, s6
	v_lshl_or_b32 v12, v11, 7, v3
	v_lshlrev_b32_e32 v3, 2, v10
	v_add_u32_e32 v2, s12, v1
	s_addc_u32 s3, s15, s7
	v_lshl_or_b32 v1, v1, 5, v3
	s_load_dwordx2 s[6:7], s[2:3], 0x0
	v_add_u32_e32 v13, 0x400, v1
	v_mov_b32_e32 v1, 0x400
	v_add_u32_e32 v0, s4, v0
	v_lshl_add_u32 v15, v9, 5, v1
	v_mad_i64_i32 v[0:1], s[14:15], s13, v0, 0
	s_lshl_b64 s[14:15], s[20:21], 2
	s_nop 0
	v_lshl_add_u64 v[4:5], v[0:1], 2, s[14:15]
	v_lshlrev_b32_e32 v0, 2, v11
	v_mov_b32_e32 v1, 0
	v_lshl_add_u64 v[4:5], v[4:5], 0, v[0:1]
	s_waitcnt lgkmcnt(0)
	v_lshl_add_u64 v[4:5], s[6:7], 0, v[4:5]
	v_mad_i64_i32 v[6:7], s[6:7], s24, v10, 0
	s_lshl_b64 s[6:7], s[8:9], 2
	v_ashrrev_i32_e32 v3, 31, v2
	v_lshl_add_u64 v[6:7], v[6:7], 2, s[6:7]
	v_cmp_gt_i32_e64 s[2:3], s16, v2
	v_lshl_add_u64 v[2:3], v[2:3], 2, v[6:7]
	v_lshlrev_b32_e32 v14, 2, v8
	v_lshl_add_u64 v[6:7], s[22:23], 0, v[2:3]
	s_lshl_b64 s[8:9], s[24:25], 5
	v_mov_b32_e32 v0, v1
	v_mov_b32_e32 v2, v1
	;; [unrolled: 1-line block ×3, first 2 shown]
	s_branch .LBB304_6
.LBB304_5:                              ;   in Loop: Header=BB304_6 Depth=1
	s_or_b64 exec, exec, s[6:7]
	s_waitcnt vmcnt(0) lgkmcnt(0)
	ds_write_b32 v13, v16
	s_waitcnt lgkmcnt(0)
	s_barrier
	ds_read_b128 v[16:19], v15
	ds_read_b128 v[20:23], v15 offset:16
	ds_read2_b32 v[32:33], v14 offset1:16
	ds_read2_b32 v[34:35], v14 offset0:32 offset1:48
	ds_read2_b32 v[36:37], v14 offset0:64 offset1:80
	;; [unrolled: 1-line block ×4, first 2 shown]
	ds_read_b128 v[24:27], v15 offset:512
	ds_read_b128 v[28:31], v15 offset:528
	ds_read2_b32 v[42:43], v14 offset0:160 offset1:176
	ds_read2_b32 v[44:45], v14 offset0:192 offset1:208
	;; [unrolled: 1-line block ×3, first 2 shown]
	s_waitcnt lgkmcnt(9)
	v_pk_fma_f32 v[2:3], v[32:33], v[16:17], v[2:3] op_sel_hi:[1,0,1]
	s_waitcnt lgkmcnt(4)
	v_pk_fma_f32 v[0:1], v[32:33], v[24:25], v[0:1] op_sel_hi:[1,0,1]
	v_pk_fma_f32 v[2:3], v[34:35], v[16:17], v[2:3] op_sel:[0,1,0]
	v_mov_b32_e32 v16, v19
	v_pk_fma_f32 v[2:3], v[36:37], v[18:19], v[2:3] op_sel_hi:[1,0,1]
	v_pk_fma_f32 v[0:1], v[34:35], v[24:25], v[0:1] op_sel:[0,1,0]
	v_pk_fma_f32 v[2:3], v[38:39], v[16:17], v[2:3] op_sel_hi:[1,0,1]
	v_mov_b32_e32 v16, v23
	v_pk_fma_f32 v[2:3], v[40:41], v[20:21], v[2:3] op_sel_hi:[1,0,1]
	v_pk_fma_f32 v[0:1], v[36:37], v[26:27], v[0:1] op_sel_hi:[1,0,1]
	s_waitcnt lgkmcnt(2)
	v_pk_fma_f32 v[2:3], v[42:43], v[20:21], v[2:3] op_sel:[0,1,0]
	s_add_i32 s5, s5, 8
	s_waitcnt lgkmcnt(1)
	v_pk_fma_f32 v[2:3], v[44:45], v[22:23], v[2:3] op_sel_hi:[1,0,1]
	v_lshl_add_u64 v[4:5], v[4:5], 0, 32
	s_waitcnt lgkmcnt(0)
	v_pk_fma_f32 v[2:3], v[46:47], v[16:17], v[2:3] op_sel_hi:[1,0,1]
	v_mov_b32_e32 v16, v27
	v_pk_fma_f32 v[0:1], v[38:39], v[16:17], v[0:1] op_sel_hi:[1,0,1]
	v_mov_b32_e32 v16, v31
	v_pk_fma_f32 v[0:1], v[40:41], v[28:29], v[0:1] op_sel_hi:[1,0,1]
	s_cmp_lt_i32 s5, s17
	v_pk_fma_f32 v[0:1], v[42:43], v[28:29], v[0:1] op_sel:[0,1,0]
	v_lshl_add_u64 v[6:7], v[6:7], 0, s[8:9]
	v_pk_fma_f32 v[0:1], v[44:45], v[30:31], v[0:1] op_sel_hi:[1,0,1]
	s_nop 0
	v_pk_fma_f32 v[0:1], v[46:47], v[16:17], v[0:1] op_sel_hi:[1,0,1]
	s_barrier
	s_cbranch_scc0 .LBB304_10
.LBB304_6:                              ; =>This Inner Loop Header: Depth=1
	v_add_u32_e32 v16, s5, v11
	v_cmp_gt_i32_e64 s[6:7], s17, v16
	s_and_b64 s[14:15], vcc, s[6:7]
	v_mov_b32_e32 v16, 0
	s_and_saveexec_b64 s[6:7], s[14:15]
	s_cbranch_execz .LBB304_8
; %bb.7:                                ;   in Loop: Header=BB304_6 Depth=1
	flat_load_dword v16, v[4:5]
.LBB304_8:                              ;   in Loop: Header=BB304_6 Depth=1
	s_or_b64 exec, exec, s[6:7]
	s_waitcnt vmcnt(0) lgkmcnt(0)
	ds_write_b32 v12, v16
	v_add_u32_e32 v16, s5, v10
	v_cmp_gt_i32_e64 s[6:7], s17, v16
	s_and_b64 s[14:15], s[6:7], s[2:3]
	v_mov_b32_e32 v16, 0
	s_and_saveexec_b64 s[6:7], s[14:15]
	s_cbranch_execz .LBB304_5
; %bb.9:                                ;   in Loop: Header=BB304_6 Depth=1
	flat_load_dword v16, v[6:7]
	s_branch .LBB304_5
.LBB304_10:
	s_load_dwordx2 s[2:3], s[0:1], 0x58
	s_load_dword s13, s[0:1], 0x50
	v_add_u32_e32 v10, s12, v9
	v_add_u32_e32 v4, s4, v8
	v_cmp_le_i32_e32 vcc, v10, v4
	s_waitcnt lgkmcnt(0)
	s_lshl_b64 s[0:1], s[2:3], 2
	s_add_u32 s6, s10, s0
	s_addc_u32 s7, s11, s1
	v_mad_i64_i32 v[6:7], s[0:1], v10, s13, 0
	v_cmp_neq_f32_e64 s[0:1], s18, 0
	v_lshl_add_u64 v[8:9], v[6:7], 2, s[6:7]
	v_cmp_gt_i32_e64 s[2:3], s16, v4
	v_cndmask_b32_e64 v6, 0, 1, s[0:1]
	s_and_b64 s[8:9], vcc, s[2:3]
	v_ashrrev_i32_e32 v5, 31, v4
	v_cmp_ne_u32_e64 s[0:1], 1, v6
	s_and_saveexec_b64 s[4:5], s[8:9]
	s_cbranch_execz .LBB304_14
; %bb.11:
	v_mul_f32_e32 v2, s19, v2
	s_and_b64 vcc, exec, s[0:1]
	v_lshl_add_u64 v[6:7], v[4:5], 2, v[8:9]
	s_cbranch_vccnz .LBB304_13
; %bb.12:
	flat_load_dword v11, v[6:7]
	s_waitcnt vmcnt(0) lgkmcnt(0)
	v_fmac_f32_e32 v2, s18, v11
.LBB304_13:
	flat_store_dword v[6:7], v2
.LBB304_14:
	s_or_b64 exec, exec, s[4:5]
	v_add_u32_e32 v6, 16, v4
	v_cmp_le_i32_e32 vcc, v10, v6
	v_cmp_gt_i32_e64 s[4:5], s16, v6
	s_and_b64 s[10:11], vcc, s[4:5]
	v_ashrrev_i32_e32 v7, 31, v6
	s_and_saveexec_b64 s[8:9], s[10:11]
	s_cbranch_execz .LBB304_18
; %bb.15:
	v_mul_f32_e32 v11, s19, v3
	s_and_b64 vcc, exec, s[0:1]
	v_lshl_add_u64 v[2:3], v[6:7], 2, v[8:9]
	s_cbranch_vccnz .LBB304_17
; %bb.16:
	flat_load_dword v8, v[2:3]
	s_waitcnt vmcnt(0) lgkmcnt(0)
	v_fmac_f32_e32 v11, s18, v8
.LBB304_17:
	flat_store_dword v[2:3], v11
.LBB304_18:
	s_or_b64 exec, exec, s[8:9]
	v_add_u32_e32 v8, 16, v10
	v_mad_i64_i32 v[2:3], s[8:9], v8, s13, 0
	v_cmp_le_i32_e32 vcc, v8, v4
	v_lshl_add_u64 v[2:3], v[2:3], 2, s[6:7]
	s_and_b64 s[6:7], vcc, s[2:3]
	s_and_saveexec_b64 s[2:3], s[6:7]
	s_cbranch_execz .LBB304_22
; %bb.19:
	v_mul_f32_e32 v0, s19, v0
	s_and_b64 vcc, exec, s[0:1]
	v_lshl_add_u64 v[4:5], v[4:5], 2, v[2:3]
	s_cbranch_vccnz .LBB304_21
; %bb.20:
	flat_load_dword v9, v[4:5]
	s_waitcnt vmcnt(0) lgkmcnt(0)
	v_fmac_f32_e32 v0, s18, v9
.LBB304_21:
	flat_store_dword v[4:5], v0
.LBB304_22:
	s_or_b64 exec, exec, s[2:3]
	v_cmp_le_i32_e32 vcc, v8, v6
	s_and_b64 s[2:3], vcc, s[4:5]
	s_and_saveexec_b64 s[4:5], s[2:3]
	s_cbranch_execz .LBB304_26
; %bb.23:
	v_mul_f32_e32 v4, s19, v1
	s_and_b64 vcc, exec, s[0:1]
	v_lshl_add_u64 v[0:1], v[6:7], 2, v[2:3]
	s_cbranch_vccnz .LBB304_25
; %bb.24:
	flat_load_dword v2, v[0:1]
	s_waitcnt vmcnt(0) lgkmcnt(0)
	v_fmac_f32_e32 v4, s18, v2
.LBB304_25:
	flat_store_dword v[0:1], v4
.LBB304_26:
	s_endpgm
	.section	.rodata,"a",@progbits
	.p2align	6, 0x0
	.amdhsa_kernel _ZL29rocblas_internal_gemmt_kernelIiLi16ELi32ELi8ELc67ELc84ELc76ELb0ELb0EfPKfPKS1_PKPfEviT_T9_T10_S7_lS9_S7_lS8_T11_S7_li
		.amdhsa_group_segment_fixed_size 2048
		.amdhsa_private_segment_fixed_size 0
		.amdhsa_kernarg_size 100
		.amdhsa_user_sgpr_count 2
		.amdhsa_user_sgpr_dispatch_ptr 0
		.amdhsa_user_sgpr_queue_ptr 0
		.amdhsa_user_sgpr_kernarg_segment_ptr 1
		.amdhsa_user_sgpr_dispatch_id 0
		.amdhsa_user_sgpr_kernarg_preload_length 0
		.amdhsa_user_sgpr_kernarg_preload_offset 0
		.amdhsa_user_sgpr_private_segment_size 0
		.amdhsa_uses_dynamic_stack 0
		.amdhsa_enable_private_segment 0
		.amdhsa_system_sgpr_workgroup_id_x 1
		.amdhsa_system_sgpr_workgroup_id_y 1
		.amdhsa_system_sgpr_workgroup_id_z 1
		.amdhsa_system_sgpr_workgroup_info 0
		.amdhsa_system_vgpr_workitem_id 1
		.amdhsa_next_free_vgpr 48
		.amdhsa_next_free_sgpr 26
		.amdhsa_accum_offset 48
		.amdhsa_reserve_vcc 1
		.amdhsa_float_round_mode_32 0
		.amdhsa_float_round_mode_16_64 0
		.amdhsa_float_denorm_mode_32 3
		.amdhsa_float_denorm_mode_16_64 3
		.amdhsa_dx10_clamp 1
		.amdhsa_ieee_mode 1
		.amdhsa_fp16_overflow 0
		.amdhsa_tg_split 0
		.amdhsa_exception_fp_ieee_invalid_op 0
		.amdhsa_exception_fp_denorm_src 0
		.amdhsa_exception_fp_ieee_div_zero 0
		.amdhsa_exception_fp_ieee_overflow 0
		.amdhsa_exception_fp_ieee_underflow 0
		.amdhsa_exception_fp_ieee_inexact 0
		.amdhsa_exception_int_div_zero 0
	.end_amdhsa_kernel
	.section	.text._ZL29rocblas_internal_gemmt_kernelIiLi16ELi32ELi8ELc67ELc84ELc76ELb0ELb0EfPKfPKS1_PKPfEviT_T9_T10_S7_lS9_S7_lS8_T11_S7_li,"axG",@progbits,_ZL29rocblas_internal_gemmt_kernelIiLi16ELi32ELi8ELc67ELc84ELc76ELb0ELb0EfPKfPKS1_PKPfEviT_T9_T10_S7_lS9_S7_lS8_T11_S7_li,comdat
.Lfunc_end304:
	.size	_ZL29rocblas_internal_gemmt_kernelIiLi16ELi32ELi8ELc67ELc84ELc76ELb0ELb0EfPKfPKS1_PKPfEviT_T9_T10_S7_lS9_S7_lS8_T11_S7_li, .Lfunc_end304-_ZL29rocblas_internal_gemmt_kernelIiLi16ELi32ELi8ELc67ELc84ELc76ELb0ELb0EfPKfPKS1_PKPfEviT_T9_T10_S7_lS9_S7_lS8_T11_S7_li
                                        ; -- End function
	.set _ZL29rocblas_internal_gemmt_kernelIiLi16ELi32ELi8ELc67ELc84ELc76ELb0ELb0EfPKfPKS1_PKPfEviT_T9_T10_S7_lS9_S7_lS8_T11_S7_li.num_vgpr, 48
	.set _ZL29rocblas_internal_gemmt_kernelIiLi16ELi32ELi8ELc67ELc84ELc76ELb0ELb0EfPKfPKS1_PKPfEviT_T9_T10_S7_lS9_S7_lS8_T11_S7_li.num_agpr, 0
	.set _ZL29rocblas_internal_gemmt_kernelIiLi16ELi32ELi8ELc67ELc84ELc76ELb0ELb0EfPKfPKS1_PKPfEviT_T9_T10_S7_lS9_S7_lS8_T11_S7_li.numbered_sgpr, 26
	.set _ZL29rocblas_internal_gemmt_kernelIiLi16ELi32ELi8ELc67ELc84ELc76ELb0ELb0EfPKfPKS1_PKPfEviT_T9_T10_S7_lS9_S7_lS8_T11_S7_li.num_named_barrier, 0
	.set _ZL29rocblas_internal_gemmt_kernelIiLi16ELi32ELi8ELc67ELc84ELc76ELb0ELb0EfPKfPKS1_PKPfEviT_T9_T10_S7_lS9_S7_lS8_T11_S7_li.private_seg_size, 0
	.set _ZL29rocblas_internal_gemmt_kernelIiLi16ELi32ELi8ELc67ELc84ELc76ELb0ELb0EfPKfPKS1_PKPfEviT_T9_T10_S7_lS9_S7_lS8_T11_S7_li.uses_vcc, 1
	.set _ZL29rocblas_internal_gemmt_kernelIiLi16ELi32ELi8ELc67ELc84ELc76ELb0ELb0EfPKfPKS1_PKPfEviT_T9_T10_S7_lS9_S7_lS8_T11_S7_li.uses_flat_scratch, 0
	.set _ZL29rocblas_internal_gemmt_kernelIiLi16ELi32ELi8ELc67ELc84ELc76ELb0ELb0EfPKfPKS1_PKPfEviT_T9_T10_S7_lS9_S7_lS8_T11_S7_li.has_dyn_sized_stack, 0
	.set _ZL29rocblas_internal_gemmt_kernelIiLi16ELi32ELi8ELc67ELc84ELc76ELb0ELb0EfPKfPKS1_PKPfEviT_T9_T10_S7_lS9_S7_lS8_T11_S7_li.has_recursion, 0
	.set _ZL29rocblas_internal_gemmt_kernelIiLi16ELi32ELi8ELc67ELc84ELc76ELb0ELb0EfPKfPKS1_PKPfEviT_T9_T10_S7_lS9_S7_lS8_T11_S7_li.has_indirect_call, 0
	.section	.AMDGPU.csdata,"",@progbits
; Kernel info:
; codeLenInByte = 1268
; TotalNumSgprs: 32
; NumVgprs: 48
; NumAgprs: 0
; TotalNumVgprs: 48
; ScratchSize: 0
; MemoryBound: 0
; FloatMode: 240
; IeeeMode: 1
; LDSByteSize: 2048 bytes/workgroup (compile time only)
; SGPRBlocks: 3
; VGPRBlocks: 5
; NumSGPRsForWavesPerEU: 32
; NumVGPRsForWavesPerEU: 48
; AccumOffset: 48
; Occupancy: 8
; WaveLimiterHint : 1
; COMPUTE_PGM_RSRC2:SCRATCH_EN: 0
; COMPUTE_PGM_RSRC2:USER_SGPR: 2
; COMPUTE_PGM_RSRC2:TRAP_HANDLER: 0
; COMPUTE_PGM_RSRC2:TGID_X_EN: 1
; COMPUTE_PGM_RSRC2:TGID_Y_EN: 1
; COMPUTE_PGM_RSRC2:TGID_Z_EN: 1
; COMPUTE_PGM_RSRC2:TIDIG_COMP_CNT: 1
; COMPUTE_PGM_RSRC3_GFX90A:ACCUM_OFFSET: 11
; COMPUTE_PGM_RSRC3_GFX90A:TG_SPLIT: 0
	.section	.text._ZL29rocblas_internal_gemmt_kernelIiLi16ELi32ELi8ELc67ELc67ELc76ELb0ELb0EfPKfPKS1_PKPfEviT_T9_T10_S7_lS9_S7_lS8_T11_S7_li,"axG",@progbits,_ZL29rocblas_internal_gemmt_kernelIiLi16ELi32ELi8ELc67ELc67ELc76ELb0ELb0EfPKfPKS1_PKPfEviT_T9_T10_S7_lS9_S7_lS8_T11_S7_li,comdat
	.globl	_ZL29rocblas_internal_gemmt_kernelIiLi16ELi32ELi8ELc67ELc67ELc76ELb0ELb0EfPKfPKS1_PKPfEviT_T9_T10_S7_lS9_S7_lS8_T11_S7_li ; -- Begin function _ZL29rocblas_internal_gemmt_kernelIiLi16ELi32ELi8ELc67ELc67ELc76ELb0ELb0EfPKfPKS1_PKPfEviT_T9_T10_S7_lS9_S7_lS8_T11_S7_li
	.p2align	8
	.type	_ZL29rocblas_internal_gemmt_kernelIiLi16ELi32ELi8ELc67ELc67ELc76ELb0ELb0EfPKfPKS1_PKPfEviT_T9_T10_S7_lS9_S7_lS8_T11_S7_li,@function
_ZL29rocblas_internal_gemmt_kernelIiLi16ELi32ELi8ELc67ELc67ELc76ELb0ELb0EfPKfPKS1_PKPfEviT_T9_T10_S7_lS9_S7_lS8_T11_S7_li: ; @_ZL29rocblas_internal_gemmt_kernelIiLi16ELi32ELi8ELc67ELc67ELc76ELb0ELb0EfPKfPKS1_PKPfEviT_T9_T10_S7_lS9_S7_lS8_T11_S7_li
; %bb.0:
	s_load_dwordx4 s[8:11], s[0:1], 0x38
	s_load_dwordx4 s[12:15], s[0:1], 0x8
	s_waitcnt lgkmcnt(0)
	s_load_dword s18, s[10:11], 0x0
	s_load_dwordx2 s[16:17], s[0:1], 0x0
	s_load_dword s19, s[12:13], 0x0
	s_waitcnt lgkmcnt(0)
	v_cmp_neq_f32_e64 s[6:7], s18, 1.0
	s_and_b64 vcc, exec, s[6:7]
	s_cbranch_vccnz .LBB305_2
; %bb.1:
	s_cmp_lg_u32 s17, 0
	s_cselect_b64 s[6:7], -1, 0
	v_cmp_neq_f32_e64 s[10:11], s19, 0
	s_and_b64 s[6:7], s[6:7], s[10:11]
.LBB305_2:
	s_andn2_b64 vcc, exec, s[6:7]
	s_cbranch_vccnz .LBB305_26
; %bb.3:
	s_load_dwordx2 s[10:11], s[0:1], 0x48
	s_mov_b32 s5, 0
	s_lshl_b64 s[6:7], s[4:5], 3
	v_mov_b32_e32 v3, 0
	v_and_b32_e32 v8, 0x3ff, v0
	s_waitcnt lgkmcnt(0)
	s_add_u32 s10, s10, s6
	s_addc_u32 s11, s11, s7
	s_load_dwordx2 s[10:11], s[10:11], 0x0
	s_lshl_b32 s4, s2, 5
	s_lshl_b32 s12, s3, 5
	s_cmp_lt_i32 s17, 1
	v_cmp_eq_f32_e64 s[2:3], s19, 0
	s_cselect_b64 s[20:21], -1, 0
	s_or_b64 s[2:3], s[2:3], s[20:21]
	v_bfe_u32 v9, v0, 10, 10
	s_and_b64 vcc, exec, s[2:3]
	v_mov_b32_e32 v2, v3
	v_mov_b32_e32 v1, v3
	;; [unrolled: 1-line block ×3, first 2 shown]
	s_cbranch_vccnz .LBB305_10
; %bb.4:
	s_load_dword s13, s[0:1], 0x18
	s_load_dword s24, s[0:1], 0x30
	s_load_dwordx4 s[20:23], s[0:1], 0x20
	v_lshl_add_u32 v0, v9, 4, v8
	v_lshrrev_b32_e32 v11, 5, v0
	v_lshrrev_b32_e32 v1, 3, v0
	s_waitcnt lgkmcnt(0)
	s_ashr_i32 s25, s24, 31
	v_and_b32_e32 v0, 31, v0
	v_or_b32_e32 v3, s4, v0
	s_add_u32 s2, s22, s6
	v_and_b32_e32 v10, 7, v8
	s_addc_u32 s3, s23, s7
	v_cmp_gt_i32_e32 vcc, s16, v3
	v_lshlrev_b32_e32 v3, 2, v0
	s_load_dwordx2 s[22:23], s[2:3], 0x0
	s_add_u32 s2, s14, s6
	v_lshl_or_b32 v12, v11, 7, v3
	v_lshlrev_b32_e32 v3, 2, v10
	v_add_u32_e32 v2, s12, v1
	s_addc_u32 s3, s15, s7
	v_lshl_or_b32 v1, v1, 5, v3
	s_load_dwordx2 s[6:7], s[2:3], 0x0
	v_add_u32_e32 v13, 0x400, v1
	v_mov_b32_e32 v1, 0x400
	v_add_u32_e32 v0, s4, v0
	v_lshl_add_u32 v15, v9, 5, v1
	v_mad_i64_i32 v[0:1], s[14:15], s13, v0, 0
	s_lshl_b64 s[14:15], s[20:21], 2
	s_nop 0
	v_lshl_add_u64 v[4:5], v[0:1], 2, s[14:15]
	v_lshlrev_b32_e32 v0, 2, v11
	v_mov_b32_e32 v1, 0
	v_lshl_add_u64 v[4:5], v[4:5], 0, v[0:1]
	s_waitcnt lgkmcnt(0)
	v_lshl_add_u64 v[4:5], s[6:7], 0, v[4:5]
	v_mad_i64_i32 v[6:7], s[6:7], s24, v10, 0
	s_lshl_b64 s[6:7], s[8:9], 2
	v_ashrrev_i32_e32 v3, 31, v2
	v_lshl_add_u64 v[6:7], v[6:7], 2, s[6:7]
	v_cmp_gt_i32_e64 s[2:3], s16, v2
	v_lshl_add_u64 v[2:3], v[2:3], 2, v[6:7]
	v_lshlrev_b32_e32 v14, 2, v8
	v_lshl_add_u64 v[6:7], s[22:23], 0, v[2:3]
	s_lshl_b64 s[8:9], s[24:25], 5
	v_mov_b32_e32 v0, v1
	v_mov_b32_e32 v2, v1
	;; [unrolled: 1-line block ×3, first 2 shown]
	s_branch .LBB305_6
.LBB305_5:                              ;   in Loop: Header=BB305_6 Depth=1
	s_or_b64 exec, exec, s[6:7]
	s_waitcnt vmcnt(0) lgkmcnt(0)
	ds_write_b32 v13, v16
	s_waitcnt lgkmcnt(0)
	s_barrier
	ds_read_b128 v[16:19], v15
	ds_read_b128 v[20:23], v15 offset:16
	ds_read2_b32 v[32:33], v14 offset1:16
	ds_read2_b32 v[34:35], v14 offset0:32 offset1:48
	ds_read2_b32 v[36:37], v14 offset0:64 offset1:80
	;; [unrolled: 1-line block ×4, first 2 shown]
	ds_read_b128 v[24:27], v15 offset:512
	ds_read_b128 v[28:31], v15 offset:528
	ds_read2_b32 v[42:43], v14 offset0:160 offset1:176
	ds_read2_b32 v[44:45], v14 offset0:192 offset1:208
	;; [unrolled: 1-line block ×3, first 2 shown]
	s_waitcnt lgkmcnt(9)
	v_pk_fma_f32 v[2:3], v[32:33], v[16:17], v[2:3] op_sel_hi:[1,0,1]
	s_waitcnt lgkmcnt(4)
	v_pk_fma_f32 v[0:1], v[32:33], v[24:25], v[0:1] op_sel_hi:[1,0,1]
	v_pk_fma_f32 v[2:3], v[34:35], v[16:17], v[2:3] op_sel:[0,1,0]
	v_mov_b32_e32 v16, v19
	v_pk_fma_f32 v[2:3], v[36:37], v[18:19], v[2:3] op_sel_hi:[1,0,1]
	v_pk_fma_f32 v[0:1], v[34:35], v[24:25], v[0:1] op_sel:[0,1,0]
	v_pk_fma_f32 v[2:3], v[38:39], v[16:17], v[2:3] op_sel_hi:[1,0,1]
	v_mov_b32_e32 v16, v23
	v_pk_fma_f32 v[2:3], v[40:41], v[20:21], v[2:3] op_sel_hi:[1,0,1]
	v_pk_fma_f32 v[0:1], v[36:37], v[26:27], v[0:1] op_sel_hi:[1,0,1]
	s_waitcnt lgkmcnt(2)
	v_pk_fma_f32 v[2:3], v[42:43], v[20:21], v[2:3] op_sel:[0,1,0]
	s_add_i32 s5, s5, 8
	s_waitcnt lgkmcnt(1)
	v_pk_fma_f32 v[2:3], v[44:45], v[22:23], v[2:3] op_sel_hi:[1,0,1]
	v_lshl_add_u64 v[4:5], v[4:5], 0, 32
	s_waitcnt lgkmcnt(0)
	v_pk_fma_f32 v[2:3], v[46:47], v[16:17], v[2:3] op_sel_hi:[1,0,1]
	v_mov_b32_e32 v16, v27
	v_pk_fma_f32 v[0:1], v[38:39], v[16:17], v[0:1] op_sel_hi:[1,0,1]
	v_mov_b32_e32 v16, v31
	v_pk_fma_f32 v[0:1], v[40:41], v[28:29], v[0:1] op_sel_hi:[1,0,1]
	s_cmp_lt_i32 s5, s17
	v_pk_fma_f32 v[0:1], v[42:43], v[28:29], v[0:1] op_sel:[0,1,0]
	v_lshl_add_u64 v[6:7], v[6:7], 0, s[8:9]
	v_pk_fma_f32 v[0:1], v[44:45], v[30:31], v[0:1] op_sel_hi:[1,0,1]
	s_nop 0
	v_pk_fma_f32 v[0:1], v[46:47], v[16:17], v[0:1] op_sel_hi:[1,0,1]
	s_barrier
	s_cbranch_scc0 .LBB305_10
.LBB305_6:                              ; =>This Inner Loop Header: Depth=1
	v_add_u32_e32 v16, s5, v11
	v_cmp_gt_i32_e64 s[6:7], s17, v16
	s_and_b64 s[14:15], vcc, s[6:7]
	v_mov_b32_e32 v16, 0
	s_and_saveexec_b64 s[6:7], s[14:15]
	s_cbranch_execz .LBB305_8
; %bb.7:                                ;   in Loop: Header=BB305_6 Depth=1
	flat_load_dword v16, v[4:5]
.LBB305_8:                              ;   in Loop: Header=BB305_6 Depth=1
	s_or_b64 exec, exec, s[6:7]
	s_waitcnt vmcnt(0) lgkmcnt(0)
	ds_write_b32 v12, v16
	v_add_u32_e32 v16, s5, v10
	v_cmp_gt_i32_e64 s[6:7], s17, v16
	s_and_b64 s[14:15], s[6:7], s[2:3]
	v_mov_b32_e32 v16, 0
	s_and_saveexec_b64 s[6:7], s[14:15]
	s_cbranch_execz .LBB305_5
; %bb.9:                                ;   in Loop: Header=BB305_6 Depth=1
	flat_load_dword v16, v[6:7]
	s_branch .LBB305_5
.LBB305_10:
	s_load_dwordx2 s[2:3], s[0:1], 0x58
	s_load_dword s13, s[0:1], 0x50
	v_add_u32_e32 v10, s12, v9
	v_add_u32_e32 v4, s4, v8
	v_cmp_le_i32_e32 vcc, v10, v4
	s_waitcnt lgkmcnt(0)
	s_lshl_b64 s[0:1], s[2:3], 2
	s_add_u32 s6, s10, s0
	s_addc_u32 s7, s11, s1
	v_mad_i64_i32 v[6:7], s[0:1], v10, s13, 0
	v_cmp_neq_f32_e64 s[0:1], s18, 0
	v_lshl_add_u64 v[8:9], v[6:7], 2, s[6:7]
	v_cmp_gt_i32_e64 s[2:3], s16, v4
	v_cndmask_b32_e64 v6, 0, 1, s[0:1]
	s_and_b64 s[8:9], vcc, s[2:3]
	v_ashrrev_i32_e32 v5, 31, v4
	v_cmp_ne_u32_e64 s[0:1], 1, v6
	s_and_saveexec_b64 s[4:5], s[8:9]
	s_cbranch_execz .LBB305_14
; %bb.11:
	v_mul_f32_e32 v2, s19, v2
	s_and_b64 vcc, exec, s[0:1]
	v_lshl_add_u64 v[6:7], v[4:5], 2, v[8:9]
	s_cbranch_vccnz .LBB305_13
; %bb.12:
	flat_load_dword v11, v[6:7]
	s_waitcnt vmcnt(0) lgkmcnt(0)
	v_fmac_f32_e32 v2, s18, v11
.LBB305_13:
	flat_store_dword v[6:7], v2
.LBB305_14:
	s_or_b64 exec, exec, s[4:5]
	v_add_u32_e32 v6, 16, v4
	v_cmp_le_i32_e32 vcc, v10, v6
	v_cmp_gt_i32_e64 s[4:5], s16, v6
	s_and_b64 s[10:11], vcc, s[4:5]
	v_ashrrev_i32_e32 v7, 31, v6
	s_and_saveexec_b64 s[8:9], s[10:11]
	s_cbranch_execz .LBB305_18
; %bb.15:
	v_mul_f32_e32 v11, s19, v3
	s_and_b64 vcc, exec, s[0:1]
	v_lshl_add_u64 v[2:3], v[6:7], 2, v[8:9]
	s_cbranch_vccnz .LBB305_17
; %bb.16:
	flat_load_dword v8, v[2:3]
	s_waitcnt vmcnt(0) lgkmcnt(0)
	v_fmac_f32_e32 v11, s18, v8
.LBB305_17:
	flat_store_dword v[2:3], v11
.LBB305_18:
	s_or_b64 exec, exec, s[8:9]
	v_add_u32_e32 v8, 16, v10
	v_mad_i64_i32 v[2:3], s[8:9], v8, s13, 0
	v_cmp_le_i32_e32 vcc, v8, v4
	v_lshl_add_u64 v[2:3], v[2:3], 2, s[6:7]
	s_and_b64 s[6:7], vcc, s[2:3]
	s_and_saveexec_b64 s[2:3], s[6:7]
	s_cbranch_execz .LBB305_22
; %bb.19:
	v_mul_f32_e32 v0, s19, v0
	s_and_b64 vcc, exec, s[0:1]
	v_lshl_add_u64 v[4:5], v[4:5], 2, v[2:3]
	s_cbranch_vccnz .LBB305_21
; %bb.20:
	flat_load_dword v9, v[4:5]
	s_waitcnt vmcnt(0) lgkmcnt(0)
	v_fmac_f32_e32 v0, s18, v9
.LBB305_21:
	flat_store_dword v[4:5], v0
.LBB305_22:
	s_or_b64 exec, exec, s[2:3]
	v_cmp_le_i32_e32 vcc, v8, v6
	s_and_b64 s[2:3], vcc, s[4:5]
	s_and_saveexec_b64 s[4:5], s[2:3]
	s_cbranch_execz .LBB305_26
; %bb.23:
	v_mul_f32_e32 v4, s19, v1
	s_and_b64 vcc, exec, s[0:1]
	v_lshl_add_u64 v[0:1], v[6:7], 2, v[2:3]
	s_cbranch_vccnz .LBB305_25
; %bb.24:
	flat_load_dword v2, v[0:1]
	s_waitcnt vmcnt(0) lgkmcnt(0)
	v_fmac_f32_e32 v4, s18, v2
.LBB305_25:
	flat_store_dword v[0:1], v4
.LBB305_26:
	s_endpgm
	.section	.rodata,"a",@progbits
	.p2align	6, 0x0
	.amdhsa_kernel _ZL29rocblas_internal_gemmt_kernelIiLi16ELi32ELi8ELc67ELc67ELc76ELb0ELb0EfPKfPKS1_PKPfEviT_T9_T10_S7_lS9_S7_lS8_T11_S7_li
		.amdhsa_group_segment_fixed_size 2048
		.amdhsa_private_segment_fixed_size 0
		.amdhsa_kernarg_size 100
		.amdhsa_user_sgpr_count 2
		.amdhsa_user_sgpr_dispatch_ptr 0
		.amdhsa_user_sgpr_queue_ptr 0
		.amdhsa_user_sgpr_kernarg_segment_ptr 1
		.amdhsa_user_sgpr_dispatch_id 0
		.amdhsa_user_sgpr_kernarg_preload_length 0
		.amdhsa_user_sgpr_kernarg_preload_offset 0
		.amdhsa_user_sgpr_private_segment_size 0
		.amdhsa_uses_dynamic_stack 0
		.amdhsa_enable_private_segment 0
		.amdhsa_system_sgpr_workgroup_id_x 1
		.amdhsa_system_sgpr_workgroup_id_y 1
		.amdhsa_system_sgpr_workgroup_id_z 1
		.amdhsa_system_sgpr_workgroup_info 0
		.amdhsa_system_vgpr_workitem_id 1
		.amdhsa_next_free_vgpr 48
		.amdhsa_next_free_sgpr 26
		.amdhsa_accum_offset 48
		.amdhsa_reserve_vcc 1
		.amdhsa_float_round_mode_32 0
		.amdhsa_float_round_mode_16_64 0
		.amdhsa_float_denorm_mode_32 3
		.amdhsa_float_denorm_mode_16_64 3
		.amdhsa_dx10_clamp 1
		.amdhsa_ieee_mode 1
		.amdhsa_fp16_overflow 0
		.amdhsa_tg_split 0
		.amdhsa_exception_fp_ieee_invalid_op 0
		.amdhsa_exception_fp_denorm_src 0
		.amdhsa_exception_fp_ieee_div_zero 0
		.amdhsa_exception_fp_ieee_overflow 0
		.amdhsa_exception_fp_ieee_underflow 0
		.amdhsa_exception_fp_ieee_inexact 0
		.amdhsa_exception_int_div_zero 0
	.end_amdhsa_kernel
	.section	.text._ZL29rocblas_internal_gemmt_kernelIiLi16ELi32ELi8ELc67ELc67ELc76ELb0ELb0EfPKfPKS1_PKPfEviT_T9_T10_S7_lS9_S7_lS8_T11_S7_li,"axG",@progbits,_ZL29rocblas_internal_gemmt_kernelIiLi16ELi32ELi8ELc67ELc67ELc76ELb0ELb0EfPKfPKS1_PKPfEviT_T9_T10_S7_lS9_S7_lS8_T11_S7_li,comdat
.Lfunc_end305:
	.size	_ZL29rocblas_internal_gemmt_kernelIiLi16ELi32ELi8ELc67ELc67ELc76ELb0ELb0EfPKfPKS1_PKPfEviT_T9_T10_S7_lS9_S7_lS8_T11_S7_li, .Lfunc_end305-_ZL29rocblas_internal_gemmt_kernelIiLi16ELi32ELi8ELc67ELc67ELc76ELb0ELb0EfPKfPKS1_PKPfEviT_T9_T10_S7_lS9_S7_lS8_T11_S7_li
                                        ; -- End function
	.set _ZL29rocblas_internal_gemmt_kernelIiLi16ELi32ELi8ELc67ELc67ELc76ELb0ELb0EfPKfPKS1_PKPfEviT_T9_T10_S7_lS9_S7_lS8_T11_S7_li.num_vgpr, 48
	.set _ZL29rocblas_internal_gemmt_kernelIiLi16ELi32ELi8ELc67ELc67ELc76ELb0ELb0EfPKfPKS1_PKPfEviT_T9_T10_S7_lS9_S7_lS8_T11_S7_li.num_agpr, 0
	.set _ZL29rocblas_internal_gemmt_kernelIiLi16ELi32ELi8ELc67ELc67ELc76ELb0ELb0EfPKfPKS1_PKPfEviT_T9_T10_S7_lS9_S7_lS8_T11_S7_li.numbered_sgpr, 26
	.set _ZL29rocblas_internal_gemmt_kernelIiLi16ELi32ELi8ELc67ELc67ELc76ELb0ELb0EfPKfPKS1_PKPfEviT_T9_T10_S7_lS9_S7_lS8_T11_S7_li.num_named_barrier, 0
	.set _ZL29rocblas_internal_gemmt_kernelIiLi16ELi32ELi8ELc67ELc67ELc76ELb0ELb0EfPKfPKS1_PKPfEviT_T9_T10_S7_lS9_S7_lS8_T11_S7_li.private_seg_size, 0
	.set _ZL29rocblas_internal_gemmt_kernelIiLi16ELi32ELi8ELc67ELc67ELc76ELb0ELb0EfPKfPKS1_PKPfEviT_T9_T10_S7_lS9_S7_lS8_T11_S7_li.uses_vcc, 1
	.set _ZL29rocblas_internal_gemmt_kernelIiLi16ELi32ELi8ELc67ELc67ELc76ELb0ELb0EfPKfPKS1_PKPfEviT_T9_T10_S7_lS9_S7_lS8_T11_S7_li.uses_flat_scratch, 0
	.set _ZL29rocblas_internal_gemmt_kernelIiLi16ELi32ELi8ELc67ELc67ELc76ELb0ELb0EfPKfPKS1_PKPfEviT_T9_T10_S7_lS9_S7_lS8_T11_S7_li.has_dyn_sized_stack, 0
	.set _ZL29rocblas_internal_gemmt_kernelIiLi16ELi32ELi8ELc67ELc67ELc76ELb0ELb0EfPKfPKS1_PKPfEviT_T9_T10_S7_lS9_S7_lS8_T11_S7_li.has_recursion, 0
	.set _ZL29rocblas_internal_gemmt_kernelIiLi16ELi32ELi8ELc67ELc67ELc76ELb0ELb0EfPKfPKS1_PKPfEviT_T9_T10_S7_lS9_S7_lS8_T11_S7_li.has_indirect_call, 0
	.section	.AMDGPU.csdata,"",@progbits
; Kernel info:
; codeLenInByte = 1268
; TotalNumSgprs: 32
; NumVgprs: 48
; NumAgprs: 0
; TotalNumVgprs: 48
; ScratchSize: 0
; MemoryBound: 0
; FloatMode: 240
; IeeeMode: 1
; LDSByteSize: 2048 bytes/workgroup (compile time only)
; SGPRBlocks: 3
; VGPRBlocks: 5
; NumSGPRsForWavesPerEU: 32
; NumVGPRsForWavesPerEU: 48
; AccumOffset: 48
; Occupancy: 8
; WaveLimiterHint : 1
; COMPUTE_PGM_RSRC2:SCRATCH_EN: 0
; COMPUTE_PGM_RSRC2:USER_SGPR: 2
; COMPUTE_PGM_RSRC2:TRAP_HANDLER: 0
; COMPUTE_PGM_RSRC2:TGID_X_EN: 1
; COMPUTE_PGM_RSRC2:TGID_Y_EN: 1
; COMPUTE_PGM_RSRC2:TGID_Z_EN: 1
; COMPUTE_PGM_RSRC2:TIDIG_COMP_CNT: 1
; COMPUTE_PGM_RSRC3_GFX90A:ACCUM_OFFSET: 11
; COMPUTE_PGM_RSRC3_GFX90A:TG_SPLIT: 0
	.section	.text._ZL29rocblas_internal_gemmt_kernelIiLi16ELi32ELi8ELc78ELc78ELc85ELb0ELb0EffPKPKfPKPfEviT_T9_T10_S7_lS9_S7_lS8_T11_S7_li,"axG",@progbits,_ZL29rocblas_internal_gemmt_kernelIiLi16ELi32ELi8ELc78ELc78ELc85ELb0ELb0EffPKPKfPKPfEviT_T9_T10_S7_lS9_S7_lS8_T11_S7_li,comdat
	.globl	_ZL29rocblas_internal_gemmt_kernelIiLi16ELi32ELi8ELc78ELc78ELc85ELb0ELb0EffPKPKfPKPfEviT_T9_T10_S7_lS9_S7_lS8_T11_S7_li ; -- Begin function _ZL29rocblas_internal_gemmt_kernelIiLi16ELi32ELi8ELc78ELc78ELc85ELb0ELb0EffPKPKfPKPfEviT_T9_T10_S7_lS9_S7_lS8_T11_S7_li
	.p2align	8
	.type	_ZL29rocblas_internal_gemmt_kernelIiLi16ELi32ELi8ELc78ELc78ELc85ELb0ELb0EffPKPKfPKPfEviT_T9_T10_S7_lS9_S7_lS8_T11_S7_li,@function
_ZL29rocblas_internal_gemmt_kernelIiLi16ELi32ELi8ELc78ELc78ELc85ELb0ELb0EffPKPKfPKPfEviT_T9_T10_S7_lS9_S7_lS8_T11_S7_li: ; @_ZL29rocblas_internal_gemmt_kernelIiLi16ELi32ELi8ELc78ELc78ELc85ELb0ELb0EffPKPKfPKPfEviT_T9_T10_S7_lS9_S7_lS8_T11_S7_li
; %bb.0:
	s_load_dword s16, s[0:1], 0x40
	s_load_dwordx4 s[8:11], s[0:1], 0x0
	s_waitcnt lgkmcnt(0)
	v_cmp_neq_f32_e64 s[6:7], s16, 1.0
	s_and_b64 vcc, exec, s[6:7]
	s_cbranch_vccnz .LBB306_2
; %bb.1:
	s_cmp_lg_u32 s9, 0
	s_cselect_b64 s[6:7], -1, 0
	v_cmp_neq_f32_e64 s[12:13], s10, 0
	s_and_b64 s[6:7], s[6:7], s[12:13]
.LBB306_2:
	s_andn2_b64 vcc, exec, s[6:7]
	s_cbranch_vccnz .LBB306_26
; %bb.3:
	s_load_dwordx2 s[12:13], s[0:1], 0x48
	s_mov_b32 s5, 0
	s_lshl_b64 s[6:7], s[4:5], 3
	v_mov_b32_e32 v3, 0
	v_and_b32_e32 v8, 0x3ff, v0
	s_waitcnt lgkmcnt(0)
	s_add_u32 s12, s12, s6
	s_addc_u32 s13, s13, s7
	s_load_dwordx2 s[12:13], s[12:13], 0x0
	s_lshl_b32 s4, s2, 5
	s_lshl_b32 s11, s3, 5
	s_cmp_lt_i32 s9, 1
	v_cmp_eq_f32_e64 s[2:3], s10, 0
	s_cselect_b64 s[14:15], -1, 0
	s_or_b64 s[2:3], s[2:3], s[14:15]
	v_bfe_u32 v9, v0, 10, 10
	s_and_b64 vcc, exec, s[2:3]
	v_mov_b32_e32 v2, v3
	v_mov_b32_e32 v1, v3
	;; [unrolled: 1-line block ×3, first 2 shown]
	s_cbranch_vccnz .LBB306_10
; %bb.4:
	s_load_dwordx2 s[2:3], s[0:1], 0x10
	s_load_dword s14, s[0:1], 0x18
	s_load_dwordx4 s[20:23], s[0:1], 0x20
	s_load_dword s17, s[0:1], 0x30
	s_load_dwordx2 s[18:19], s[0:1], 0x38
	v_lshl_add_u32 v0, v9, 4, v8
	v_and_b32_e32 v4, 31, v0
	v_lshrrev_b32_e32 v11, 5, v0
	s_waitcnt lgkmcnt(0)
	s_ashr_i32 s15, s14, 31
	s_add_u32 s22, s22, s6
	s_addc_u32 s23, s23, s7
	s_add_u32 s2, s2, s6
	s_addc_u32 s3, s3, s7
	s_load_dwordx2 s[6:7], s[2:3], 0x0
	v_lshrrev_b32_e32 v1, 3, v0
	v_or_b32_e32 v0, s4, v4
	v_cmp_gt_i32_e32 vcc, s8, v0
	v_lshlrev_b32_e32 v0, 2, v4
	v_mad_i64_i32 v[2:3], s[24:25], v11, s14, 0
	s_lshl_b64 s[20:21], s[20:21], 2
	v_add_u32_e32 v4, s4, v4
	v_and_b32_e32 v10, 7, v8
	v_lshl_add_u64 v[2:3], v[2:3], 2, s[20:21]
	v_ashrrev_i32_e32 v5, 31, v4
	v_add_u32_e32 v6, s11, v1
	s_load_dwordx2 s[22:23], s[22:23], 0x0
	v_lshl_or_b32 v12, v11, 7, v0
	v_lshlrev_b32_e32 v0, 2, v10
	v_lshl_add_u64 v[2:3], v[4:5], 2, v[2:3]
	v_lshl_or_b32 v1, v1, 5, v0
	s_waitcnt lgkmcnt(0)
	v_lshl_add_u64 v[4:5], s[6:7], 0, v[2:3]
	v_mad_i64_i32 v[2:3], s[6:7], s17, v6, 0
	v_add_u32_e32 v13, 0x400, v1
	v_mov_b32_e32 v1, 0x400
	s_lshl_b64 s[6:7], s[18:19], 2
	v_lshl_add_u32 v15, v9, 5, v1
	v_lshl_add_u64 v[2:3], v[2:3], 2, s[6:7]
	v_mov_b32_e32 v1, 0
	v_lshl_add_u64 v[2:3], v[2:3], 0, v[0:1]
	v_cmp_gt_i32_e64 s[2:3], s8, v6
	v_lshlrev_b32_e32 v14, 2, v8
	s_lshl_b64 s[14:15], s[14:15], 5
	v_lshl_add_u64 v[6:7], s[22:23], 0, v[2:3]
	v_mov_b32_e32 v0, v1
	v_mov_b32_e32 v2, v1
	;; [unrolled: 1-line block ×3, first 2 shown]
	s_branch .LBB306_6
.LBB306_5:                              ;   in Loop: Header=BB306_6 Depth=1
	s_or_b64 exec, exec, s[6:7]
	s_waitcnt vmcnt(0) lgkmcnt(0)
	ds_write_b32 v13, v16
	s_waitcnt lgkmcnt(0)
	s_barrier
	ds_read_b128 v[16:19], v15
	ds_read_b128 v[20:23], v15 offset:16
	ds_read2_b32 v[32:33], v14 offset1:16
	ds_read2_b32 v[34:35], v14 offset0:32 offset1:48
	ds_read2_b32 v[36:37], v14 offset0:64 offset1:80
	;; [unrolled: 1-line block ×4, first 2 shown]
	ds_read_b128 v[24:27], v15 offset:512
	ds_read_b128 v[28:31], v15 offset:528
	ds_read2_b32 v[42:43], v14 offset0:160 offset1:176
	ds_read2_b32 v[44:45], v14 offset0:192 offset1:208
	;; [unrolled: 1-line block ×3, first 2 shown]
	s_waitcnt lgkmcnt(9)
	v_pk_fma_f32 v[2:3], v[32:33], v[16:17], v[2:3] op_sel_hi:[1,0,1]
	s_waitcnt lgkmcnt(4)
	v_pk_fma_f32 v[0:1], v[32:33], v[24:25], v[0:1] op_sel_hi:[1,0,1]
	v_pk_fma_f32 v[2:3], v[34:35], v[16:17], v[2:3] op_sel:[0,1,0]
	v_mov_b32_e32 v16, v19
	v_pk_fma_f32 v[2:3], v[36:37], v[18:19], v[2:3] op_sel_hi:[1,0,1]
	v_pk_fma_f32 v[0:1], v[34:35], v[24:25], v[0:1] op_sel:[0,1,0]
	v_pk_fma_f32 v[2:3], v[38:39], v[16:17], v[2:3] op_sel_hi:[1,0,1]
	v_mov_b32_e32 v16, v23
	v_pk_fma_f32 v[2:3], v[40:41], v[20:21], v[2:3] op_sel_hi:[1,0,1]
	v_pk_fma_f32 v[0:1], v[36:37], v[26:27], v[0:1] op_sel_hi:[1,0,1]
	s_waitcnt lgkmcnt(2)
	v_pk_fma_f32 v[2:3], v[42:43], v[20:21], v[2:3] op_sel:[0,1,0]
	s_add_i32 s5, s5, 8
	s_waitcnt lgkmcnt(1)
	v_pk_fma_f32 v[2:3], v[44:45], v[22:23], v[2:3] op_sel_hi:[1,0,1]
	v_lshl_add_u64 v[4:5], v[4:5], 0, s[14:15]
	s_waitcnt lgkmcnt(0)
	v_pk_fma_f32 v[2:3], v[46:47], v[16:17], v[2:3] op_sel_hi:[1,0,1]
	v_mov_b32_e32 v16, v27
	v_pk_fma_f32 v[0:1], v[38:39], v[16:17], v[0:1] op_sel_hi:[1,0,1]
	v_mov_b32_e32 v16, v31
	v_pk_fma_f32 v[0:1], v[40:41], v[28:29], v[0:1] op_sel_hi:[1,0,1]
	s_cmp_lt_i32 s5, s9
	v_pk_fma_f32 v[0:1], v[42:43], v[28:29], v[0:1] op_sel:[0,1,0]
	v_lshl_add_u64 v[6:7], v[6:7], 0, 32
	v_pk_fma_f32 v[0:1], v[44:45], v[30:31], v[0:1] op_sel_hi:[1,0,1]
	s_nop 0
	v_pk_fma_f32 v[0:1], v[46:47], v[16:17], v[0:1] op_sel_hi:[1,0,1]
	s_barrier
	s_cbranch_scc0 .LBB306_10
.LBB306_6:                              ; =>This Inner Loop Header: Depth=1
	v_add_u32_e32 v16, s5, v11
	v_cmp_gt_i32_e64 s[6:7], s9, v16
	s_and_b64 s[18:19], vcc, s[6:7]
	v_mov_b32_e32 v16, 0
	s_and_saveexec_b64 s[6:7], s[18:19]
	s_cbranch_execz .LBB306_8
; %bb.7:                                ;   in Loop: Header=BB306_6 Depth=1
	flat_load_dword v16, v[4:5]
.LBB306_8:                              ;   in Loop: Header=BB306_6 Depth=1
	s_or_b64 exec, exec, s[6:7]
	s_waitcnt vmcnt(0) lgkmcnt(0)
	ds_write_b32 v12, v16
	v_add_u32_e32 v16, s5, v10
	v_cmp_gt_i32_e64 s[6:7], s9, v16
	s_and_b64 s[18:19], s[6:7], s[2:3]
	v_mov_b32_e32 v16, 0
	s_and_saveexec_b64 s[6:7], s[18:19]
	s_cbranch_execz .LBB306_5
; %bb.9:                                ;   in Loop: Header=BB306_6 Depth=1
	flat_load_dword v16, v[6:7]
	s_branch .LBB306_5
.LBB306_10:
	s_load_dwordx2 s[6:7], s[0:1], 0x58
	s_load_dword s9, s[0:1], 0x50
	v_add_u32_e32 v4, s4, v8
	v_add_u32_e32 v10, s11, v9
	v_cmp_gt_i32_e64 s[2:3], s8, v10
	s_waitcnt lgkmcnt(0)
	s_lshl_b64 s[0:1], s[6:7], 2
	s_add_u32 s4, s12, s0
	s_addc_u32 s5, s13, s1
	v_mad_i64_i32 v[6:7], s[0:1], v10, s9, 0
	v_cmp_neq_f32_e64 s[0:1], s16, 0
	v_lshl_add_u64 v[8:9], v[6:7], 2, s[4:5]
	v_cmp_le_i32_e32 vcc, v4, v10
	v_cndmask_b32_e64 v6, 0, 1, s[0:1]
	s_and_b64 s[12:13], s[2:3], vcc
	v_ashrrev_i32_e32 v5, 31, v4
	v_cmp_ne_u32_e64 s[0:1], 1, v6
	s_and_saveexec_b64 s[6:7], s[12:13]
	s_cbranch_execz .LBB306_14
; %bb.11:
	v_mul_f32_e32 v2, s10, v2
	s_and_b64 vcc, exec, s[0:1]
	v_lshl_add_u64 v[6:7], v[4:5], 2, v[8:9]
	s_cbranch_vccnz .LBB306_13
; %bb.12:
	flat_load_dword v11, v[6:7]
	s_waitcnt vmcnt(0) lgkmcnt(0)
	v_fmac_f32_e32 v2, s16, v11
.LBB306_13:
	flat_store_dword v[6:7], v2
.LBB306_14:
	s_or_b64 exec, exec, s[6:7]
	v_add_u32_e32 v6, 16, v4
	v_cmp_le_i32_e32 vcc, v6, v10
	s_and_b64 s[6:7], s[2:3], vcc
	v_ashrrev_i32_e32 v7, 31, v6
	s_and_saveexec_b64 s[2:3], s[6:7]
	s_cbranch_execz .LBB306_18
; %bb.15:
	v_mul_f32_e32 v11, s10, v3
	s_and_b64 vcc, exec, s[0:1]
	v_lshl_add_u64 v[2:3], v[6:7], 2, v[8:9]
	s_cbranch_vccnz .LBB306_17
; %bb.16:
	flat_load_dword v8, v[2:3]
	s_waitcnt vmcnt(0) lgkmcnt(0)
	v_fmac_f32_e32 v11, s16, v8
.LBB306_17:
	flat_store_dword v[2:3], v11
.LBB306_18:
	s_or_b64 exec, exec, s[2:3]
	v_add_u32_e32 v8, 16, v10
	v_cmp_gt_i32_e64 s[2:3], s8, v8
	v_mad_i64_i32 v[2:3], s[6:7], v8, s9, 0
	v_cmp_le_i32_e32 vcc, v4, v8
	v_lshl_add_u64 v[2:3], v[2:3], 2, s[4:5]
	s_and_b64 s[6:7], s[2:3], vcc
	s_and_saveexec_b64 s[4:5], s[6:7]
	s_cbranch_execz .LBB306_22
; %bb.19:
	v_mul_f32_e32 v0, s10, v0
	s_and_b64 vcc, exec, s[0:1]
	v_lshl_add_u64 v[4:5], v[4:5], 2, v[2:3]
	s_cbranch_vccnz .LBB306_21
; %bb.20:
	flat_load_dword v9, v[4:5]
	s_waitcnt vmcnt(0) lgkmcnt(0)
	v_fmac_f32_e32 v0, s16, v9
.LBB306_21:
	flat_store_dword v[4:5], v0
.LBB306_22:
	s_or_b64 exec, exec, s[4:5]
	v_cmp_le_i32_e32 vcc, v6, v8
	s_and_b64 s[2:3], s[2:3], vcc
	s_and_saveexec_b64 s[4:5], s[2:3]
	s_cbranch_execz .LBB306_26
; %bb.23:
	v_mul_f32_e32 v4, s10, v1
	s_and_b64 vcc, exec, s[0:1]
	v_lshl_add_u64 v[0:1], v[6:7], 2, v[2:3]
	s_cbranch_vccnz .LBB306_25
; %bb.24:
	flat_load_dword v2, v[0:1]
	s_waitcnt vmcnt(0) lgkmcnt(0)
	v_fmac_f32_e32 v4, s16, v2
.LBB306_25:
	flat_store_dword v[0:1], v4
.LBB306_26:
	s_endpgm
	.section	.rodata,"a",@progbits
	.p2align	6, 0x0
	.amdhsa_kernel _ZL29rocblas_internal_gemmt_kernelIiLi16ELi32ELi8ELc78ELc78ELc85ELb0ELb0EffPKPKfPKPfEviT_T9_T10_S7_lS9_S7_lS8_T11_S7_li
		.amdhsa_group_segment_fixed_size 2048
		.amdhsa_private_segment_fixed_size 0
		.amdhsa_kernarg_size 100
		.amdhsa_user_sgpr_count 2
		.amdhsa_user_sgpr_dispatch_ptr 0
		.amdhsa_user_sgpr_queue_ptr 0
		.amdhsa_user_sgpr_kernarg_segment_ptr 1
		.amdhsa_user_sgpr_dispatch_id 0
		.amdhsa_user_sgpr_kernarg_preload_length 0
		.amdhsa_user_sgpr_kernarg_preload_offset 0
		.amdhsa_user_sgpr_private_segment_size 0
		.amdhsa_uses_dynamic_stack 0
		.amdhsa_enable_private_segment 0
		.amdhsa_system_sgpr_workgroup_id_x 1
		.amdhsa_system_sgpr_workgroup_id_y 1
		.amdhsa_system_sgpr_workgroup_id_z 1
		.amdhsa_system_sgpr_workgroup_info 0
		.amdhsa_system_vgpr_workitem_id 1
		.amdhsa_next_free_vgpr 48
		.amdhsa_next_free_sgpr 26
		.amdhsa_accum_offset 48
		.amdhsa_reserve_vcc 1
		.amdhsa_float_round_mode_32 0
		.amdhsa_float_round_mode_16_64 0
		.amdhsa_float_denorm_mode_32 3
		.amdhsa_float_denorm_mode_16_64 3
		.amdhsa_dx10_clamp 1
		.amdhsa_ieee_mode 1
		.amdhsa_fp16_overflow 0
		.amdhsa_tg_split 0
		.amdhsa_exception_fp_ieee_invalid_op 0
		.amdhsa_exception_fp_denorm_src 0
		.amdhsa_exception_fp_ieee_div_zero 0
		.amdhsa_exception_fp_ieee_overflow 0
		.amdhsa_exception_fp_ieee_underflow 0
		.amdhsa_exception_fp_ieee_inexact 0
		.amdhsa_exception_int_div_zero 0
	.end_amdhsa_kernel
	.section	.text._ZL29rocblas_internal_gemmt_kernelIiLi16ELi32ELi8ELc78ELc78ELc85ELb0ELb0EffPKPKfPKPfEviT_T9_T10_S7_lS9_S7_lS8_T11_S7_li,"axG",@progbits,_ZL29rocblas_internal_gemmt_kernelIiLi16ELi32ELi8ELc78ELc78ELc85ELb0ELb0EffPKPKfPKPfEviT_T9_T10_S7_lS9_S7_lS8_T11_S7_li,comdat
.Lfunc_end306:
	.size	_ZL29rocblas_internal_gemmt_kernelIiLi16ELi32ELi8ELc78ELc78ELc85ELb0ELb0EffPKPKfPKPfEviT_T9_T10_S7_lS9_S7_lS8_T11_S7_li, .Lfunc_end306-_ZL29rocblas_internal_gemmt_kernelIiLi16ELi32ELi8ELc78ELc78ELc85ELb0ELb0EffPKPKfPKPfEviT_T9_T10_S7_lS9_S7_lS8_T11_S7_li
                                        ; -- End function
	.set _ZL29rocblas_internal_gemmt_kernelIiLi16ELi32ELi8ELc78ELc78ELc85ELb0ELb0EffPKPKfPKPfEviT_T9_T10_S7_lS9_S7_lS8_T11_S7_li.num_vgpr, 48
	.set _ZL29rocblas_internal_gemmt_kernelIiLi16ELi32ELi8ELc78ELc78ELc85ELb0ELb0EffPKPKfPKPfEviT_T9_T10_S7_lS9_S7_lS8_T11_S7_li.num_agpr, 0
	.set _ZL29rocblas_internal_gemmt_kernelIiLi16ELi32ELi8ELc78ELc78ELc85ELb0ELb0EffPKPKfPKPfEviT_T9_T10_S7_lS9_S7_lS8_T11_S7_li.numbered_sgpr, 26
	.set _ZL29rocblas_internal_gemmt_kernelIiLi16ELi32ELi8ELc78ELc78ELc85ELb0ELb0EffPKPKfPKPfEviT_T9_T10_S7_lS9_S7_lS8_T11_S7_li.num_named_barrier, 0
	.set _ZL29rocblas_internal_gemmt_kernelIiLi16ELi32ELi8ELc78ELc78ELc85ELb0ELb0EffPKPKfPKPfEviT_T9_T10_S7_lS9_S7_lS8_T11_S7_li.private_seg_size, 0
	.set _ZL29rocblas_internal_gemmt_kernelIiLi16ELi32ELi8ELc78ELc78ELc85ELb0ELb0EffPKPKfPKPfEviT_T9_T10_S7_lS9_S7_lS8_T11_S7_li.uses_vcc, 1
	.set _ZL29rocblas_internal_gemmt_kernelIiLi16ELi32ELi8ELc78ELc78ELc85ELb0ELb0EffPKPKfPKPfEviT_T9_T10_S7_lS9_S7_lS8_T11_S7_li.uses_flat_scratch, 0
	.set _ZL29rocblas_internal_gemmt_kernelIiLi16ELi32ELi8ELc78ELc78ELc85ELb0ELb0EffPKPKfPKPfEviT_T9_T10_S7_lS9_S7_lS8_T11_S7_li.has_dyn_sized_stack, 0
	.set _ZL29rocblas_internal_gemmt_kernelIiLi16ELi32ELi8ELc78ELc78ELc85ELb0ELb0EffPKPKfPKPfEviT_T9_T10_S7_lS9_S7_lS8_T11_S7_li.has_recursion, 0
	.set _ZL29rocblas_internal_gemmt_kernelIiLi16ELi32ELi8ELc78ELc78ELc85ELb0ELb0EffPKPKfPKPfEviT_T9_T10_S7_lS9_S7_lS8_T11_S7_li.has_indirect_call, 0
	.section	.AMDGPU.csdata,"",@progbits
; Kernel info:
; codeLenInByte = 1248
; TotalNumSgprs: 32
; NumVgprs: 48
; NumAgprs: 0
; TotalNumVgprs: 48
; ScratchSize: 0
; MemoryBound: 0
; FloatMode: 240
; IeeeMode: 1
; LDSByteSize: 2048 bytes/workgroup (compile time only)
; SGPRBlocks: 3
; VGPRBlocks: 5
; NumSGPRsForWavesPerEU: 32
; NumVGPRsForWavesPerEU: 48
; AccumOffset: 48
; Occupancy: 8
; WaveLimiterHint : 1
; COMPUTE_PGM_RSRC2:SCRATCH_EN: 0
; COMPUTE_PGM_RSRC2:USER_SGPR: 2
; COMPUTE_PGM_RSRC2:TRAP_HANDLER: 0
; COMPUTE_PGM_RSRC2:TGID_X_EN: 1
; COMPUTE_PGM_RSRC2:TGID_Y_EN: 1
; COMPUTE_PGM_RSRC2:TGID_Z_EN: 1
; COMPUTE_PGM_RSRC2:TIDIG_COMP_CNT: 1
; COMPUTE_PGM_RSRC3_GFX90A:ACCUM_OFFSET: 11
; COMPUTE_PGM_RSRC3_GFX90A:TG_SPLIT: 0
	.section	.text._ZL29rocblas_internal_gemmt_kernelIiLi16ELi32ELi8ELc78ELc84ELc85ELb0ELb0EffPKPKfPKPfEviT_T9_T10_S7_lS9_S7_lS8_T11_S7_li,"axG",@progbits,_ZL29rocblas_internal_gemmt_kernelIiLi16ELi32ELi8ELc78ELc84ELc85ELb0ELb0EffPKPKfPKPfEviT_T9_T10_S7_lS9_S7_lS8_T11_S7_li,comdat
	.globl	_ZL29rocblas_internal_gemmt_kernelIiLi16ELi32ELi8ELc78ELc84ELc85ELb0ELb0EffPKPKfPKPfEviT_T9_T10_S7_lS9_S7_lS8_T11_S7_li ; -- Begin function _ZL29rocblas_internal_gemmt_kernelIiLi16ELi32ELi8ELc78ELc84ELc85ELb0ELb0EffPKPKfPKPfEviT_T9_T10_S7_lS9_S7_lS8_T11_S7_li
	.p2align	8
	.type	_ZL29rocblas_internal_gemmt_kernelIiLi16ELi32ELi8ELc78ELc84ELc85ELb0ELb0EffPKPKfPKPfEviT_T9_T10_S7_lS9_S7_lS8_T11_S7_li,@function
_ZL29rocblas_internal_gemmt_kernelIiLi16ELi32ELi8ELc78ELc84ELc85ELb0ELb0EffPKPKfPKPfEviT_T9_T10_S7_lS9_S7_lS8_T11_S7_li: ; @_ZL29rocblas_internal_gemmt_kernelIiLi16ELi32ELi8ELc78ELc84ELc85ELb0ELb0EffPKPKfPKPfEviT_T9_T10_S7_lS9_S7_lS8_T11_S7_li
; %bb.0:
	s_load_dword s18, s[0:1], 0x40
	s_load_dwordx4 s[8:11], s[0:1], 0x0
	s_waitcnt lgkmcnt(0)
	v_cmp_neq_f32_e64 s[6:7], s18, 1.0
	s_and_b64 vcc, exec, s[6:7]
	s_cbranch_vccnz .LBB307_2
; %bb.1:
	s_cmp_lg_u32 s9, 0
	s_cselect_b64 s[6:7], -1, 0
	v_cmp_neq_f32_e64 s[12:13], s10, 0
	s_and_b64 s[6:7], s[6:7], s[12:13]
.LBB307_2:
	s_andn2_b64 vcc, exec, s[6:7]
	s_cbranch_vccnz .LBB307_26
; %bb.3:
	s_load_dwordx2 s[12:13], s[0:1], 0x48
	s_mov_b32 s5, 0
	s_lshl_b64 s[6:7], s[4:5], 3
	v_mov_b32_e32 v3, 0
	v_and_b32_e32 v8, 0x3ff, v0
	s_waitcnt lgkmcnt(0)
	s_add_u32 s12, s12, s6
	s_addc_u32 s13, s13, s7
	s_load_dwordx2 s[12:13], s[12:13], 0x0
	s_lshl_b32 s4, s2, 5
	s_lshl_b32 s11, s3, 5
	s_cmp_lt_i32 s9, 1
	v_cmp_eq_f32_e64 s[2:3], s10, 0
	s_cselect_b64 s[14:15], -1, 0
	s_or_b64 s[2:3], s[2:3], s[14:15]
	v_bfe_u32 v9, v0, 10, 10
	s_and_b64 vcc, exec, s[2:3]
	v_mov_b32_e32 v2, v3
	v_mov_b32_e32 v1, v3
	;; [unrolled: 1-line block ×3, first 2 shown]
	s_cbranch_vccnz .LBB307_10
; %bb.4:
	s_load_dwordx2 s[2:3], s[0:1], 0x10
	s_load_dword s14, s[0:1], 0x18
	s_load_dwordx4 s[20:23], s[0:1], 0x20
	s_load_dword s16, s[0:1], 0x30
	v_lshl_add_u32 v1, v9, 4, v8
	v_and_b32_e32 v4, 31, v1
	s_waitcnt lgkmcnt(0)
	s_ashr_i32 s15, s14, 31
	v_lshrrev_b32_e32 v11, 5, v1
	s_ashr_i32 s17, s16, 31
	s_add_u32 s22, s22, s6
	s_addc_u32 s23, s23, s7
	v_lshrrev_b32_e32 v2, 3, v1
	v_or_b32_e32 v1, s4, v4
	s_add_u32 s2, s2, s6
	v_and_b32_e32 v10, 7, v8
	s_addc_u32 s3, s3, s7
	v_cmp_gt_i32_e32 vcc, s8, v1
	v_lshlrev_b32_e32 v1, 2, v4
	s_load_dwordx2 s[6:7], s[2:3], 0x0
	v_lshl_or_b32 v12, v11, 7, v1
	v_lshlrev_b32_e32 v1, 2, v10
	s_load_dwordx2 s[24:25], s[0:1], 0x38
	v_add_u32_e32 v0, s11, v2
	v_lshl_or_b32 v1, v2, 5, v1
	v_mov_b32_e32 v2, 0x400
	v_lshl_add_u32 v15, v9, 5, v2
	v_mad_i64_i32 v[2:3], s[26:27], v11, s14, 0
	s_lshl_b64 s[20:21], s[20:21], 2
	v_add_u32_e32 v4, s4, v4
	v_lshl_add_u64 v[2:3], v[2:3], 2, s[20:21]
	v_ashrrev_i32_e32 v5, 31, v4
	s_load_dwordx2 s[22:23], s[22:23], 0x0
	v_lshl_add_u64 v[2:3], v[4:5], 2, v[2:3]
	s_waitcnt lgkmcnt(0)
	v_lshl_add_u64 v[4:5], s[6:7], 0, v[2:3]
	v_mad_i64_i32 v[2:3], s[6:7], s16, v10, 0
	s_lshl_b64 s[6:7], s[24:25], 2
	v_add_u32_e32 v13, 0x400, v1
	v_ashrrev_i32_e32 v1, 31, v0
	v_lshl_add_u64 v[2:3], v[2:3], 2, s[6:7]
	v_cmp_gt_i32_e64 s[2:3], s8, v0
	v_lshl_add_u64 v[0:1], v[0:1], 2, v[2:3]
	v_lshl_add_u64 v[6:7], s[22:23], 0, v[0:1]
	v_mov_b32_e32 v0, 0
	v_lshlrev_b32_e32 v14, 2, v8
	s_lshl_b64 s[14:15], s[14:15], 5
	s_lshl_b64 s[16:17], s[16:17], 5
	v_mov_b32_e32 v1, v0
	v_mov_b32_e32 v2, v0
	;; [unrolled: 1-line block ×3, first 2 shown]
	s_branch .LBB307_6
.LBB307_5:                              ;   in Loop: Header=BB307_6 Depth=1
	s_or_b64 exec, exec, s[6:7]
	s_waitcnt vmcnt(0) lgkmcnt(0)
	ds_write_b32 v13, v16
	s_waitcnt lgkmcnt(0)
	s_barrier
	ds_read_b128 v[16:19], v15
	ds_read_b128 v[20:23], v15 offset:16
	ds_read2_b32 v[32:33], v14 offset1:16
	ds_read2_b32 v[34:35], v14 offset0:32 offset1:48
	ds_read2_b32 v[36:37], v14 offset0:64 offset1:80
	;; [unrolled: 1-line block ×4, first 2 shown]
	ds_read_b128 v[24:27], v15 offset:512
	ds_read_b128 v[28:31], v15 offset:528
	ds_read2_b32 v[42:43], v14 offset0:160 offset1:176
	ds_read2_b32 v[44:45], v14 offset0:192 offset1:208
	;; [unrolled: 1-line block ×3, first 2 shown]
	s_waitcnt lgkmcnt(9)
	v_pk_fma_f32 v[2:3], v[32:33], v[16:17], v[2:3] op_sel_hi:[1,0,1]
	s_waitcnt lgkmcnt(4)
	v_pk_fma_f32 v[0:1], v[32:33], v[24:25], v[0:1] op_sel_hi:[1,0,1]
	v_pk_fma_f32 v[2:3], v[34:35], v[16:17], v[2:3] op_sel:[0,1,0]
	v_mov_b32_e32 v16, v19
	v_pk_fma_f32 v[2:3], v[36:37], v[18:19], v[2:3] op_sel_hi:[1,0,1]
	v_pk_fma_f32 v[0:1], v[34:35], v[24:25], v[0:1] op_sel:[0,1,0]
	v_pk_fma_f32 v[2:3], v[38:39], v[16:17], v[2:3] op_sel_hi:[1,0,1]
	v_mov_b32_e32 v16, v23
	v_pk_fma_f32 v[2:3], v[40:41], v[20:21], v[2:3] op_sel_hi:[1,0,1]
	v_pk_fma_f32 v[0:1], v[36:37], v[26:27], v[0:1] op_sel_hi:[1,0,1]
	s_waitcnt lgkmcnt(2)
	v_pk_fma_f32 v[2:3], v[42:43], v[20:21], v[2:3] op_sel:[0,1,0]
	s_add_i32 s5, s5, 8
	s_waitcnt lgkmcnt(1)
	v_pk_fma_f32 v[2:3], v[44:45], v[22:23], v[2:3] op_sel_hi:[1,0,1]
	v_lshl_add_u64 v[4:5], v[4:5], 0, s[14:15]
	s_waitcnt lgkmcnt(0)
	v_pk_fma_f32 v[2:3], v[46:47], v[16:17], v[2:3] op_sel_hi:[1,0,1]
	v_mov_b32_e32 v16, v27
	v_pk_fma_f32 v[0:1], v[38:39], v[16:17], v[0:1] op_sel_hi:[1,0,1]
	v_mov_b32_e32 v16, v31
	v_pk_fma_f32 v[0:1], v[40:41], v[28:29], v[0:1] op_sel_hi:[1,0,1]
	s_cmp_lt_i32 s5, s9
	v_pk_fma_f32 v[0:1], v[42:43], v[28:29], v[0:1] op_sel:[0,1,0]
	v_lshl_add_u64 v[6:7], v[6:7], 0, s[16:17]
	v_pk_fma_f32 v[0:1], v[44:45], v[30:31], v[0:1] op_sel_hi:[1,0,1]
	s_nop 0
	v_pk_fma_f32 v[0:1], v[46:47], v[16:17], v[0:1] op_sel_hi:[1,0,1]
	s_barrier
	s_cbranch_scc0 .LBB307_10
.LBB307_6:                              ; =>This Inner Loop Header: Depth=1
	v_add_u32_e32 v16, s5, v11
	v_cmp_gt_i32_e64 s[6:7], s9, v16
	s_and_b64 s[20:21], vcc, s[6:7]
	v_mov_b32_e32 v16, 0
	s_and_saveexec_b64 s[6:7], s[20:21]
	s_cbranch_execz .LBB307_8
; %bb.7:                                ;   in Loop: Header=BB307_6 Depth=1
	flat_load_dword v16, v[4:5]
.LBB307_8:                              ;   in Loop: Header=BB307_6 Depth=1
	s_or_b64 exec, exec, s[6:7]
	s_waitcnt vmcnt(0) lgkmcnt(0)
	ds_write_b32 v12, v16
	v_add_u32_e32 v16, s5, v10
	v_cmp_gt_i32_e64 s[6:7], s9, v16
	s_and_b64 s[20:21], s[6:7], s[2:3]
	v_mov_b32_e32 v16, 0
	s_and_saveexec_b64 s[6:7], s[20:21]
	s_cbranch_execz .LBB307_5
; %bb.9:                                ;   in Loop: Header=BB307_6 Depth=1
	flat_load_dword v16, v[6:7]
	s_branch .LBB307_5
.LBB307_10:
	s_load_dwordx2 s[6:7], s[0:1], 0x58
	s_load_dword s9, s[0:1], 0x50
	v_add_u32_e32 v4, s4, v8
	v_add_u32_e32 v10, s11, v9
	v_cmp_gt_i32_e64 s[2:3], s8, v10
	s_waitcnt lgkmcnt(0)
	s_lshl_b64 s[0:1], s[6:7], 2
	s_add_u32 s4, s12, s0
	s_addc_u32 s5, s13, s1
	v_mad_i64_i32 v[6:7], s[0:1], v10, s9, 0
	v_cmp_neq_f32_e64 s[0:1], s18, 0
	v_lshl_add_u64 v[8:9], v[6:7], 2, s[4:5]
	v_cmp_le_i32_e32 vcc, v4, v10
	v_cndmask_b32_e64 v6, 0, 1, s[0:1]
	s_and_b64 s[12:13], s[2:3], vcc
	v_ashrrev_i32_e32 v5, 31, v4
	v_cmp_ne_u32_e64 s[0:1], 1, v6
	s_and_saveexec_b64 s[6:7], s[12:13]
	s_cbranch_execz .LBB307_14
; %bb.11:
	v_mul_f32_e32 v2, s10, v2
	s_and_b64 vcc, exec, s[0:1]
	v_lshl_add_u64 v[6:7], v[4:5], 2, v[8:9]
	s_cbranch_vccnz .LBB307_13
; %bb.12:
	flat_load_dword v11, v[6:7]
	s_waitcnt vmcnt(0) lgkmcnt(0)
	v_fmac_f32_e32 v2, s18, v11
.LBB307_13:
	flat_store_dword v[6:7], v2
.LBB307_14:
	s_or_b64 exec, exec, s[6:7]
	v_add_u32_e32 v6, 16, v4
	v_cmp_le_i32_e32 vcc, v6, v10
	s_and_b64 s[6:7], s[2:3], vcc
	v_ashrrev_i32_e32 v7, 31, v6
	s_and_saveexec_b64 s[2:3], s[6:7]
	s_cbranch_execz .LBB307_18
; %bb.15:
	v_mul_f32_e32 v11, s10, v3
	s_and_b64 vcc, exec, s[0:1]
	v_lshl_add_u64 v[2:3], v[6:7], 2, v[8:9]
	s_cbranch_vccnz .LBB307_17
; %bb.16:
	flat_load_dword v8, v[2:3]
	s_waitcnt vmcnt(0) lgkmcnt(0)
	v_fmac_f32_e32 v11, s18, v8
.LBB307_17:
	flat_store_dword v[2:3], v11
.LBB307_18:
	s_or_b64 exec, exec, s[2:3]
	v_add_u32_e32 v8, 16, v10
	v_cmp_gt_i32_e64 s[2:3], s8, v8
	v_mad_i64_i32 v[2:3], s[6:7], v8, s9, 0
	v_cmp_le_i32_e32 vcc, v4, v8
	v_lshl_add_u64 v[2:3], v[2:3], 2, s[4:5]
	s_and_b64 s[6:7], s[2:3], vcc
	s_and_saveexec_b64 s[4:5], s[6:7]
	s_cbranch_execz .LBB307_22
; %bb.19:
	v_mul_f32_e32 v0, s10, v0
	s_and_b64 vcc, exec, s[0:1]
	v_lshl_add_u64 v[4:5], v[4:5], 2, v[2:3]
	s_cbranch_vccnz .LBB307_21
; %bb.20:
	flat_load_dword v9, v[4:5]
	s_waitcnt vmcnt(0) lgkmcnt(0)
	v_fmac_f32_e32 v0, s18, v9
.LBB307_21:
	flat_store_dword v[4:5], v0
.LBB307_22:
	s_or_b64 exec, exec, s[4:5]
	v_cmp_le_i32_e32 vcc, v6, v8
	s_and_b64 s[2:3], s[2:3], vcc
	s_and_saveexec_b64 s[4:5], s[2:3]
	s_cbranch_execz .LBB307_26
; %bb.23:
	v_mul_f32_e32 v4, s10, v1
	s_and_b64 vcc, exec, s[0:1]
	v_lshl_add_u64 v[0:1], v[6:7], 2, v[2:3]
	s_cbranch_vccnz .LBB307_25
; %bb.24:
	flat_load_dword v2, v[0:1]
	s_waitcnt vmcnt(0) lgkmcnt(0)
	v_fmac_f32_e32 v4, s18, v2
.LBB307_25:
	flat_store_dword v[0:1], v4
.LBB307_26:
	s_endpgm
	.section	.rodata,"a",@progbits
	.p2align	6, 0x0
	.amdhsa_kernel _ZL29rocblas_internal_gemmt_kernelIiLi16ELi32ELi8ELc78ELc84ELc85ELb0ELb0EffPKPKfPKPfEviT_T9_T10_S7_lS9_S7_lS8_T11_S7_li
		.amdhsa_group_segment_fixed_size 2048
		.amdhsa_private_segment_fixed_size 0
		.amdhsa_kernarg_size 100
		.amdhsa_user_sgpr_count 2
		.amdhsa_user_sgpr_dispatch_ptr 0
		.amdhsa_user_sgpr_queue_ptr 0
		.amdhsa_user_sgpr_kernarg_segment_ptr 1
		.amdhsa_user_sgpr_dispatch_id 0
		.amdhsa_user_sgpr_kernarg_preload_length 0
		.amdhsa_user_sgpr_kernarg_preload_offset 0
		.amdhsa_user_sgpr_private_segment_size 0
		.amdhsa_uses_dynamic_stack 0
		.amdhsa_enable_private_segment 0
		.amdhsa_system_sgpr_workgroup_id_x 1
		.amdhsa_system_sgpr_workgroup_id_y 1
		.amdhsa_system_sgpr_workgroup_id_z 1
		.amdhsa_system_sgpr_workgroup_info 0
		.amdhsa_system_vgpr_workitem_id 1
		.amdhsa_next_free_vgpr 48
		.amdhsa_next_free_sgpr 28
		.amdhsa_accum_offset 48
		.amdhsa_reserve_vcc 1
		.amdhsa_float_round_mode_32 0
		.amdhsa_float_round_mode_16_64 0
		.amdhsa_float_denorm_mode_32 3
		.amdhsa_float_denorm_mode_16_64 3
		.amdhsa_dx10_clamp 1
		.amdhsa_ieee_mode 1
		.amdhsa_fp16_overflow 0
		.amdhsa_tg_split 0
		.amdhsa_exception_fp_ieee_invalid_op 0
		.amdhsa_exception_fp_denorm_src 0
		.amdhsa_exception_fp_ieee_div_zero 0
		.amdhsa_exception_fp_ieee_overflow 0
		.amdhsa_exception_fp_ieee_underflow 0
		.amdhsa_exception_fp_ieee_inexact 0
		.amdhsa_exception_int_div_zero 0
	.end_amdhsa_kernel
	.section	.text._ZL29rocblas_internal_gemmt_kernelIiLi16ELi32ELi8ELc78ELc84ELc85ELb0ELb0EffPKPKfPKPfEviT_T9_T10_S7_lS9_S7_lS8_T11_S7_li,"axG",@progbits,_ZL29rocblas_internal_gemmt_kernelIiLi16ELi32ELi8ELc78ELc84ELc85ELb0ELb0EffPKPKfPKPfEviT_T9_T10_S7_lS9_S7_lS8_T11_S7_li,comdat
.Lfunc_end307:
	.size	_ZL29rocblas_internal_gemmt_kernelIiLi16ELi32ELi8ELc78ELc84ELc85ELb0ELb0EffPKPKfPKPfEviT_T9_T10_S7_lS9_S7_lS8_T11_S7_li, .Lfunc_end307-_ZL29rocblas_internal_gemmt_kernelIiLi16ELi32ELi8ELc78ELc84ELc85ELb0ELb0EffPKPKfPKPfEviT_T9_T10_S7_lS9_S7_lS8_T11_S7_li
                                        ; -- End function
	.set _ZL29rocblas_internal_gemmt_kernelIiLi16ELi32ELi8ELc78ELc84ELc85ELb0ELb0EffPKPKfPKPfEviT_T9_T10_S7_lS9_S7_lS8_T11_S7_li.num_vgpr, 48
	.set _ZL29rocblas_internal_gemmt_kernelIiLi16ELi32ELi8ELc78ELc84ELc85ELb0ELb0EffPKPKfPKPfEviT_T9_T10_S7_lS9_S7_lS8_T11_S7_li.num_agpr, 0
	.set _ZL29rocblas_internal_gemmt_kernelIiLi16ELi32ELi8ELc78ELc84ELc85ELb0ELb0EffPKPKfPKPfEviT_T9_T10_S7_lS9_S7_lS8_T11_S7_li.numbered_sgpr, 28
	.set _ZL29rocblas_internal_gemmt_kernelIiLi16ELi32ELi8ELc78ELc84ELc85ELb0ELb0EffPKPKfPKPfEviT_T9_T10_S7_lS9_S7_lS8_T11_S7_li.num_named_barrier, 0
	.set _ZL29rocblas_internal_gemmt_kernelIiLi16ELi32ELi8ELc78ELc84ELc85ELb0ELb0EffPKPKfPKPfEviT_T9_T10_S7_lS9_S7_lS8_T11_S7_li.private_seg_size, 0
	.set _ZL29rocblas_internal_gemmt_kernelIiLi16ELi32ELi8ELc78ELc84ELc85ELb0ELb0EffPKPKfPKPfEviT_T9_T10_S7_lS9_S7_lS8_T11_S7_li.uses_vcc, 1
	.set _ZL29rocblas_internal_gemmt_kernelIiLi16ELi32ELi8ELc78ELc84ELc85ELb0ELb0EffPKPKfPKPfEviT_T9_T10_S7_lS9_S7_lS8_T11_S7_li.uses_flat_scratch, 0
	.set _ZL29rocblas_internal_gemmt_kernelIiLi16ELi32ELi8ELc78ELc84ELc85ELb0ELb0EffPKPKfPKPfEviT_T9_T10_S7_lS9_S7_lS8_T11_S7_li.has_dyn_sized_stack, 0
	.set _ZL29rocblas_internal_gemmt_kernelIiLi16ELi32ELi8ELc78ELc84ELc85ELb0ELb0EffPKPKfPKPfEviT_T9_T10_S7_lS9_S7_lS8_T11_S7_li.has_recursion, 0
	.set _ZL29rocblas_internal_gemmt_kernelIiLi16ELi32ELi8ELc78ELc84ELc85ELb0ELb0EffPKPKfPKPfEviT_T9_T10_S7_lS9_S7_lS8_T11_S7_li.has_indirect_call, 0
	.section	.AMDGPU.csdata,"",@progbits
; Kernel info:
; codeLenInByte = 1260
; TotalNumSgprs: 34
; NumVgprs: 48
; NumAgprs: 0
; TotalNumVgprs: 48
; ScratchSize: 0
; MemoryBound: 0
; FloatMode: 240
; IeeeMode: 1
; LDSByteSize: 2048 bytes/workgroup (compile time only)
; SGPRBlocks: 4
; VGPRBlocks: 5
; NumSGPRsForWavesPerEU: 34
; NumVGPRsForWavesPerEU: 48
; AccumOffset: 48
; Occupancy: 8
; WaveLimiterHint : 1
; COMPUTE_PGM_RSRC2:SCRATCH_EN: 0
; COMPUTE_PGM_RSRC2:USER_SGPR: 2
; COMPUTE_PGM_RSRC2:TRAP_HANDLER: 0
; COMPUTE_PGM_RSRC2:TGID_X_EN: 1
; COMPUTE_PGM_RSRC2:TGID_Y_EN: 1
; COMPUTE_PGM_RSRC2:TGID_Z_EN: 1
; COMPUTE_PGM_RSRC2:TIDIG_COMP_CNT: 1
; COMPUTE_PGM_RSRC3_GFX90A:ACCUM_OFFSET: 11
; COMPUTE_PGM_RSRC3_GFX90A:TG_SPLIT: 0
	.section	.text._ZL29rocblas_internal_gemmt_kernelIiLi16ELi32ELi8ELc78ELc67ELc85ELb0ELb0EffPKPKfPKPfEviT_T9_T10_S7_lS9_S7_lS8_T11_S7_li,"axG",@progbits,_ZL29rocblas_internal_gemmt_kernelIiLi16ELi32ELi8ELc78ELc67ELc85ELb0ELb0EffPKPKfPKPfEviT_T9_T10_S7_lS9_S7_lS8_T11_S7_li,comdat
	.globl	_ZL29rocblas_internal_gemmt_kernelIiLi16ELi32ELi8ELc78ELc67ELc85ELb0ELb0EffPKPKfPKPfEviT_T9_T10_S7_lS9_S7_lS8_T11_S7_li ; -- Begin function _ZL29rocblas_internal_gemmt_kernelIiLi16ELi32ELi8ELc78ELc67ELc85ELb0ELb0EffPKPKfPKPfEviT_T9_T10_S7_lS9_S7_lS8_T11_S7_li
	.p2align	8
	.type	_ZL29rocblas_internal_gemmt_kernelIiLi16ELi32ELi8ELc78ELc67ELc85ELb0ELb0EffPKPKfPKPfEviT_T9_T10_S7_lS9_S7_lS8_T11_S7_li,@function
_ZL29rocblas_internal_gemmt_kernelIiLi16ELi32ELi8ELc78ELc67ELc85ELb0ELb0EffPKPKfPKPfEviT_T9_T10_S7_lS9_S7_lS8_T11_S7_li: ; @_ZL29rocblas_internal_gemmt_kernelIiLi16ELi32ELi8ELc78ELc67ELc85ELb0ELb0EffPKPKfPKPfEviT_T9_T10_S7_lS9_S7_lS8_T11_S7_li
; %bb.0:
	s_load_dword s18, s[0:1], 0x40
	s_load_dwordx4 s[8:11], s[0:1], 0x0
	s_waitcnt lgkmcnt(0)
	v_cmp_neq_f32_e64 s[6:7], s18, 1.0
	s_and_b64 vcc, exec, s[6:7]
	s_cbranch_vccnz .LBB308_2
; %bb.1:
	s_cmp_lg_u32 s9, 0
	s_cselect_b64 s[6:7], -1, 0
	v_cmp_neq_f32_e64 s[12:13], s10, 0
	s_and_b64 s[6:7], s[6:7], s[12:13]
.LBB308_2:
	s_andn2_b64 vcc, exec, s[6:7]
	s_cbranch_vccnz .LBB308_26
; %bb.3:
	s_load_dwordx2 s[12:13], s[0:1], 0x48
	s_mov_b32 s5, 0
	s_lshl_b64 s[6:7], s[4:5], 3
	v_mov_b32_e32 v3, 0
	v_and_b32_e32 v8, 0x3ff, v0
	s_waitcnt lgkmcnt(0)
	s_add_u32 s12, s12, s6
	s_addc_u32 s13, s13, s7
	s_load_dwordx2 s[12:13], s[12:13], 0x0
	s_lshl_b32 s4, s2, 5
	s_lshl_b32 s11, s3, 5
	s_cmp_lt_i32 s9, 1
	v_cmp_eq_f32_e64 s[2:3], s10, 0
	s_cselect_b64 s[14:15], -1, 0
	s_or_b64 s[2:3], s[2:3], s[14:15]
	v_bfe_u32 v9, v0, 10, 10
	s_and_b64 vcc, exec, s[2:3]
	v_mov_b32_e32 v2, v3
	v_mov_b32_e32 v1, v3
	;; [unrolled: 1-line block ×3, first 2 shown]
	s_cbranch_vccnz .LBB308_10
; %bb.4:
	s_load_dwordx2 s[2:3], s[0:1], 0x10
	s_load_dword s14, s[0:1], 0x18
	s_load_dwordx4 s[20:23], s[0:1], 0x20
	s_load_dword s16, s[0:1], 0x30
	v_lshl_add_u32 v1, v9, 4, v8
	v_and_b32_e32 v4, 31, v1
	s_waitcnt lgkmcnt(0)
	s_ashr_i32 s15, s14, 31
	v_lshrrev_b32_e32 v11, 5, v1
	s_ashr_i32 s17, s16, 31
	s_add_u32 s22, s22, s6
	s_addc_u32 s23, s23, s7
	v_lshrrev_b32_e32 v2, 3, v1
	v_or_b32_e32 v1, s4, v4
	s_add_u32 s2, s2, s6
	v_and_b32_e32 v10, 7, v8
	s_addc_u32 s3, s3, s7
	v_cmp_gt_i32_e32 vcc, s8, v1
	v_lshlrev_b32_e32 v1, 2, v4
	s_load_dwordx2 s[6:7], s[2:3], 0x0
	v_lshl_or_b32 v12, v11, 7, v1
	v_lshlrev_b32_e32 v1, 2, v10
	s_load_dwordx2 s[24:25], s[0:1], 0x38
	v_add_u32_e32 v0, s11, v2
	v_lshl_or_b32 v1, v2, 5, v1
	v_mov_b32_e32 v2, 0x400
	v_lshl_add_u32 v15, v9, 5, v2
	v_mad_i64_i32 v[2:3], s[26:27], v11, s14, 0
	s_lshl_b64 s[20:21], s[20:21], 2
	v_add_u32_e32 v4, s4, v4
	v_lshl_add_u64 v[2:3], v[2:3], 2, s[20:21]
	v_ashrrev_i32_e32 v5, 31, v4
	s_load_dwordx2 s[22:23], s[22:23], 0x0
	v_lshl_add_u64 v[2:3], v[4:5], 2, v[2:3]
	s_waitcnt lgkmcnt(0)
	v_lshl_add_u64 v[4:5], s[6:7], 0, v[2:3]
	v_mad_i64_i32 v[2:3], s[6:7], s16, v10, 0
	s_lshl_b64 s[6:7], s[24:25], 2
	v_add_u32_e32 v13, 0x400, v1
	v_ashrrev_i32_e32 v1, 31, v0
	v_lshl_add_u64 v[2:3], v[2:3], 2, s[6:7]
	v_cmp_gt_i32_e64 s[2:3], s8, v0
	v_lshl_add_u64 v[0:1], v[0:1], 2, v[2:3]
	v_lshl_add_u64 v[6:7], s[22:23], 0, v[0:1]
	v_mov_b32_e32 v0, 0
	v_lshlrev_b32_e32 v14, 2, v8
	s_lshl_b64 s[14:15], s[14:15], 5
	s_lshl_b64 s[16:17], s[16:17], 5
	v_mov_b32_e32 v1, v0
	v_mov_b32_e32 v2, v0
	;; [unrolled: 1-line block ×3, first 2 shown]
	s_branch .LBB308_6
.LBB308_5:                              ;   in Loop: Header=BB308_6 Depth=1
	s_or_b64 exec, exec, s[6:7]
	s_waitcnt vmcnt(0) lgkmcnt(0)
	ds_write_b32 v13, v16
	s_waitcnt lgkmcnt(0)
	s_barrier
	ds_read_b128 v[16:19], v15
	ds_read_b128 v[20:23], v15 offset:16
	ds_read2_b32 v[32:33], v14 offset1:16
	ds_read2_b32 v[34:35], v14 offset0:32 offset1:48
	ds_read2_b32 v[36:37], v14 offset0:64 offset1:80
	;; [unrolled: 1-line block ×4, first 2 shown]
	ds_read_b128 v[24:27], v15 offset:512
	ds_read_b128 v[28:31], v15 offset:528
	ds_read2_b32 v[42:43], v14 offset0:160 offset1:176
	ds_read2_b32 v[44:45], v14 offset0:192 offset1:208
	;; [unrolled: 1-line block ×3, first 2 shown]
	s_waitcnt lgkmcnt(9)
	v_pk_fma_f32 v[2:3], v[32:33], v[16:17], v[2:3] op_sel_hi:[1,0,1]
	s_waitcnt lgkmcnt(4)
	v_pk_fma_f32 v[0:1], v[32:33], v[24:25], v[0:1] op_sel_hi:[1,0,1]
	v_pk_fma_f32 v[2:3], v[34:35], v[16:17], v[2:3] op_sel:[0,1,0]
	v_mov_b32_e32 v16, v19
	v_pk_fma_f32 v[2:3], v[36:37], v[18:19], v[2:3] op_sel_hi:[1,0,1]
	v_pk_fma_f32 v[0:1], v[34:35], v[24:25], v[0:1] op_sel:[0,1,0]
	v_pk_fma_f32 v[2:3], v[38:39], v[16:17], v[2:3] op_sel_hi:[1,0,1]
	v_mov_b32_e32 v16, v23
	v_pk_fma_f32 v[2:3], v[40:41], v[20:21], v[2:3] op_sel_hi:[1,0,1]
	v_pk_fma_f32 v[0:1], v[36:37], v[26:27], v[0:1] op_sel_hi:[1,0,1]
	s_waitcnt lgkmcnt(2)
	v_pk_fma_f32 v[2:3], v[42:43], v[20:21], v[2:3] op_sel:[0,1,0]
	s_add_i32 s5, s5, 8
	s_waitcnt lgkmcnt(1)
	v_pk_fma_f32 v[2:3], v[44:45], v[22:23], v[2:3] op_sel_hi:[1,0,1]
	v_lshl_add_u64 v[4:5], v[4:5], 0, s[14:15]
	s_waitcnt lgkmcnt(0)
	v_pk_fma_f32 v[2:3], v[46:47], v[16:17], v[2:3] op_sel_hi:[1,0,1]
	v_mov_b32_e32 v16, v27
	v_pk_fma_f32 v[0:1], v[38:39], v[16:17], v[0:1] op_sel_hi:[1,0,1]
	v_mov_b32_e32 v16, v31
	v_pk_fma_f32 v[0:1], v[40:41], v[28:29], v[0:1] op_sel_hi:[1,0,1]
	s_cmp_lt_i32 s5, s9
	v_pk_fma_f32 v[0:1], v[42:43], v[28:29], v[0:1] op_sel:[0,1,0]
	v_lshl_add_u64 v[6:7], v[6:7], 0, s[16:17]
	v_pk_fma_f32 v[0:1], v[44:45], v[30:31], v[0:1] op_sel_hi:[1,0,1]
	s_nop 0
	v_pk_fma_f32 v[0:1], v[46:47], v[16:17], v[0:1] op_sel_hi:[1,0,1]
	s_barrier
	s_cbranch_scc0 .LBB308_10
.LBB308_6:                              ; =>This Inner Loop Header: Depth=1
	v_add_u32_e32 v16, s5, v11
	v_cmp_gt_i32_e64 s[6:7], s9, v16
	s_and_b64 s[20:21], vcc, s[6:7]
	v_mov_b32_e32 v16, 0
	s_and_saveexec_b64 s[6:7], s[20:21]
	s_cbranch_execz .LBB308_8
; %bb.7:                                ;   in Loop: Header=BB308_6 Depth=1
	flat_load_dword v16, v[4:5]
.LBB308_8:                              ;   in Loop: Header=BB308_6 Depth=1
	s_or_b64 exec, exec, s[6:7]
	s_waitcnt vmcnt(0) lgkmcnt(0)
	ds_write_b32 v12, v16
	v_add_u32_e32 v16, s5, v10
	v_cmp_gt_i32_e64 s[6:7], s9, v16
	s_and_b64 s[20:21], s[6:7], s[2:3]
	v_mov_b32_e32 v16, 0
	s_and_saveexec_b64 s[6:7], s[20:21]
	s_cbranch_execz .LBB308_5
; %bb.9:                                ;   in Loop: Header=BB308_6 Depth=1
	flat_load_dword v16, v[6:7]
	s_branch .LBB308_5
.LBB308_10:
	s_load_dwordx2 s[6:7], s[0:1], 0x58
	s_load_dword s9, s[0:1], 0x50
	v_add_u32_e32 v4, s4, v8
	v_add_u32_e32 v10, s11, v9
	v_cmp_gt_i32_e64 s[2:3], s8, v10
	s_waitcnt lgkmcnt(0)
	s_lshl_b64 s[0:1], s[6:7], 2
	s_add_u32 s4, s12, s0
	s_addc_u32 s5, s13, s1
	v_mad_i64_i32 v[6:7], s[0:1], v10, s9, 0
	v_cmp_neq_f32_e64 s[0:1], s18, 0
	v_lshl_add_u64 v[8:9], v[6:7], 2, s[4:5]
	v_cmp_le_i32_e32 vcc, v4, v10
	v_cndmask_b32_e64 v6, 0, 1, s[0:1]
	s_and_b64 s[12:13], s[2:3], vcc
	v_ashrrev_i32_e32 v5, 31, v4
	v_cmp_ne_u32_e64 s[0:1], 1, v6
	s_and_saveexec_b64 s[6:7], s[12:13]
	s_cbranch_execz .LBB308_14
; %bb.11:
	v_mul_f32_e32 v2, s10, v2
	s_and_b64 vcc, exec, s[0:1]
	v_lshl_add_u64 v[6:7], v[4:5], 2, v[8:9]
	s_cbranch_vccnz .LBB308_13
; %bb.12:
	flat_load_dword v11, v[6:7]
	s_waitcnt vmcnt(0) lgkmcnt(0)
	v_fmac_f32_e32 v2, s18, v11
.LBB308_13:
	flat_store_dword v[6:7], v2
.LBB308_14:
	s_or_b64 exec, exec, s[6:7]
	v_add_u32_e32 v6, 16, v4
	v_cmp_le_i32_e32 vcc, v6, v10
	s_and_b64 s[6:7], s[2:3], vcc
	v_ashrrev_i32_e32 v7, 31, v6
	s_and_saveexec_b64 s[2:3], s[6:7]
	s_cbranch_execz .LBB308_18
; %bb.15:
	v_mul_f32_e32 v11, s10, v3
	s_and_b64 vcc, exec, s[0:1]
	v_lshl_add_u64 v[2:3], v[6:7], 2, v[8:9]
	s_cbranch_vccnz .LBB308_17
; %bb.16:
	flat_load_dword v8, v[2:3]
	s_waitcnt vmcnt(0) lgkmcnt(0)
	v_fmac_f32_e32 v11, s18, v8
.LBB308_17:
	flat_store_dword v[2:3], v11
.LBB308_18:
	s_or_b64 exec, exec, s[2:3]
	v_add_u32_e32 v8, 16, v10
	v_cmp_gt_i32_e64 s[2:3], s8, v8
	v_mad_i64_i32 v[2:3], s[6:7], v8, s9, 0
	v_cmp_le_i32_e32 vcc, v4, v8
	v_lshl_add_u64 v[2:3], v[2:3], 2, s[4:5]
	s_and_b64 s[6:7], s[2:3], vcc
	s_and_saveexec_b64 s[4:5], s[6:7]
	s_cbranch_execz .LBB308_22
; %bb.19:
	v_mul_f32_e32 v0, s10, v0
	s_and_b64 vcc, exec, s[0:1]
	v_lshl_add_u64 v[4:5], v[4:5], 2, v[2:3]
	s_cbranch_vccnz .LBB308_21
; %bb.20:
	flat_load_dword v9, v[4:5]
	s_waitcnt vmcnt(0) lgkmcnt(0)
	v_fmac_f32_e32 v0, s18, v9
.LBB308_21:
	flat_store_dword v[4:5], v0
.LBB308_22:
	s_or_b64 exec, exec, s[4:5]
	v_cmp_le_i32_e32 vcc, v6, v8
	s_and_b64 s[2:3], s[2:3], vcc
	s_and_saveexec_b64 s[4:5], s[2:3]
	s_cbranch_execz .LBB308_26
; %bb.23:
	v_mul_f32_e32 v4, s10, v1
	s_and_b64 vcc, exec, s[0:1]
	v_lshl_add_u64 v[0:1], v[6:7], 2, v[2:3]
	s_cbranch_vccnz .LBB308_25
; %bb.24:
	flat_load_dword v2, v[0:1]
	s_waitcnt vmcnt(0) lgkmcnt(0)
	v_fmac_f32_e32 v4, s18, v2
.LBB308_25:
	flat_store_dword v[0:1], v4
.LBB308_26:
	s_endpgm
	.section	.rodata,"a",@progbits
	.p2align	6, 0x0
	.amdhsa_kernel _ZL29rocblas_internal_gemmt_kernelIiLi16ELi32ELi8ELc78ELc67ELc85ELb0ELb0EffPKPKfPKPfEviT_T9_T10_S7_lS9_S7_lS8_T11_S7_li
		.amdhsa_group_segment_fixed_size 2048
		.amdhsa_private_segment_fixed_size 0
		.amdhsa_kernarg_size 100
		.amdhsa_user_sgpr_count 2
		.amdhsa_user_sgpr_dispatch_ptr 0
		.amdhsa_user_sgpr_queue_ptr 0
		.amdhsa_user_sgpr_kernarg_segment_ptr 1
		.amdhsa_user_sgpr_dispatch_id 0
		.amdhsa_user_sgpr_kernarg_preload_length 0
		.amdhsa_user_sgpr_kernarg_preload_offset 0
		.amdhsa_user_sgpr_private_segment_size 0
		.amdhsa_uses_dynamic_stack 0
		.amdhsa_enable_private_segment 0
		.amdhsa_system_sgpr_workgroup_id_x 1
		.amdhsa_system_sgpr_workgroup_id_y 1
		.amdhsa_system_sgpr_workgroup_id_z 1
		.amdhsa_system_sgpr_workgroup_info 0
		.amdhsa_system_vgpr_workitem_id 1
		.amdhsa_next_free_vgpr 48
		.amdhsa_next_free_sgpr 28
		.amdhsa_accum_offset 48
		.amdhsa_reserve_vcc 1
		.amdhsa_float_round_mode_32 0
		.amdhsa_float_round_mode_16_64 0
		.amdhsa_float_denorm_mode_32 3
		.amdhsa_float_denorm_mode_16_64 3
		.amdhsa_dx10_clamp 1
		.amdhsa_ieee_mode 1
		.amdhsa_fp16_overflow 0
		.amdhsa_tg_split 0
		.amdhsa_exception_fp_ieee_invalid_op 0
		.amdhsa_exception_fp_denorm_src 0
		.amdhsa_exception_fp_ieee_div_zero 0
		.amdhsa_exception_fp_ieee_overflow 0
		.amdhsa_exception_fp_ieee_underflow 0
		.amdhsa_exception_fp_ieee_inexact 0
		.amdhsa_exception_int_div_zero 0
	.end_amdhsa_kernel
	.section	.text._ZL29rocblas_internal_gemmt_kernelIiLi16ELi32ELi8ELc78ELc67ELc85ELb0ELb0EffPKPKfPKPfEviT_T9_T10_S7_lS9_S7_lS8_T11_S7_li,"axG",@progbits,_ZL29rocblas_internal_gemmt_kernelIiLi16ELi32ELi8ELc78ELc67ELc85ELb0ELb0EffPKPKfPKPfEviT_T9_T10_S7_lS9_S7_lS8_T11_S7_li,comdat
.Lfunc_end308:
	.size	_ZL29rocblas_internal_gemmt_kernelIiLi16ELi32ELi8ELc78ELc67ELc85ELb0ELb0EffPKPKfPKPfEviT_T9_T10_S7_lS9_S7_lS8_T11_S7_li, .Lfunc_end308-_ZL29rocblas_internal_gemmt_kernelIiLi16ELi32ELi8ELc78ELc67ELc85ELb0ELb0EffPKPKfPKPfEviT_T9_T10_S7_lS9_S7_lS8_T11_S7_li
                                        ; -- End function
	.set _ZL29rocblas_internal_gemmt_kernelIiLi16ELi32ELi8ELc78ELc67ELc85ELb0ELb0EffPKPKfPKPfEviT_T9_T10_S7_lS9_S7_lS8_T11_S7_li.num_vgpr, 48
	.set _ZL29rocblas_internal_gemmt_kernelIiLi16ELi32ELi8ELc78ELc67ELc85ELb0ELb0EffPKPKfPKPfEviT_T9_T10_S7_lS9_S7_lS8_T11_S7_li.num_agpr, 0
	.set _ZL29rocblas_internal_gemmt_kernelIiLi16ELi32ELi8ELc78ELc67ELc85ELb0ELb0EffPKPKfPKPfEviT_T9_T10_S7_lS9_S7_lS8_T11_S7_li.numbered_sgpr, 28
	.set _ZL29rocblas_internal_gemmt_kernelIiLi16ELi32ELi8ELc78ELc67ELc85ELb0ELb0EffPKPKfPKPfEviT_T9_T10_S7_lS9_S7_lS8_T11_S7_li.num_named_barrier, 0
	.set _ZL29rocblas_internal_gemmt_kernelIiLi16ELi32ELi8ELc78ELc67ELc85ELb0ELb0EffPKPKfPKPfEviT_T9_T10_S7_lS9_S7_lS8_T11_S7_li.private_seg_size, 0
	.set _ZL29rocblas_internal_gemmt_kernelIiLi16ELi32ELi8ELc78ELc67ELc85ELb0ELb0EffPKPKfPKPfEviT_T9_T10_S7_lS9_S7_lS8_T11_S7_li.uses_vcc, 1
	.set _ZL29rocblas_internal_gemmt_kernelIiLi16ELi32ELi8ELc78ELc67ELc85ELb0ELb0EffPKPKfPKPfEviT_T9_T10_S7_lS9_S7_lS8_T11_S7_li.uses_flat_scratch, 0
	.set _ZL29rocblas_internal_gemmt_kernelIiLi16ELi32ELi8ELc78ELc67ELc85ELb0ELb0EffPKPKfPKPfEviT_T9_T10_S7_lS9_S7_lS8_T11_S7_li.has_dyn_sized_stack, 0
	.set _ZL29rocblas_internal_gemmt_kernelIiLi16ELi32ELi8ELc78ELc67ELc85ELb0ELb0EffPKPKfPKPfEviT_T9_T10_S7_lS9_S7_lS8_T11_S7_li.has_recursion, 0
	.set _ZL29rocblas_internal_gemmt_kernelIiLi16ELi32ELi8ELc78ELc67ELc85ELb0ELb0EffPKPKfPKPfEviT_T9_T10_S7_lS9_S7_lS8_T11_S7_li.has_indirect_call, 0
	.section	.AMDGPU.csdata,"",@progbits
; Kernel info:
; codeLenInByte = 1260
; TotalNumSgprs: 34
; NumVgprs: 48
; NumAgprs: 0
; TotalNumVgprs: 48
; ScratchSize: 0
; MemoryBound: 0
; FloatMode: 240
; IeeeMode: 1
; LDSByteSize: 2048 bytes/workgroup (compile time only)
; SGPRBlocks: 4
; VGPRBlocks: 5
; NumSGPRsForWavesPerEU: 34
; NumVGPRsForWavesPerEU: 48
; AccumOffset: 48
; Occupancy: 8
; WaveLimiterHint : 1
; COMPUTE_PGM_RSRC2:SCRATCH_EN: 0
; COMPUTE_PGM_RSRC2:USER_SGPR: 2
; COMPUTE_PGM_RSRC2:TRAP_HANDLER: 0
; COMPUTE_PGM_RSRC2:TGID_X_EN: 1
; COMPUTE_PGM_RSRC2:TGID_Y_EN: 1
; COMPUTE_PGM_RSRC2:TGID_Z_EN: 1
; COMPUTE_PGM_RSRC2:TIDIG_COMP_CNT: 1
; COMPUTE_PGM_RSRC3_GFX90A:ACCUM_OFFSET: 11
; COMPUTE_PGM_RSRC3_GFX90A:TG_SPLIT: 0
	.section	.text._ZL29rocblas_internal_gemmt_kernelIiLi16ELi32ELi8ELc84ELc78ELc85ELb0ELb0EffPKPKfPKPfEviT_T9_T10_S7_lS9_S7_lS8_T11_S7_li,"axG",@progbits,_ZL29rocblas_internal_gemmt_kernelIiLi16ELi32ELi8ELc84ELc78ELc85ELb0ELb0EffPKPKfPKPfEviT_T9_T10_S7_lS9_S7_lS8_T11_S7_li,comdat
	.globl	_ZL29rocblas_internal_gemmt_kernelIiLi16ELi32ELi8ELc84ELc78ELc85ELb0ELb0EffPKPKfPKPfEviT_T9_T10_S7_lS9_S7_lS8_T11_S7_li ; -- Begin function _ZL29rocblas_internal_gemmt_kernelIiLi16ELi32ELi8ELc84ELc78ELc85ELb0ELb0EffPKPKfPKPfEviT_T9_T10_S7_lS9_S7_lS8_T11_S7_li
	.p2align	8
	.type	_ZL29rocblas_internal_gemmt_kernelIiLi16ELi32ELi8ELc84ELc78ELc85ELb0ELb0EffPKPKfPKPfEviT_T9_T10_S7_lS9_S7_lS8_T11_S7_li,@function
_ZL29rocblas_internal_gemmt_kernelIiLi16ELi32ELi8ELc84ELc78ELc85ELb0ELb0EffPKPKfPKPfEviT_T9_T10_S7_lS9_S7_lS8_T11_S7_li: ; @_ZL29rocblas_internal_gemmt_kernelIiLi16ELi32ELi8ELc84ELc78ELc85ELb0ELb0EffPKPKfPKPfEviT_T9_T10_S7_lS9_S7_lS8_T11_S7_li
; %bb.0:
	s_load_dword s14, s[0:1], 0x40
	s_load_dwordx4 s[8:11], s[0:1], 0x0
	s_waitcnt lgkmcnt(0)
	v_cmp_neq_f32_e64 s[6:7], s14, 1.0
	s_and_b64 vcc, exec, s[6:7]
	s_cbranch_vccnz .LBB309_2
; %bb.1:
	s_cmp_lg_u32 s9, 0
	s_cselect_b64 s[6:7], -1, 0
	v_cmp_neq_f32_e64 s[12:13], s10, 0
	s_and_b64 s[6:7], s[6:7], s[12:13]
.LBB309_2:
	s_andn2_b64 vcc, exec, s[6:7]
	s_cbranch_vccnz .LBB309_26
; %bb.3:
	s_load_dwordx2 s[12:13], s[0:1], 0x48
	s_mov_b32 s5, 0
	s_lshl_b64 s[6:7], s[4:5], 3
	v_mov_b32_e32 v3, 0
	v_and_b32_e32 v8, 0x3ff, v0
	s_waitcnt lgkmcnt(0)
	s_add_u32 s12, s12, s6
	s_addc_u32 s13, s13, s7
	s_load_dwordx2 s[12:13], s[12:13], 0x0
	s_lshl_b32 s4, s2, 5
	s_lshl_b32 s11, s3, 5
	s_cmp_lt_i32 s9, 1
	v_cmp_eq_f32_e64 s[2:3], s10, 0
	s_cselect_b64 s[16:17], -1, 0
	s_or_b64 s[2:3], s[2:3], s[16:17]
	v_bfe_u32 v9, v0, 10, 10
	s_and_b64 vcc, exec, s[2:3]
	v_mov_b32_e32 v2, v3
	v_mov_b32_e32 v1, v3
	;; [unrolled: 1-line block ×3, first 2 shown]
	s_cbranch_vccnz .LBB309_10
; %bb.4:
	s_load_dwordx2 s[2:3], s[0:1], 0x10
	s_load_dword s15, s[0:1], 0x18
	s_load_dwordx4 s[16:19], s[0:1], 0x20
	s_load_dword s24, s[0:1], 0x30
	s_load_dwordx2 s[20:21], s[0:1], 0x38
	v_lshl_add_u32 v0, v9, 4, v8
	v_lshrrev_b32_e32 v11, 5, v0
	v_lshrrev_b32_e32 v1, 3, v0
	v_and_b32_e32 v0, 31, v0
	s_waitcnt lgkmcnt(0)
	s_add_u32 s18, s18, s6
	v_or_b32_e32 v2, s4, v0
	s_addc_u32 s19, s19, s7
	v_and_b32_e32 v10, 7, v8
	s_add_u32 s2, s2, s6
	v_cmp_gt_i32_e32 vcc, s8, v2
	v_lshlrev_b32_e32 v2, 2, v0
	s_addc_u32 s3, s3, s7
	v_lshl_or_b32 v12, v11, 7, v2
	v_lshlrev_b32_e32 v2, 2, v10
	v_add_u32_e32 v3, s11, v1
	s_load_dwordx2 s[6:7], s[2:3], 0x0
	v_lshl_or_b32 v1, v1, 5, v2
	v_add_u32_e32 v13, 0x400, v1
	v_mov_b32_e32 v1, 0x400
	v_add_u32_e32 v0, s4, v0
	v_lshl_add_u32 v15, v9, 5, v1
	v_mad_i64_i32 v[0:1], s[22:23], s15, v0, 0
	s_lshl_b64 s[16:17], s[16:17], 2
	v_lshl_add_u64 v[4:5], v[0:1], 2, s[16:17]
	v_lshlrev_b32_e32 v0, 2, v11
	v_mov_b32_e32 v1, 0
	s_load_dwordx2 s[18:19], s[18:19], 0x0
	v_lshl_add_u64 v[4:5], v[4:5], 0, v[0:1]
	s_waitcnt lgkmcnt(0)
	v_lshl_add_u64 v[4:5], s[6:7], 0, v[4:5]
	v_mad_i64_i32 v[6:7], s[6:7], s24, v3, 0
	s_lshl_b64 s[6:7], s[20:21], 2
	v_cmp_gt_i32_e64 s[2:3], s8, v3
	v_lshl_add_u64 v[6:7], v[6:7], 2, s[6:7]
	v_mov_b32_e32 v3, v1
	v_lshl_add_u64 v[2:3], v[6:7], 0, v[2:3]
	v_lshlrev_b32_e32 v14, 2, v8
	v_lshl_add_u64 v[6:7], s[18:19], 0, v[2:3]
	v_mov_b32_e32 v0, v1
	v_mov_b32_e32 v2, v1
	v_mov_b32_e32 v3, v1
	s_branch .LBB309_6
.LBB309_5:                              ;   in Loop: Header=BB309_6 Depth=1
	s_or_b64 exec, exec, s[6:7]
	s_waitcnt vmcnt(0) lgkmcnt(0)
	ds_write_b32 v13, v16
	s_waitcnt lgkmcnt(0)
	s_barrier
	ds_read_b128 v[16:19], v15
	ds_read_b128 v[20:23], v15 offset:16
	ds_read2_b32 v[32:33], v14 offset1:16
	ds_read2_b32 v[34:35], v14 offset0:32 offset1:48
	ds_read2_b32 v[36:37], v14 offset0:64 offset1:80
	;; [unrolled: 1-line block ×4, first 2 shown]
	ds_read_b128 v[24:27], v15 offset:512
	ds_read_b128 v[28:31], v15 offset:528
	ds_read2_b32 v[42:43], v14 offset0:160 offset1:176
	ds_read2_b32 v[44:45], v14 offset0:192 offset1:208
	ds_read2_b32 v[46:47], v14 offset0:224 offset1:240
	s_waitcnt lgkmcnt(9)
	v_pk_fma_f32 v[2:3], v[32:33], v[16:17], v[2:3] op_sel_hi:[1,0,1]
	s_waitcnt lgkmcnt(4)
	v_pk_fma_f32 v[0:1], v[32:33], v[24:25], v[0:1] op_sel_hi:[1,0,1]
	v_pk_fma_f32 v[2:3], v[34:35], v[16:17], v[2:3] op_sel:[0,1,0]
	v_mov_b32_e32 v16, v19
	v_pk_fma_f32 v[2:3], v[36:37], v[18:19], v[2:3] op_sel_hi:[1,0,1]
	v_pk_fma_f32 v[0:1], v[34:35], v[24:25], v[0:1] op_sel:[0,1,0]
	v_pk_fma_f32 v[2:3], v[38:39], v[16:17], v[2:3] op_sel_hi:[1,0,1]
	v_mov_b32_e32 v16, v23
	v_pk_fma_f32 v[2:3], v[40:41], v[20:21], v[2:3] op_sel_hi:[1,0,1]
	v_pk_fma_f32 v[0:1], v[36:37], v[26:27], v[0:1] op_sel_hi:[1,0,1]
	s_waitcnt lgkmcnt(2)
	v_pk_fma_f32 v[2:3], v[42:43], v[20:21], v[2:3] op_sel:[0,1,0]
	s_add_i32 s5, s5, 8
	s_waitcnt lgkmcnt(1)
	v_pk_fma_f32 v[2:3], v[44:45], v[22:23], v[2:3] op_sel_hi:[1,0,1]
	v_lshl_add_u64 v[4:5], v[4:5], 0, 32
	s_waitcnt lgkmcnt(0)
	v_pk_fma_f32 v[2:3], v[46:47], v[16:17], v[2:3] op_sel_hi:[1,0,1]
	v_mov_b32_e32 v16, v27
	v_pk_fma_f32 v[0:1], v[38:39], v[16:17], v[0:1] op_sel_hi:[1,0,1]
	v_mov_b32_e32 v16, v31
	v_pk_fma_f32 v[0:1], v[40:41], v[28:29], v[0:1] op_sel_hi:[1,0,1]
	s_cmp_lt_i32 s5, s9
	v_pk_fma_f32 v[0:1], v[42:43], v[28:29], v[0:1] op_sel:[0,1,0]
	v_lshl_add_u64 v[6:7], v[6:7], 0, 32
	v_pk_fma_f32 v[0:1], v[44:45], v[30:31], v[0:1] op_sel_hi:[1,0,1]
	s_nop 0
	v_pk_fma_f32 v[0:1], v[46:47], v[16:17], v[0:1] op_sel_hi:[1,0,1]
	s_barrier
	s_cbranch_scc0 .LBB309_10
.LBB309_6:                              ; =>This Inner Loop Header: Depth=1
	v_add_u32_e32 v16, s5, v11
	v_cmp_gt_i32_e64 s[6:7], s9, v16
	s_and_b64 s[16:17], vcc, s[6:7]
	v_mov_b32_e32 v16, 0
	s_and_saveexec_b64 s[6:7], s[16:17]
	s_cbranch_execz .LBB309_8
; %bb.7:                                ;   in Loop: Header=BB309_6 Depth=1
	flat_load_dword v16, v[4:5]
.LBB309_8:                              ;   in Loop: Header=BB309_6 Depth=1
	s_or_b64 exec, exec, s[6:7]
	s_waitcnt vmcnt(0) lgkmcnt(0)
	ds_write_b32 v12, v16
	v_add_u32_e32 v16, s5, v10
	v_cmp_gt_i32_e64 s[6:7], s9, v16
	s_and_b64 s[16:17], s[6:7], s[2:3]
	v_mov_b32_e32 v16, 0
	s_and_saveexec_b64 s[6:7], s[16:17]
	s_cbranch_execz .LBB309_5
; %bb.9:                                ;   in Loop: Header=BB309_6 Depth=1
	flat_load_dword v16, v[6:7]
	s_branch .LBB309_5
.LBB309_10:
	s_load_dwordx2 s[6:7], s[0:1], 0x58
	s_load_dword s9, s[0:1], 0x50
	v_add_u32_e32 v4, s4, v8
	v_add_u32_e32 v10, s11, v9
	v_cmp_gt_i32_e64 s[2:3], s8, v10
	s_waitcnt lgkmcnt(0)
	s_lshl_b64 s[0:1], s[6:7], 2
	s_add_u32 s4, s12, s0
	s_addc_u32 s5, s13, s1
	v_mad_i64_i32 v[6:7], s[0:1], v10, s9, 0
	v_cmp_neq_f32_e64 s[0:1], s14, 0
	v_lshl_add_u64 v[8:9], v[6:7], 2, s[4:5]
	v_cmp_le_i32_e32 vcc, v4, v10
	v_cndmask_b32_e64 v6, 0, 1, s[0:1]
	s_and_b64 s[12:13], s[2:3], vcc
	v_ashrrev_i32_e32 v5, 31, v4
	v_cmp_ne_u32_e64 s[0:1], 1, v6
	s_and_saveexec_b64 s[6:7], s[12:13]
	s_cbranch_execz .LBB309_14
; %bb.11:
	v_mul_f32_e32 v2, s10, v2
	s_and_b64 vcc, exec, s[0:1]
	v_lshl_add_u64 v[6:7], v[4:5], 2, v[8:9]
	s_cbranch_vccnz .LBB309_13
; %bb.12:
	flat_load_dword v11, v[6:7]
	s_waitcnt vmcnt(0) lgkmcnt(0)
	v_fmac_f32_e32 v2, s14, v11
.LBB309_13:
	flat_store_dword v[6:7], v2
.LBB309_14:
	s_or_b64 exec, exec, s[6:7]
	v_add_u32_e32 v6, 16, v4
	v_cmp_le_i32_e32 vcc, v6, v10
	s_and_b64 s[6:7], s[2:3], vcc
	v_ashrrev_i32_e32 v7, 31, v6
	s_and_saveexec_b64 s[2:3], s[6:7]
	s_cbranch_execz .LBB309_18
; %bb.15:
	v_mul_f32_e32 v11, s10, v3
	s_and_b64 vcc, exec, s[0:1]
	v_lshl_add_u64 v[2:3], v[6:7], 2, v[8:9]
	s_cbranch_vccnz .LBB309_17
; %bb.16:
	flat_load_dword v8, v[2:3]
	s_waitcnt vmcnt(0) lgkmcnt(0)
	v_fmac_f32_e32 v11, s14, v8
.LBB309_17:
	flat_store_dword v[2:3], v11
.LBB309_18:
	s_or_b64 exec, exec, s[2:3]
	v_add_u32_e32 v8, 16, v10
	v_cmp_gt_i32_e64 s[2:3], s8, v8
	v_mad_i64_i32 v[2:3], s[6:7], v8, s9, 0
	v_cmp_le_i32_e32 vcc, v4, v8
	v_lshl_add_u64 v[2:3], v[2:3], 2, s[4:5]
	s_and_b64 s[6:7], s[2:3], vcc
	s_and_saveexec_b64 s[4:5], s[6:7]
	s_cbranch_execz .LBB309_22
; %bb.19:
	v_mul_f32_e32 v0, s10, v0
	s_and_b64 vcc, exec, s[0:1]
	v_lshl_add_u64 v[4:5], v[4:5], 2, v[2:3]
	s_cbranch_vccnz .LBB309_21
; %bb.20:
	flat_load_dword v9, v[4:5]
	s_waitcnt vmcnt(0) lgkmcnt(0)
	v_fmac_f32_e32 v0, s14, v9
.LBB309_21:
	flat_store_dword v[4:5], v0
.LBB309_22:
	s_or_b64 exec, exec, s[4:5]
	v_cmp_le_i32_e32 vcc, v6, v8
	s_and_b64 s[2:3], s[2:3], vcc
	s_and_saveexec_b64 s[4:5], s[2:3]
	s_cbranch_execz .LBB309_26
; %bb.23:
	v_mul_f32_e32 v4, s10, v1
	s_and_b64 vcc, exec, s[0:1]
	v_lshl_add_u64 v[0:1], v[6:7], 2, v[2:3]
	s_cbranch_vccnz .LBB309_25
; %bb.24:
	flat_load_dword v2, v[0:1]
	s_waitcnt vmcnt(0) lgkmcnt(0)
	v_fmac_f32_e32 v4, s14, v2
.LBB309_25:
	flat_store_dword v[0:1], v4
.LBB309_26:
	s_endpgm
	.section	.rodata,"a",@progbits
	.p2align	6, 0x0
	.amdhsa_kernel _ZL29rocblas_internal_gemmt_kernelIiLi16ELi32ELi8ELc84ELc78ELc85ELb0ELb0EffPKPKfPKPfEviT_T9_T10_S7_lS9_S7_lS8_T11_S7_li
		.amdhsa_group_segment_fixed_size 2048
		.amdhsa_private_segment_fixed_size 0
		.amdhsa_kernarg_size 100
		.amdhsa_user_sgpr_count 2
		.amdhsa_user_sgpr_dispatch_ptr 0
		.amdhsa_user_sgpr_queue_ptr 0
		.amdhsa_user_sgpr_kernarg_segment_ptr 1
		.amdhsa_user_sgpr_dispatch_id 0
		.amdhsa_user_sgpr_kernarg_preload_length 0
		.amdhsa_user_sgpr_kernarg_preload_offset 0
		.amdhsa_user_sgpr_private_segment_size 0
		.amdhsa_uses_dynamic_stack 0
		.amdhsa_enable_private_segment 0
		.amdhsa_system_sgpr_workgroup_id_x 1
		.amdhsa_system_sgpr_workgroup_id_y 1
		.amdhsa_system_sgpr_workgroup_id_z 1
		.amdhsa_system_sgpr_workgroup_info 0
		.amdhsa_system_vgpr_workitem_id 1
		.amdhsa_next_free_vgpr 48
		.amdhsa_next_free_sgpr 25
		.amdhsa_accum_offset 48
		.amdhsa_reserve_vcc 1
		.amdhsa_float_round_mode_32 0
		.amdhsa_float_round_mode_16_64 0
		.amdhsa_float_denorm_mode_32 3
		.amdhsa_float_denorm_mode_16_64 3
		.amdhsa_dx10_clamp 1
		.amdhsa_ieee_mode 1
		.amdhsa_fp16_overflow 0
		.amdhsa_tg_split 0
		.amdhsa_exception_fp_ieee_invalid_op 0
		.amdhsa_exception_fp_denorm_src 0
		.amdhsa_exception_fp_ieee_div_zero 0
		.amdhsa_exception_fp_ieee_overflow 0
		.amdhsa_exception_fp_ieee_underflow 0
		.amdhsa_exception_fp_ieee_inexact 0
		.amdhsa_exception_int_div_zero 0
	.end_amdhsa_kernel
	.section	.text._ZL29rocblas_internal_gemmt_kernelIiLi16ELi32ELi8ELc84ELc78ELc85ELb0ELb0EffPKPKfPKPfEviT_T9_T10_S7_lS9_S7_lS8_T11_S7_li,"axG",@progbits,_ZL29rocblas_internal_gemmt_kernelIiLi16ELi32ELi8ELc84ELc78ELc85ELb0ELb0EffPKPKfPKPfEviT_T9_T10_S7_lS9_S7_lS8_T11_S7_li,comdat
.Lfunc_end309:
	.size	_ZL29rocblas_internal_gemmt_kernelIiLi16ELi32ELi8ELc84ELc78ELc85ELb0ELb0EffPKPKfPKPfEviT_T9_T10_S7_lS9_S7_lS8_T11_S7_li, .Lfunc_end309-_ZL29rocblas_internal_gemmt_kernelIiLi16ELi32ELi8ELc84ELc78ELc85ELb0ELb0EffPKPKfPKPfEviT_T9_T10_S7_lS9_S7_lS8_T11_S7_li
                                        ; -- End function
	.set _ZL29rocblas_internal_gemmt_kernelIiLi16ELi32ELi8ELc84ELc78ELc85ELb0ELb0EffPKPKfPKPfEviT_T9_T10_S7_lS9_S7_lS8_T11_S7_li.num_vgpr, 48
	.set _ZL29rocblas_internal_gemmt_kernelIiLi16ELi32ELi8ELc84ELc78ELc85ELb0ELb0EffPKPKfPKPfEviT_T9_T10_S7_lS9_S7_lS8_T11_S7_li.num_agpr, 0
	.set _ZL29rocblas_internal_gemmt_kernelIiLi16ELi32ELi8ELc84ELc78ELc85ELb0ELb0EffPKPKfPKPfEviT_T9_T10_S7_lS9_S7_lS8_T11_S7_li.numbered_sgpr, 25
	.set _ZL29rocblas_internal_gemmt_kernelIiLi16ELi32ELi8ELc84ELc78ELc85ELb0ELb0EffPKPKfPKPfEviT_T9_T10_S7_lS9_S7_lS8_T11_S7_li.num_named_barrier, 0
	.set _ZL29rocblas_internal_gemmt_kernelIiLi16ELi32ELi8ELc84ELc78ELc85ELb0ELb0EffPKPKfPKPfEviT_T9_T10_S7_lS9_S7_lS8_T11_S7_li.private_seg_size, 0
	.set _ZL29rocblas_internal_gemmt_kernelIiLi16ELi32ELi8ELc84ELc78ELc85ELb0ELb0EffPKPKfPKPfEviT_T9_T10_S7_lS9_S7_lS8_T11_S7_li.uses_vcc, 1
	.set _ZL29rocblas_internal_gemmt_kernelIiLi16ELi32ELi8ELc84ELc78ELc85ELb0ELb0EffPKPKfPKPfEviT_T9_T10_S7_lS9_S7_lS8_T11_S7_li.uses_flat_scratch, 0
	.set _ZL29rocblas_internal_gemmt_kernelIiLi16ELi32ELi8ELc84ELc78ELc85ELb0ELb0EffPKPKfPKPfEviT_T9_T10_S7_lS9_S7_lS8_T11_S7_li.has_dyn_sized_stack, 0
	.set _ZL29rocblas_internal_gemmt_kernelIiLi16ELi32ELi8ELc84ELc78ELc85ELb0ELb0EffPKPKfPKPfEviT_T9_T10_S7_lS9_S7_lS8_T11_S7_li.has_recursion, 0
	.set _ZL29rocblas_internal_gemmt_kernelIiLi16ELi32ELi8ELc84ELc78ELc85ELb0ELb0EffPKPKfPKPfEviT_T9_T10_S7_lS9_S7_lS8_T11_S7_li.has_indirect_call, 0
	.section	.AMDGPU.csdata,"",@progbits
; Kernel info:
; codeLenInByte = 1244
; TotalNumSgprs: 31
; NumVgprs: 48
; NumAgprs: 0
; TotalNumVgprs: 48
; ScratchSize: 0
; MemoryBound: 0
; FloatMode: 240
; IeeeMode: 1
; LDSByteSize: 2048 bytes/workgroup (compile time only)
; SGPRBlocks: 3
; VGPRBlocks: 5
; NumSGPRsForWavesPerEU: 31
; NumVGPRsForWavesPerEU: 48
; AccumOffset: 48
; Occupancy: 8
; WaveLimiterHint : 1
; COMPUTE_PGM_RSRC2:SCRATCH_EN: 0
; COMPUTE_PGM_RSRC2:USER_SGPR: 2
; COMPUTE_PGM_RSRC2:TRAP_HANDLER: 0
; COMPUTE_PGM_RSRC2:TGID_X_EN: 1
; COMPUTE_PGM_RSRC2:TGID_Y_EN: 1
; COMPUTE_PGM_RSRC2:TGID_Z_EN: 1
; COMPUTE_PGM_RSRC2:TIDIG_COMP_CNT: 1
; COMPUTE_PGM_RSRC3_GFX90A:ACCUM_OFFSET: 11
; COMPUTE_PGM_RSRC3_GFX90A:TG_SPLIT: 0
	.section	.text._ZL29rocblas_internal_gemmt_kernelIiLi16ELi32ELi8ELc84ELc84ELc85ELb0ELb0EffPKPKfPKPfEviT_T9_T10_S7_lS9_S7_lS8_T11_S7_li,"axG",@progbits,_ZL29rocblas_internal_gemmt_kernelIiLi16ELi32ELi8ELc84ELc84ELc85ELb0ELb0EffPKPKfPKPfEviT_T9_T10_S7_lS9_S7_lS8_T11_S7_li,comdat
	.globl	_ZL29rocblas_internal_gemmt_kernelIiLi16ELi32ELi8ELc84ELc84ELc85ELb0ELb0EffPKPKfPKPfEviT_T9_T10_S7_lS9_S7_lS8_T11_S7_li ; -- Begin function _ZL29rocblas_internal_gemmt_kernelIiLi16ELi32ELi8ELc84ELc84ELc85ELb0ELb0EffPKPKfPKPfEviT_T9_T10_S7_lS9_S7_lS8_T11_S7_li
	.p2align	8
	.type	_ZL29rocblas_internal_gemmt_kernelIiLi16ELi32ELi8ELc84ELc84ELc85ELb0ELb0EffPKPKfPKPfEviT_T9_T10_S7_lS9_S7_lS8_T11_S7_li,@function
_ZL29rocblas_internal_gemmt_kernelIiLi16ELi32ELi8ELc84ELc84ELc85ELb0ELb0EffPKPKfPKPfEviT_T9_T10_S7_lS9_S7_lS8_T11_S7_li: ; @_ZL29rocblas_internal_gemmt_kernelIiLi16ELi32ELi8ELc84ELc84ELc85ELb0ELb0EffPKPKfPKPfEviT_T9_T10_S7_lS9_S7_lS8_T11_S7_li
; %bb.0:
	s_load_dword s16, s[0:1], 0x40
	s_load_dwordx4 s[8:11], s[0:1], 0x0
	s_waitcnt lgkmcnt(0)
	v_cmp_neq_f32_e64 s[6:7], s16, 1.0
	s_and_b64 vcc, exec, s[6:7]
	s_cbranch_vccnz .LBB310_2
; %bb.1:
	s_cmp_lg_u32 s9, 0
	s_cselect_b64 s[6:7], -1, 0
	v_cmp_neq_f32_e64 s[12:13], s10, 0
	s_and_b64 s[6:7], s[6:7], s[12:13]
.LBB310_2:
	s_andn2_b64 vcc, exec, s[6:7]
	s_cbranch_vccnz .LBB310_26
; %bb.3:
	s_load_dwordx2 s[12:13], s[0:1], 0x48
	s_mov_b32 s5, 0
	s_lshl_b64 s[6:7], s[4:5], 3
	v_mov_b32_e32 v3, 0
	v_and_b32_e32 v8, 0x3ff, v0
	s_waitcnt lgkmcnt(0)
	s_add_u32 s12, s12, s6
	s_addc_u32 s13, s13, s7
	s_load_dwordx2 s[12:13], s[12:13], 0x0
	s_lshl_b32 s4, s2, 5
	s_lshl_b32 s11, s3, 5
	s_cmp_lt_i32 s9, 1
	v_cmp_eq_f32_e64 s[2:3], s10, 0
	s_cselect_b64 s[14:15], -1, 0
	s_or_b64 s[2:3], s[2:3], s[14:15]
	v_bfe_u32 v9, v0, 10, 10
	s_and_b64 vcc, exec, s[2:3]
	v_mov_b32_e32 v2, v3
	v_mov_b32_e32 v1, v3
	;; [unrolled: 1-line block ×3, first 2 shown]
	s_cbranch_vccnz .LBB310_10
; %bb.4:
	s_load_dwordx4 s[20:23], s[0:1], 0x20
	s_load_dword s14, s[0:1], 0x30
	v_lshl_add_u32 v0, v9, 4, v8
	s_load_dwordx2 s[2:3], s[0:1], 0x10
	s_load_dword s17, s[0:1], 0x18
	s_load_dwordx2 s[18:19], s[0:1], 0x38
	v_lshrrev_b32_e32 v11, 5, v0
	v_lshrrev_b32_e32 v1, 3, v0
	s_waitcnt lgkmcnt(0)
	s_ashr_i32 s15, s14, 31
	v_and_b32_e32 v0, 31, v0
	s_add_u32 s22, s22, s6
	v_or_b32_e32 v3, s4, v0
	s_addc_u32 s23, s23, s7
	v_and_b32_e32 v10, 7, v8
	s_add_u32 s2, s2, s6
	v_cmp_gt_i32_e32 vcc, s8, v3
	v_lshlrev_b32_e32 v3, 2, v0
	s_addc_u32 s3, s3, s7
	v_lshl_or_b32 v12, v11, 7, v3
	v_lshlrev_b32_e32 v3, 2, v10
	v_add_u32_e32 v2, s11, v1
	s_load_dwordx2 s[6:7], s[2:3], 0x0
	v_lshl_or_b32 v1, v1, 5, v3
	v_add_u32_e32 v13, 0x400, v1
	v_mov_b32_e32 v1, 0x400
	v_add_u32_e32 v0, s4, v0
	v_lshl_add_u32 v15, v9, 5, v1
	v_mad_i64_i32 v[0:1], s[24:25], s17, v0, 0
	s_lshl_b64 s[20:21], s[20:21], 2
	v_lshl_add_u64 v[4:5], v[0:1], 2, s[20:21]
	v_lshlrev_b32_e32 v0, 2, v11
	v_mov_b32_e32 v1, 0
	s_load_dwordx2 s[22:23], s[22:23], 0x0
	v_lshl_add_u64 v[4:5], v[4:5], 0, v[0:1]
	s_waitcnt lgkmcnt(0)
	v_lshl_add_u64 v[4:5], s[6:7], 0, v[4:5]
	v_mad_i64_i32 v[6:7], s[6:7], s14, v10, 0
	s_lshl_b64 s[6:7], s[18:19], 2
	v_ashrrev_i32_e32 v3, 31, v2
	v_lshl_add_u64 v[6:7], v[6:7], 2, s[6:7]
	v_cmp_gt_i32_e64 s[2:3], s8, v2
	v_lshl_add_u64 v[2:3], v[2:3], 2, v[6:7]
	v_lshlrev_b32_e32 v14, 2, v8
	v_lshl_add_u64 v[6:7], s[22:23], 0, v[2:3]
	s_lshl_b64 s[14:15], s[14:15], 5
	v_mov_b32_e32 v0, v1
	v_mov_b32_e32 v2, v1
	;; [unrolled: 1-line block ×3, first 2 shown]
	s_branch .LBB310_6
.LBB310_5:                              ;   in Loop: Header=BB310_6 Depth=1
	s_or_b64 exec, exec, s[6:7]
	s_waitcnt vmcnt(0) lgkmcnt(0)
	ds_write_b32 v13, v16
	s_waitcnt lgkmcnt(0)
	s_barrier
	ds_read_b128 v[16:19], v15
	ds_read_b128 v[20:23], v15 offset:16
	ds_read2_b32 v[32:33], v14 offset1:16
	ds_read2_b32 v[34:35], v14 offset0:32 offset1:48
	ds_read2_b32 v[36:37], v14 offset0:64 offset1:80
	;; [unrolled: 1-line block ×4, first 2 shown]
	ds_read_b128 v[24:27], v15 offset:512
	ds_read_b128 v[28:31], v15 offset:528
	ds_read2_b32 v[42:43], v14 offset0:160 offset1:176
	ds_read2_b32 v[44:45], v14 offset0:192 offset1:208
	;; [unrolled: 1-line block ×3, first 2 shown]
	s_waitcnt lgkmcnt(9)
	v_pk_fma_f32 v[2:3], v[32:33], v[16:17], v[2:3] op_sel_hi:[1,0,1]
	s_waitcnt lgkmcnt(4)
	v_pk_fma_f32 v[0:1], v[32:33], v[24:25], v[0:1] op_sel_hi:[1,0,1]
	v_pk_fma_f32 v[2:3], v[34:35], v[16:17], v[2:3] op_sel:[0,1,0]
	v_mov_b32_e32 v16, v19
	v_pk_fma_f32 v[2:3], v[36:37], v[18:19], v[2:3] op_sel_hi:[1,0,1]
	v_pk_fma_f32 v[0:1], v[34:35], v[24:25], v[0:1] op_sel:[0,1,0]
	v_pk_fma_f32 v[2:3], v[38:39], v[16:17], v[2:3] op_sel_hi:[1,0,1]
	v_mov_b32_e32 v16, v23
	v_pk_fma_f32 v[2:3], v[40:41], v[20:21], v[2:3] op_sel_hi:[1,0,1]
	v_pk_fma_f32 v[0:1], v[36:37], v[26:27], v[0:1] op_sel_hi:[1,0,1]
	s_waitcnt lgkmcnt(2)
	v_pk_fma_f32 v[2:3], v[42:43], v[20:21], v[2:3] op_sel:[0,1,0]
	s_add_i32 s5, s5, 8
	s_waitcnt lgkmcnt(1)
	v_pk_fma_f32 v[2:3], v[44:45], v[22:23], v[2:3] op_sel_hi:[1,0,1]
	v_lshl_add_u64 v[4:5], v[4:5], 0, 32
	s_waitcnt lgkmcnt(0)
	v_pk_fma_f32 v[2:3], v[46:47], v[16:17], v[2:3] op_sel_hi:[1,0,1]
	v_mov_b32_e32 v16, v27
	v_pk_fma_f32 v[0:1], v[38:39], v[16:17], v[0:1] op_sel_hi:[1,0,1]
	v_mov_b32_e32 v16, v31
	v_pk_fma_f32 v[0:1], v[40:41], v[28:29], v[0:1] op_sel_hi:[1,0,1]
	s_cmp_lt_i32 s5, s9
	v_pk_fma_f32 v[0:1], v[42:43], v[28:29], v[0:1] op_sel:[0,1,0]
	v_lshl_add_u64 v[6:7], v[6:7], 0, s[14:15]
	v_pk_fma_f32 v[0:1], v[44:45], v[30:31], v[0:1] op_sel_hi:[1,0,1]
	s_nop 0
	v_pk_fma_f32 v[0:1], v[46:47], v[16:17], v[0:1] op_sel_hi:[1,0,1]
	s_barrier
	s_cbranch_scc0 .LBB310_10
.LBB310_6:                              ; =>This Inner Loop Header: Depth=1
	v_add_u32_e32 v16, s5, v11
	v_cmp_gt_i32_e64 s[6:7], s9, v16
	s_and_b64 s[18:19], vcc, s[6:7]
	v_mov_b32_e32 v16, 0
	s_and_saveexec_b64 s[6:7], s[18:19]
	s_cbranch_execz .LBB310_8
; %bb.7:                                ;   in Loop: Header=BB310_6 Depth=1
	flat_load_dword v16, v[4:5]
.LBB310_8:                              ;   in Loop: Header=BB310_6 Depth=1
	s_or_b64 exec, exec, s[6:7]
	s_waitcnt vmcnt(0) lgkmcnt(0)
	ds_write_b32 v12, v16
	v_add_u32_e32 v16, s5, v10
	v_cmp_gt_i32_e64 s[6:7], s9, v16
	s_and_b64 s[18:19], s[6:7], s[2:3]
	v_mov_b32_e32 v16, 0
	s_and_saveexec_b64 s[6:7], s[18:19]
	s_cbranch_execz .LBB310_5
; %bb.9:                                ;   in Loop: Header=BB310_6 Depth=1
	flat_load_dword v16, v[6:7]
	s_branch .LBB310_5
.LBB310_10:
	s_load_dwordx2 s[6:7], s[0:1], 0x58
	s_load_dword s9, s[0:1], 0x50
	v_add_u32_e32 v4, s4, v8
	v_add_u32_e32 v10, s11, v9
	v_cmp_gt_i32_e64 s[2:3], s8, v10
	s_waitcnt lgkmcnt(0)
	s_lshl_b64 s[0:1], s[6:7], 2
	s_add_u32 s4, s12, s0
	s_addc_u32 s5, s13, s1
	v_mad_i64_i32 v[6:7], s[0:1], v10, s9, 0
	v_cmp_neq_f32_e64 s[0:1], s16, 0
	v_lshl_add_u64 v[8:9], v[6:7], 2, s[4:5]
	v_cmp_le_i32_e32 vcc, v4, v10
	v_cndmask_b32_e64 v6, 0, 1, s[0:1]
	s_and_b64 s[12:13], s[2:3], vcc
	v_ashrrev_i32_e32 v5, 31, v4
	v_cmp_ne_u32_e64 s[0:1], 1, v6
	s_and_saveexec_b64 s[6:7], s[12:13]
	s_cbranch_execz .LBB310_14
; %bb.11:
	v_mul_f32_e32 v2, s10, v2
	s_and_b64 vcc, exec, s[0:1]
	v_lshl_add_u64 v[6:7], v[4:5], 2, v[8:9]
	s_cbranch_vccnz .LBB310_13
; %bb.12:
	flat_load_dword v11, v[6:7]
	s_waitcnt vmcnt(0) lgkmcnt(0)
	v_fmac_f32_e32 v2, s16, v11
.LBB310_13:
	flat_store_dword v[6:7], v2
.LBB310_14:
	s_or_b64 exec, exec, s[6:7]
	v_add_u32_e32 v6, 16, v4
	v_cmp_le_i32_e32 vcc, v6, v10
	s_and_b64 s[6:7], s[2:3], vcc
	v_ashrrev_i32_e32 v7, 31, v6
	s_and_saveexec_b64 s[2:3], s[6:7]
	s_cbranch_execz .LBB310_18
; %bb.15:
	v_mul_f32_e32 v11, s10, v3
	s_and_b64 vcc, exec, s[0:1]
	v_lshl_add_u64 v[2:3], v[6:7], 2, v[8:9]
	s_cbranch_vccnz .LBB310_17
; %bb.16:
	flat_load_dword v8, v[2:3]
	s_waitcnt vmcnt(0) lgkmcnt(0)
	v_fmac_f32_e32 v11, s16, v8
.LBB310_17:
	flat_store_dword v[2:3], v11
.LBB310_18:
	s_or_b64 exec, exec, s[2:3]
	v_add_u32_e32 v8, 16, v10
	v_cmp_gt_i32_e64 s[2:3], s8, v8
	v_mad_i64_i32 v[2:3], s[6:7], v8, s9, 0
	v_cmp_le_i32_e32 vcc, v4, v8
	v_lshl_add_u64 v[2:3], v[2:3], 2, s[4:5]
	s_and_b64 s[6:7], s[2:3], vcc
	s_and_saveexec_b64 s[4:5], s[6:7]
	s_cbranch_execz .LBB310_22
; %bb.19:
	v_mul_f32_e32 v0, s10, v0
	s_and_b64 vcc, exec, s[0:1]
	v_lshl_add_u64 v[4:5], v[4:5], 2, v[2:3]
	s_cbranch_vccnz .LBB310_21
; %bb.20:
	flat_load_dword v9, v[4:5]
	s_waitcnt vmcnt(0) lgkmcnt(0)
	v_fmac_f32_e32 v0, s16, v9
.LBB310_21:
	flat_store_dword v[4:5], v0
.LBB310_22:
	s_or_b64 exec, exec, s[4:5]
	v_cmp_le_i32_e32 vcc, v6, v8
	s_and_b64 s[2:3], s[2:3], vcc
	s_and_saveexec_b64 s[4:5], s[2:3]
	s_cbranch_execz .LBB310_26
; %bb.23:
	v_mul_f32_e32 v4, s10, v1
	s_and_b64 vcc, exec, s[0:1]
	v_lshl_add_u64 v[0:1], v[6:7], 2, v[2:3]
	s_cbranch_vccnz .LBB310_25
; %bb.24:
	flat_load_dword v2, v[0:1]
	s_waitcnt vmcnt(0) lgkmcnt(0)
	v_fmac_f32_e32 v4, s16, v2
.LBB310_25:
	flat_store_dword v[0:1], v4
.LBB310_26:
	s_endpgm
	.section	.rodata,"a",@progbits
	.p2align	6, 0x0
	.amdhsa_kernel _ZL29rocblas_internal_gemmt_kernelIiLi16ELi32ELi8ELc84ELc84ELc85ELb0ELb0EffPKPKfPKPfEviT_T9_T10_S7_lS9_S7_lS8_T11_S7_li
		.amdhsa_group_segment_fixed_size 2048
		.amdhsa_private_segment_fixed_size 0
		.amdhsa_kernarg_size 100
		.amdhsa_user_sgpr_count 2
		.amdhsa_user_sgpr_dispatch_ptr 0
		.amdhsa_user_sgpr_queue_ptr 0
		.amdhsa_user_sgpr_kernarg_segment_ptr 1
		.amdhsa_user_sgpr_dispatch_id 0
		.amdhsa_user_sgpr_kernarg_preload_length 0
		.amdhsa_user_sgpr_kernarg_preload_offset 0
		.amdhsa_user_sgpr_private_segment_size 0
		.amdhsa_uses_dynamic_stack 0
		.amdhsa_enable_private_segment 0
		.amdhsa_system_sgpr_workgroup_id_x 1
		.amdhsa_system_sgpr_workgroup_id_y 1
		.amdhsa_system_sgpr_workgroup_id_z 1
		.amdhsa_system_sgpr_workgroup_info 0
		.amdhsa_system_vgpr_workitem_id 1
		.amdhsa_next_free_vgpr 48
		.amdhsa_next_free_sgpr 26
		.amdhsa_accum_offset 48
		.amdhsa_reserve_vcc 1
		.amdhsa_float_round_mode_32 0
		.amdhsa_float_round_mode_16_64 0
		.amdhsa_float_denorm_mode_32 3
		.amdhsa_float_denorm_mode_16_64 3
		.amdhsa_dx10_clamp 1
		.amdhsa_ieee_mode 1
		.amdhsa_fp16_overflow 0
		.amdhsa_tg_split 0
		.amdhsa_exception_fp_ieee_invalid_op 0
		.amdhsa_exception_fp_denorm_src 0
		.amdhsa_exception_fp_ieee_div_zero 0
		.amdhsa_exception_fp_ieee_overflow 0
		.amdhsa_exception_fp_ieee_underflow 0
		.amdhsa_exception_fp_ieee_inexact 0
		.amdhsa_exception_int_div_zero 0
	.end_amdhsa_kernel
	.section	.text._ZL29rocblas_internal_gemmt_kernelIiLi16ELi32ELi8ELc84ELc84ELc85ELb0ELb0EffPKPKfPKPfEviT_T9_T10_S7_lS9_S7_lS8_T11_S7_li,"axG",@progbits,_ZL29rocblas_internal_gemmt_kernelIiLi16ELi32ELi8ELc84ELc84ELc85ELb0ELb0EffPKPKfPKPfEviT_T9_T10_S7_lS9_S7_lS8_T11_S7_li,comdat
.Lfunc_end310:
	.size	_ZL29rocblas_internal_gemmt_kernelIiLi16ELi32ELi8ELc84ELc84ELc85ELb0ELb0EffPKPKfPKPfEviT_T9_T10_S7_lS9_S7_lS8_T11_S7_li, .Lfunc_end310-_ZL29rocblas_internal_gemmt_kernelIiLi16ELi32ELi8ELc84ELc84ELc85ELb0ELb0EffPKPKfPKPfEviT_T9_T10_S7_lS9_S7_lS8_T11_S7_li
                                        ; -- End function
	.set _ZL29rocblas_internal_gemmt_kernelIiLi16ELi32ELi8ELc84ELc84ELc85ELb0ELb0EffPKPKfPKPfEviT_T9_T10_S7_lS9_S7_lS8_T11_S7_li.num_vgpr, 48
	.set _ZL29rocblas_internal_gemmt_kernelIiLi16ELi32ELi8ELc84ELc84ELc85ELb0ELb0EffPKPKfPKPfEviT_T9_T10_S7_lS9_S7_lS8_T11_S7_li.num_agpr, 0
	.set _ZL29rocblas_internal_gemmt_kernelIiLi16ELi32ELi8ELc84ELc84ELc85ELb0ELb0EffPKPKfPKPfEviT_T9_T10_S7_lS9_S7_lS8_T11_S7_li.numbered_sgpr, 26
	.set _ZL29rocblas_internal_gemmt_kernelIiLi16ELi32ELi8ELc84ELc84ELc85ELb0ELb0EffPKPKfPKPfEviT_T9_T10_S7_lS9_S7_lS8_T11_S7_li.num_named_barrier, 0
	.set _ZL29rocblas_internal_gemmt_kernelIiLi16ELi32ELi8ELc84ELc84ELc85ELb0ELb0EffPKPKfPKPfEviT_T9_T10_S7_lS9_S7_lS8_T11_S7_li.private_seg_size, 0
	.set _ZL29rocblas_internal_gemmt_kernelIiLi16ELi32ELi8ELc84ELc84ELc85ELb0ELb0EffPKPKfPKPfEviT_T9_T10_S7_lS9_S7_lS8_T11_S7_li.uses_vcc, 1
	.set _ZL29rocblas_internal_gemmt_kernelIiLi16ELi32ELi8ELc84ELc84ELc85ELb0ELb0EffPKPKfPKPfEviT_T9_T10_S7_lS9_S7_lS8_T11_S7_li.uses_flat_scratch, 0
	.set _ZL29rocblas_internal_gemmt_kernelIiLi16ELi32ELi8ELc84ELc84ELc85ELb0ELb0EffPKPKfPKPfEviT_T9_T10_S7_lS9_S7_lS8_T11_S7_li.has_dyn_sized_stack, 0
	.set _ZL29rocblas_internal_gemmt_kernelIiLi16ELi32ELi8ELc84ELc84ELc85ELb0ELb0EffPKPKfPKPfEviT_T9_T10_S7_lS9_S7_lS8_T11_S7_li.has_recursion, 0
	.set _ZL29rocblas_internal_gemmt_kernelIiLi16ELi32ELi8ELc84ELc84ELc85ELb0ELb0EffPKPKfPKPfEviT_T9_T10_S7_lS9_S7_lS8_T11_S7_li.has_indirect_call, 0
	.section	.AMDGPU.csdata,"",@progbits
; Kernel info:
; codeLenInByte = 1252
; TotalNumSgprs: 32
; NumVgprs: 48
; NumAgprs: 0
; TotalNumVgprs: 48
; ScratchSize: 0
; MemoryBound: 0
; FloatMode: 240
; IeeeMode: 1
; LDSByteSize: 2048 bytes/workgroup (compile time only)
; SGPRBlocks: 3
; VGPRBlocks: 5
; NumSGPRsForWavesPerEU: 32
; NumVGPRsForWavesPerEU: 48
; AccumOffset: 48
; Occupancy: 8
; WaveLimiterHint : 1
; COMPUTE_PGM_RSRC2:SCRATCH_EN: 0
; COMPUTE_PGM_RSRC2:USER_SGPR: 2
; COMPUTE_PGM_RSRC2:TRAP_HANDLER: 0
; COMPUTE_PGM_RSRC2:TGID_X_EN: 1
; COMPUTE_PGM_RSRC2:TGID_Y_EN: 1
; COMPUTE_PGM_RSRC2:TGID_Z_EN: 1
; COMPUTE_PGM_RSRC2:TIDIG_COMP_CNT: 1
; COMPUTE_PGM_RSRC3_GFX90A:ACCUM_OFFSET: 11
; COMPUTE_PGM_RSRC3_GFX90A:TG_SPLIT: 0
	.section	.text._ZL29rocblas_internal_gemmt_kernelIiLi16ELi32ELi8ELc84ELc67ELc85ELb0ELb0EffPKPKfPKPfEviT_T9_T10_S7_lS9_S7_lS8_T11_S7_li,"axG",@progbits,_ZL29rocblas_internal_gemmt_kernelIiLi16ELi32ELi8ELc84ELc67ELc85ELb0ELb0EffPKPKfPKPfEviT_T9_T10_S7_lS9_S7_lS8_T11_S7_li,comdat
	.globl	_ZL29rocblas_internal_gemmt_kernelIiLi16ELi32ELi8ELc84ELc67ELc85ELb0ELb0EffPKPKfPKPfEviT_T9_T10_S7_lS9_S7_lS8_T11_S7_li ; -- Begin function _ZL29rocblas_internal_gemmt_kernelIiLi16ELi32ELi8ELc84ELc67ELc85ELb0ELb0EffPKPKfPKPfEviT_T9_T10_S7_lS9_S7_lS8_T11_S7_li
	.p2align	8
	.type	_ZL29rocblas_internal_gemmt_kernelIiLi16ELi32ELi8ELc84ELc67ELc85ELb0ELb0EffPKPKfPKPfEviT_T9_T10_S7_lS9_S7_lS8_T11_S7_li,@function
_ZL29rocblas_internal_gemmt_kernelIiLi16ELi32ELi8ELc84ELc67ELc85ELb0ELb0EffPKPKfPKPfEviT_T9_T10_S7_lS9_S7_lS8_T11_S7_li: ; @_ZL29rocblas_internal_gemmt_kernelIiLi16ELi32ELi8ELc84ELc67ELc85ELb0ELb0EffPKPKfPKPfEviT_T9_T10_S7_lS9_S7_lS8_T11_S7_li
; %bb.0:
	s_load_dword s16, s[0:1], 0x40
	s_load_dwordx4 s[8:11], s[0:1], 0x0
	s_waitcnt lgkmcnt(0)
	v_cmp_neq_f32_e64 s[6:7], s16, 1.0
	s_and_b64 vcc, exec, s[6:7]
	s_cbranch_vccnz .LBB311_2
; %bb.1:
	s_cmp_lg_u32 s9, 0
	s_cselect_b64 s[6:7], -1, 0
	v_cmp_neq_f32_e64 s[12:13], s10, 0
	s_and_b64 s[6:7], s[6:7], s[12:13]
.LBB311_2:
	s_andn2_b64 vcc, exec, s[6:7]
	s_cbranch_vccnz .LBB311_26
; %bb.3:
	s_load_dwordx2 s[12:13], s[0:1], 0x48
	s_mov_b32 s5, 0
	s_lshl_b64 s[6:7], s[4:5], 3
	v_mov_b32_e32 v3, 0
	v_and_b32_e32 v8, 0x3ff, v0
	s_waitcnt lgkmcnt(0)
	s_add_u32 s12, s12, s6
	s_addc_u32 s13, s13, s7
	s_load_dwordx2 s[12:13], s[12:13], 0x0
	s_lshl_b32 s4, s2, 5
	s_lshl_b32 s11, s3, 5
	s_cmp_lt_i32 s9, 1
	v_cmp_eq_f32_e64 s[2:3], s10, 0
	s_cselect_b64 s[14:15], -1, 0
	s_or_b64 s[2:3], s[2:3], s[14:15]
	v_bfe_u32 v9, v0, 10, 10
	s_and_b64 vcc, exec, s[2:3]
	v_mov_b32_e32 v2, v3
	v_mov_b32_e32 v1, v3
	;; [unrolled: 1-line block ×3, first 2 shown]
	s_cbranch_vccnz .LBB311_10
; %bb.4:
	s_load_dwordx4 s[20:23], s[0:1], 0x20
	s_load_dword s14, s[0:1], 0x30
	v_lshl_add_u32 v0, v9, 4, v8
	s_load_dwordx2 s[2:3], s[0:1], 0x10
	s_load_dword s17, s[0:1], 0x18
	s_load_dwordx2 s[18:19], s[0:1], 0x38
	v_lshrrev_b32_e32 v11, 5, v0
	v_lshrrev_b32_e32 v1, 3, v0
	s_waitcnt lgkmcnt(0)
	s_ashr_i32 s15, s14, 31
	v_and_b32_e32 v0, 31, v0
	s_add_u32 s22, s22, s6
	v_or_b32_e32 v3, s4, v0
	s_addc_u32 s23, s23, s7
	v_and_b32_e32 v10, 7, v8
	s_add_u32 s2, s2, s6
	v_cmp_gt_i32_e32 vcc, s8, v3
	v_lshlrev_b32_e32 v3, 2, v0
	s_addc_u32 s3, s3, s7
	v_lshl_or_b32 v12, v11, 7, v3
	v_lshlrev_b32_e32 v3, 2, v10
	v_add_u32_e32 v2, s11, v1
	s_load_dwordx2 s[6:7], s[2:3], 0x0
	v_lshl_or_b32 v1, v1, 5, v3
	v_add_u32_e32 v13, 0x400, v1
	v_mov_b32_e32 v1, 0x400
	v_add_u32_e32 v0, s4, v0
	v_lshl_add_u32 v15, v9, 5, v1
	v_mad_i64_i32 v[0:1], s[24:25], s17, v0, 0
	s_lshl_b64 s[20:21], s[20:21], 2
	v_lshl_add_u64 v[4:5], v[0:1], 2, s[20:21]
	v_lshlrev_b32_e32 v0, 2, v11
	v_mov_b32_e32 v1, 0
	s_load_dwordx2 s[22:23], s[22:23], 0x0
	v_lshl_add_u64 v[4:5], v[4:5], 0, v[0:1]
	s_waitcnt lgkmcnt(0)
	v_lshl_add_u64 v[4:5], s[6:7], 0, v[4:5]
	v_mad_i64_i32 v[6:7], s[6:7], s14, v10, 0
	s_lshl_b64 s[6:7], s[18:19], 2
	v_ashrrev_i32_e32 v3, 31, v2
	v_lshl_add_u64 v[6:7], v[6:7], 2, s[6:7]
	v_cmp_gt_i32_e64 s[2:3], s8, v2
	v_lshl_add_u64 v[2:3], v[2:3], 2, v[6:7]
	v_lshlrev_b32_e32 v14, 2, v8
	v_lshl_add_u64 v[6:7], s[22:23], 0, v[2:3]
	s_lshl_b64 s[14:15], s[14:15], 5
	v_mov_b32_e32 v0, v1
	v_mov_b32_e32 v2, v1
	;; [unrolled: 1-line block ×3, first 2 shown]
	s_branch .LBB311_6
.LBB311_5:                              ;   in Loop: Header=BB311_6 Depth=1
	s_or_b64 exec, exec, s[6:7]
	s_waitcnt vmcnt(0) lgkmcnt(0)
	ds_write_b32 v13, v16
	s_waitcnt lgkmcnt(0)
	s_barrier
	ds_read_b128 v[16:19], v15
	ds_read_b128 v[20:23], v15 offset:16
	ds_read2_b32 v[32:33], v14 offset1:16
	ds_read2_b32 v[34:35], v14 offset0:32 offset1:48
	ds_read2_b32 v[36:37], v14 offset0:64 offset1:80
	ds_read2_b32 v[38:39], v14 offset0:96 offset1:112
	ds_read2_b32 v[40:41], v14 offset0:128 offset1:144
	ds_read_b128 v[24:27], v15 offset:512
	ds_read_b128 v[28:31], v15 offset:528
	ds_read2_b32 v[42:43], v14 offset0:160 offset1:176
	ds_read2_b32 v[44:45], v14 offset0:192 offset1:208
	;; [unrolled: 1-line block ×3, first 2 shown]
	s_waitcnt lgkmcnt(9)
	v_pk_fma_f32 v[2:3], v[32:33], v[16:17], v[2:3] op_sel_hi:[1,0,1]
	s_waitcnt lgkmcnt(4)
	v_pk_fma_f32 v[0:1], v[32:33], v[24:25], v[0:1] op_sel_hi:[1,0,1]
	v_pk_fma_f32 v[2:3], v[34:35], v[16:17], v[2:3] op_sel:[0,1,0]
	v_mov_b32_e32 v16, v19
	v_pk_fma_f32 v[2:3], v[36:37], v[18:19], v[2:3] op_sel_hi:[1,0,1]
	v_pk_fma_f32 v[0:1], v[34:35], v[24:25], v[0:1] op_sel:[0,1,0]
	v_pk_fma_f32 v[2:3], v[38:39], v[16:17], v[2:3] op_sel_hi:[1,0,1]
	v_mov_b32_e32 v16, v23
	v_pk_fma_f32 v[2:3], v[40:41], v[20:21], v[2:3] op_sel_hi:[1,0,1]
	v_pk_fma_f32 v[0:1], v[36:37], v[26:27], v[0:1] op_sel_hi:[1,0,1]
	s_waitcnt lgkmcnt(2)
	v_pk_fma_f32 v[2:3], v[42:43], v[20:21], v[2:3] op_sel:[0,1,0]
	s_add_i32 s5, s5, 8
	s_waitcnt lgkmcnt(1)
	v_pk_fma_f32 v[2:3], v[44:45], v[22:23], v[2:3] op_sel_hi:[1,0,1]
	v_lshl_add_u64 v[4:5], v[4:5], 0, 32
	s_waitcnt lgkmcnt(0)
	v_pk_fma_f32 v[2:3], v[46:47], v[16:17], v[2:3] op_sel_hi:[1,0,1]
	v_mov_b32_e32 v16, v27
	v_pk_fma_f32 v[0:1], v[38:39], v[16:17], v[0:1] op_sel_hi:[1,0,1]
	v_mov_b32_e32 v16, v31
	v_pk_fma_f32 v[0:1], v[40:41], v[28:29], v[0:1] op_sel_hi:[1,0,1]
	s_cmp_lt_i32 s5, s9
	v_pk_fma_f32 v[0:1], v[42:43], v[28:29], v[0:1] op_sel:[0,1,0]
	v_lshl_add_u64 v[6:7], v[6:7], 0, s[14:15]
	v_pk_fma_f32 v[0:1], v[44:45], v[30:31], v[0:1] op_sel_hi:[1,0,1]
	s_nop 0
	v_pk_fma_f32 v[0:1], v[46:47], v[16:17], v[0:1] op_sel_hi:[1,0,1]
	s_barrier
	s_cbranch_scc0 .LBB311_10
.LBB311_6:                              ; =>This Inner Loop Header: Depth=1
	v_add_u32_e32 v16, s5, v11
	v_cmp_gt_i32_e64 s[6:7], s9, v16
	s_and_b64 s[18:19], vcc, s[6:7]
	v_mov_b32_e32 v16, 0
	s_and_saveexec_b64 s[6:7], s[18:19]
	s_cbranch_execz .LBB311_8
; %bb.7:                                ;   in Loop: Header=BB311_6 Depth=1
	flat_load_dword v16, v[4:5]
.LBB311_8:                              ;   in Loop: Header=BB311_6 Depth=1
	s_or_b64 exec, exec, s[6:7]
	s_waitcnt vmcnt(0) lgkmcnt(0)
	ds_write_b32 v12, v16
	v_add_u32_e32 v16, s5, v10
	v_cmp_gt_i32_e64 s[6:7], s9, v16
	s_and_b64 s[18:19], s[6:7], s[2:3]
	v_mov_b32_e32 v16, 0
	s_and_saveexec_b64 s[6:7], s[18:19]
	s_cbranch_execz .LBB311_5
; %bb.9:                                ;   in Loop: Header=BB311_6 Depth=1
	flat_load_dword v16, v[6:7]
	s_branch .LBB311_5
.LBB311_10:
	s_load_dwordx2 s[6:7], s[0:1], 0x58
	s_load_dword s9, s[0:1], 0x50
	v_add_u32_e32 v4, s4, v8
	v_add_u32_e32 v10, s11, v9
	v_cmp_gt_i32_e64 s[2:3], s8, v10
	s_waitcnt lgkmcnt(0)
	s_lshl_b64 s[0:1], s[6:7], 2
	s_add_u32 s4, s12, s0
	s_addc_u32 s5, s13, s1
	v_mad_i64_i32 v[6:7], s[0:1], v10, s9, 0
	v_cmp_neq_f32_e64 s[0:1], s16, 0
	v_lshl_add_u64 v[8:9], v[6:7], 2, s[4:5]
	v_cmp_le_i32_e32 vcc, v4, v10
	v_cndmask_b32_e64 v6, 0, 1, s[0:1]
	s_and_b64 s[12:13], s[2:3], vcc
	v_ashrrev_i32_e32 v5, 31, v4
	v_cmp_ne_u32_e64 s[0:1], 1, v6
	s_and_saveexec_b64 s[6:7], s[12:13]
	s_cbranch_execz .LBB311_14
; %bb.11:
	v_mul_f32_e32 v2, s10, v2
	s_and_b64 vcc, exec, s[0:1]
	v_lshl_add_u64 v[6:7], v[4:5], 2, v[8:9]
	s_cbranch_vccnz .LBB311_13
; %bb.12:
	flat_load_dword v11, v[6:7]
	s_waitcnt vmcnt(0) lgkmcnt(0)
	v_fmac_f32_e32 v2, s16, v11
.LBB311_13:
	flat_store_dword v[6:7], v2
.LBB311_14:
	s_or_b64 exec, exec, s[6:7]
	v_add_u32_e32 v6, 16, v4
	v_cmp_le_i32_e32 vcc, v6, v10
	s_and_b64 s[6:7], s[2:3], vcc
	v_ashrrev_i32_e32 v7, 31, v6
	s_and_saveexec_b64 s[2:3], s[6:7]
	s_cbranch_execz .LBB311_18
; %bb.15:
	v_mul_f32_e32 v11, s10, v3
	s_and_b64 vcc, exec, s[0:1]
	v_lshl_add_u64 v[2:3], v[6:7], 2, v[8:9]
	s_cbranch_vccnz .LBB311_17
; %bb.16:
	flat_load_dword v8, v[2:3]
	s_waitcnt vmcnt(0) lgkmcnt(0)
	v_fmac_f32_e32 v11, s16, v8
.LBB311_17:
	flat_store_dword v[2:3], v11
.LBB311_18:
	s_or_b64 exec, exec, s[2:3]
	v_add_u32_e32 v8, 16, v10
	v_cmp_gt_i32_e64 s[2:3], s8, v8
	v_mad_i64_i32 v[2:3], s[6:7], v8, s9, 0
	v_cmp_le_i32_e32 vcc, v4, v8
	v_lshl_add_u64 v[2:3], v[2:3], 2, s[4:5]
	s_and_b64 s[6:7], s[2:3], vcc
	s_and_saveexec_b64 s[4:5], s[6:7]
	s_cbranch_execz .LBB311_22
; %bb.19:
	v_mul_f32_e32 v0, s10, v0
	s_and_b64 vcc, exec, s[0:1]
	v_lshl_add_u64 v[4:5], v[4:5], 2, v[2:3]
	s_cbranch_vccnz .LBB311_21
; %bb.20:
	flat_load_dword v9, v[4:5]
	s_waitcnt vmcnt(0) lgkmcnt(0)
	v_fmac_f32_e32 v0, s16, v9
.LBB311_21:
	flat_store_dword v[4:5], v0
.LBB311_22:
	s_or_b64 exec, exec, s[4:5]
	v_cmp_le_i32_e32 vcc, v6, v8
	s_and_b64 s[2:3], s[2:3], vcc
	s_and_saveexec_b64 s[4:5], s[2:3]
	s_cbranch_execz .LBB311_26
; %bb.23:
	v_mul_f32_e32 v4, s10, v1
	s_and_b64 vcc, exec, s[0:1]
	v_lshl_add_u64 v[0:1], v[6:7], 2, v[2:3]
	s_cbranch_vccnz .LBB311_25
; %bb.24:
	flat_load_dword v2, v[0:1]
	s_waitcnt vmcnt(0) lgkmcnt(0)
	v_fmac_f32_e32 v4, s16, v2
.LBB311_25:
	flat_store_dword v[0:1], v4
.LBB311_26:
	s_endpgm
	.section	.rodata,"a",@progbits
	.p2align	6, 0x0
	.amdhsa_kernel _ZL29rocblas_internal_gemmt_kernelIiLi16ELi32ELi8ELc84ELc67ELc85ELb0ELb0EffPKPKfPKPfEviT_T9_T10_S7_lS9_S7_lS8_T11_S7_li
		.amdhsa_group_segment_fixed_size 2048
		.amdhsa_private_segment_fixed_size 0
		.amdhsa_kernarg_size 100
		.amdhsa_user_sgpr_count 2
		.amdhsa_user_sgpr_dispatch_ptr 0
		.amdhsa_user_sgpr_queue_ptr 0
		.amdhsa_user_sgpr_kernarg_segment_ptr 1
		.amdhsa_user_sgpr_dispatch_id 0
		.amdhsa_user_sgpr_kernarg_preload_length 0
		.amdhsa_user_sgpr_kernarg_preload_offset 0
		.amdhsa_user_sgpr_private_segment_size 0
		.amdhsa_uses_dynamic_stack 0
		.amdhsa_enable_private_segment 0
		.amdhsa_system_sgpr_workgroup_id_x 1
		.amdhsa_system_sgpr_workgroup_id_y 1
		.amdhsa_system_sgpr_workgroup_id_z 1
		.amdhsa_system_sgpr_workgroup_info 0
		.amdhsa_system_vgpr_workitem_id 1
		.amdhsa_next_free_vgpr 48
		.amdhsa_next_free_sgpr 26
		.amdhsa_accum_offset 48
		.amdhsa_reserve_vcc 1
		.amdhsa_float_round_mode_32 0
		.amdhsa_float_round_mode_16_64 0
		.amdhsa_float_denorm_mode_32 3
		.amdhsa_float_denorm_mode_16_64 3
		.amdhsa_dx10_clamp 1
		.amdhsa_ieee_mode 1
		.amdhsa_fp16_overflow 0
		.amdhsa_tg_split 0
		.amdhsa_exception_fp_ieee_invalid_op 0
		.amdhsa_exception_fp_denorm_src 0
		.amdhsa_exception_fp_ieee_div_zero 0
		.amdhsa_exception_fp_ieee_overflow 0
		.amdhsa_exception_fp_ieee_underflow 0
		.amdhsa_exception_fp_ieee_inexact 0
		.amdhsa_exception_int_div_zero 0
	.end_amdhsa_kernel
	.section	.text._ZL29rocblas_internal_gemmt_kernelIiLi16ELi32ELi8ELc84ELc67ELc85ELb0ELb0EffPKPKfPKPfEviT_T9_T10_S7_lS9_S7_lS8_T11_S7_li,"axG",@progbits,_ZL29rocblas_internal_gemmt_kernelIiLi16ELi32ELi8ELc84ELc67ELc85ELb0ELb0EffPKPKfPKPfEviT_T9_T10_S7_lS9_S7_lS8_T11_S7_li,comdat
.Lfunc_end311:
	.size	_ZL29rocblas_internal_gemmt_kernelIiLi16ELi32ELi8ELc84ELc67ELc85ELb0ELb0EffPKPKfPKPfEviT_T9_T10_S7_lS9_S7_lS8_T11_S7_li, .Lfunc_end311-_ZL29rocblas_internal_gemmt_kernelIiLi16ELi32ELi8ELc84ELc67ELc85ELb0ELb0EffPKPKfPKPfEviT_T9_T10_S7_lS9_S7_lS8_T11_S7_li
                                        ; -- End function
	.set _ZL29rocblas_internal_gemmt_kernelIiLi16ELi32ELi8ELc84ELc67ELc85ELb0ELb0EffPKPKfPKPfEviT_T9_T10_S7_lS9_S7_lS8_T11_S7_li.num_vgpr, 48
	.set _ZL29rocblas_internal_gemmt_kernelIiLi16ELi32ELi8ELc84ELc67ELc85ELb0ELb0EffPKPKfPKPfEviT_T9_T10_S7_lS9_S7_lS8_T11_S7_li.num_agpr, 0
	.set _ZL29rocblas_internal_gemmt_kernelIiLi16ELi32ELi8ELc84ELc67ELc85ELb0ELb0EffPKPKfPKPfEviT_T9_T10_S7_lS9_S7_lS8_T11_S7_li.numbered_sgpr, 26
	.set _ZL29rocblas_internal_gemmt_kernelIiLi16ELi32ELi8ELc84ELc67ELc85ELb0ELb0EffPKPKfPKPfEviT_T9_T10_S7_lS9_S7_lS8_T11_S7_li.num_named_barrier, 0
	.set _ZL29rocblas_internal_gemmt_kernelIiLi16ELi32ELi8ELc84ELc67ELc85ELb0ELb0EffPKPKfPKPfEviT_T9_T10_S7_lS9_S7_lS8_T11_S7_li.private_seg_size, 0
	.set _ZL29rocblas_internal_gemmt_kernelIiLi16ELi32ELi8ELc84ELc67ELc85ELb0ELb0EffPKPKfPKPfEviT_T9_T10_S7_lS9_S7_lS8_T11_S7_li.uses_vcc, 1
	.set _ZL29rocblas_internal_gemmt_kernelIiLi16ELi32ELi8ELc84ELc67ELc85ELb0ELb0EffPKPKfPKPfEviT_T9_T10_S7_lS9_S7_lS8_T11_S7_li.uses_flat_scratch, 0
	.set _ZL29rocblas_internal_gemmt_kernelIiLi16ELi32ELi8ELc84ELc67ELc85ELb0ELb0EffPKPKfPKPfEviT_T9_T10_S7_lS9_S7_lS8_T11_S7_li.has_dyn_sized_stack, 0
	.set _ZL29rocblas_internal_gemmt_kernelIiLi16ELi32ELi8ELc84ELc67ELc85ELb0ELb0EffPKPKfPKPfEviT_T9_T10_S7_lS9_S7_lS8_T11_S7_li.has_recursion, 0
	.set _ZL29rocblas_internal_gemmt_kernelIiLi16ELi32ELi8ELc84ELc67ELc85ELb0ELb0EffPKPKfPKPfEviT_T9_T10_S7_lS9_S7_lS8_T11_S7_li.has_indirect_call, 0
	.section	.AMDGPU.csdata,"",@progbits
; Kernel info:
; codeLenInByte = 1252
; TotalNumSgprs: 32
; NumVgprs: 48
; NumAgprs: 0
; TotalNumVgprs: 48
; ScratchSize: 0
; MemoryBound: 0
; FloatMode: 240
; IeeeMode: 1
; LDSByteSize: 2048 bytes/workgroup (compile time only)
; SGPRBlocks: 3
; VGPRBlocks: 5
; NumSGPRsForWavesPerEU: 32
; NumVGPRsForWavesPerEU: 48
; AccumOffset: 48
; Occupancy: 8
; WaveLimiterHint : 1
; COMPUTE_PGM_RSRC2:SCRATCH_EN: 0
; COMPUTE_PGM_RSRC2:USER_SGPR: 2
; COMPUTE_PGM_RSRC2:TRAP_HANDLER: 0
; COMPUTE_PGM_RSRC2:TGID_X_EN: 1
; COMPUTE_PGM_RSRC2:TGID_Y_EN: 1
; COMPUTE_PGM_RSRC2:TGID_Z_EN: 1
; COMPUTE_PGM_RSRC2:TIDIG_COMP_CNT: 1
; COMPUTE_PGM_RSRC3_GFX90A:ACCUM_OFFSET: 11
; COMPUTE_PGM_RSRC3_GFX90A:TG_SPLIT: 0
	.section	.text._ZL29rocblas_internal_gemmt_kernelIiLi16ELi32ELi8ELc67ELc78ELc85ELb0ELb0EffPKPKfPKPfEviT_T9_T10_S7_lS9_S7_lS8_T11_S7_li,"axG",@progbits,_ZL29rocblas_internal_gemmt_kernelIiLi16ELi32ELi8ELc67ELc78ELc85ELb0ELb0EffPKPKfPKPfEviT_T9_T10_S7_lS9_S7_lS8_T11_S7_li,comdat
	.globl	_ZL29rocblas_internal_gemmt_kernelIiLi16ELi32ELi8ELc67ELc78ELc85ELb0ELb0EffPKPKfPKPfEviT_T9_T10_S7_lS9_S7_lS8_T11_S7_li ; -- Begin function _ZL29rocblas_internal_gemmt_kernelIiLi16ELi32ELi8ELc67ELc78ELc85ELb0ELb0EffPKPKfPKPfEviT_T9_T10_S7_lS9_S7_lS8_T11_S7_li
	.p2align	8
	.type	_ZL29rocblas_internal_gemmt_kernelIiLi16ELi32ELi8ELc67ELc78ELc85ELb0ELb0EffPKPKfPKPfEviT_T9_T10_S7_lS9_S7_lS8_T11_S7_li,@function
_ZL29rocblas_internal_gemmt_kernelIiLi16ELi32ELi8ELc67ELc78ELc85ELb0ELb0EffPKPKfPKPfEviT_T9_T10_S7_lS9_S7_lS8_T11_S7_li: ; @_ZL29rocblas_internal_gemmt_kernelIiLi16ELi32ELi8ELc67ELc78ELc85ELb0ELb0EffPKPKfPKPfEviT_T9_T10_S7_lS9_S7_lS8_T11_S7_li
; %bb.0:
	s_load_dword s14, s[0:1], 0x40
	s_load_dwordx4 s[8:11], s[0:1], 0x0
	s_waitcnt lgkmcnt(0)
	v_cmp_neq_f32_e64 s[6:7], s14, 1.0
	s_and_b64 vcc, exec, s[6:7]
	s_cbranch_vccnz .LBB312_2
; %bb.1:
	s_cmp_lg_u32 s9, 0
	s_cselect_b64 s[6:7], -1, 0
	v_cmp_neq_f32_e64 s[12:13], s10, 0
	s_and_b64 s[6:7], s[6:7], s[12:13]
.LBB312_2:
	s_andn2_b64 vcc, exec, s[6:7]
	s_cbranch_vccnz .LBB312_26
; %bb.3:
	s_load_dwordx2 s[12:13], s[0:1], 0x48
	s_mov_b32 s5, 0
	s_lshl_b64 s[6:7], s[4:5], 3
	v_mov_b32_e32 v3, 0
	v_and_b32_e32 v8, 0x3ff, v0
	s_waitcnt lgkmcnt(0)
	s_add_u32 s12, s12, s6
	s_addc_u32 s13, s13, s7
	s_load_dwordx2 s[12:13], s[12:13], 0x0
	s_lshl_b32 s4, s2, 5
	s_lshl_b32 s11, s3, 5
	s_cmp_lt_i32 s9, 1
	v_cmp_eq_f32_e64 s[2:3], s10, 0
	s_cselect_b64 s[16:17], -1, 0
	s_or_b64 s[2:3], s[2:3], s[16:17]
	v_bfe_u32 v9, v0, 10, 10
	s_and_b64 vcc, exec, s[2:3]
	v_mov_b32_e32 v2, v3
	v_mov_b32_e32 v1, v3
	;; [unrolled: 1-line block ×3, first 2 shown]
	s_cbranch_vccnz .LBB312_10
; %bb.4:
	s_load_dwordx2 s[2:3], s[0:1], 0x10
	s_load_dword s15, s[0:1], 0x18
	s_load_dwordx4 s[16:19], s[0:1], 0x20
	s_load_dword s24, s[0:1], 0x30
	s_load_dwordx2 s[20:21], s[0:1], 0x38
	v_lshl_add_u32 v0, v9, 4, v8
	v_lshrrev_b32_e32 v11, 5, v0
	v_lshrrev_b32_e32 v1, 3, v0
	v_and_b32_e32 v0, 31, v0
	s_waitcnt lgkmcnt(0)
	s_add_u32 s18, s18, s6
	v_or_b32_e32 v2, s4, v0
	s_addc_u32 s19, s19, s7
	v_and_b32_e32 v10, 7, v8
	s_add_u32 s2, s2, s6
	v_cmp_gt_i32_e32 vcc, s8, v2
	v_lshlrev_b32_e32 v2, 2, v0
	s_addc_u32 s3, s3, s7
	v_lshl_or_b32 v12, v11, 7, v2
	v_lshlrev_b32_e32 v2, 2, v10
	v_add_u32_e32 v3, s11, v1
	s_load_dwordx2 s[6:7], s[2:3], 0x0
	v_lshl_or_b32 v1, v1, 5, v2
	v_add_u32_e32 v13, 0x400, v1
	v_mov_b32_e32 v1, 0x400
	v_add_u32_e32 v0, s4, v0
	v_lshl_add_u32 v15, v9, 5, v1
	v_mad_i64_i32 v[0:1], s[22:23], s15, v0, 0
	s_lshl_b64 s[16:17], s[16:17], 2
	v_lshl_add_u64 v[4:5], v[0:1], 2, s[16:17]
	v_lshlrev_b32_e32 v0, 2, v11
	v_mov_b32_e32 v1, 0
	s_load_dwordx2 s[18:19], s[18:19], 0x0
	v_lshl_add_u64 v[4:5], v[4:5], 0, v[0:1]
	s_waitcnt lgkmcnt(0)
	v_lshl_add_u64 v[4:5], s[6:7], 0, v[4:5]
	v_mad_i64_i32 v[6:7], s[6:7], s24, v3, 0
	s_lshl_b64 s[6:7], s[20:21], 2
	v_cmp_gt_i32_e64 s[2:3], s8, v3
	v_lshl_add_u64 v[6:7], v[6:7], 2, s[6:7]
	v_mov_b32_e32 v3, v1
	v_lshl_add_u64 v[2:3], v[6:7], 0, v[2:3]
	v_lshlrev_b32_e32 v14, 2, v8
	v_lshl_add_u64 v[6:7], s[18:19], 0, v[2:3]
	v_mov_b32_e32 v0, v1
	v_mov_b32_e32 v2, v1
	;; [unrolled: 1-line block ×3, first 2 shown]
	s_branch .LBB312_6
.LBB312_5:                              ;   in Loop: Header=BB312_6 Depth=1
	s_or_b64 exec, exec, s[6:7]
	s_waitcnt vmcnt(0) lgkmcnt(0)
	ds_write_b32 v13, v16
	s_waitcnt lgkmcnt(0)
	s_barrier
	ds_read_b128 v[16:19], v15
	ds_read_b128 v[20:23], v15 offset:16
	ds_read2_b32 v[32:33], v14 offset1:16
	ds_read2_b32 v[34:35], v14 offset0:32 offset1:48
	ds_read2_b32 v[36:37], v14 offset0:64 offset1:80
	;; [unrolled: 1-line block ×4, first 2 shown]
	ds_read_b128 v[24:27], v15 offset:512
	ds_read_b128 v[28:31], v15 offset:528
	ds_read2_b32 v[42:43], v14 offset0:160 offset1:176
	ds_read2_b32 v[44:45], v14 offset0:192 offset1:208
	;; [unrolled: 1-line block ×3, first 2 shown]
	s_waitcnt lgkmcnt(9)
	v_pk_fma_f32 v[2:3], v[32:33], v[16:17], v[2:3] op_sel_hi:[1,0,1]
	s_waitcnt lgkmcnt(4)
	v_pk_fma_f32 v[0:1], v[32:33], v[24:25], v[0:1] op_sel_hi:[1,0,1]
	v_pk_fma_f32 v[2:3], v[34:35], v[16:17], v[2:3] op_sel:[0,1,0]
	v_mov_b32_e32 v16, v19
	v_pk_fma_f32 v[2:3], v[36:37], v[18:19], v[2:3] op_sel_hi:[1,0,1]
	v_pk_fma_f32 v[0:1], v[34:35], v[24:25], v[0:1] op_sel:[0,1,0]
	v_pk_fma_f32 v[2:3], v[38:39], v[16:17], v[2:3] op_sel_hi:[1,0,1]
	v_mov_b32_e32 v16, v23
	v_pk_fma_f32 v[2:3], v[40:41], v[20:21], v[2:3] op_sel_hi:[1,0,1]
	v_pk_fma_f32 v[0:1], v[36:37], v[26:27], v[0:1] op_sel_hi:[1,0,1]
	s_waitcnt lgkmcnt(2)
	v_pk_fma_f32 v[2:3], v[42:43], v[20:21], v[2:3] op_sel:[0,1,0]
	s_add_i32 s5, s5, 8
	s_waitcnt lgkmcnt(1)
	v_pk_fma_f32 v[2:3], v[44:45], v[22:23], v[2:3] op_sel_hi:[1,0,1]
	v_lshl_add_u64 v[4:5], v[4:5], 0, 32
	s_waitcnt lgkmcnt(0)
	v_pk_fma_f32 v[2:3], v[46:47], v[16:17], v[2:3] op_sel_hi:[1,0,1]
	v_mov_b32_e32 v16, v27
	v_pk_fma_f32 v[0:1], v[38:39], v[16:17], v[0:1] op_sel_hi:[1,0,1]
	v_mov_b32_e32 v16, v31
	v_pk_fma_f32 v[0:1], v[40:41], v[28:29], v[0:1] op_sel_hi:[1,0,1]
	s_cmp_lt_i32 s5, s9
	v_pk_fma_f32 v[0:1], v[42:43], v[28:29], v[0:1] op_sel:[0,1,0]
	v_lshl_add_u64 v[6:7], v[6:7], 0, 32
	v_pk_fma_f32 v[0:1], v[44:45], v[30:31], v[0:1] op_sel_hi:[1,0,1]
	s_nop 0
	v_pk_fma_f32 v[0:1], v[46:47], v[16:17], v[0:1] op_sel_hi:[1,0,1]
	s_barrier
	s_cbranch_scc0 .LBB312_10
.LBB312_6:                              ; =>This Inner Loop Header: Depth=1
	v_add_u32_e32 v16, s5, v11
	v_cmp_gt_i32_e64 s[6:7], s9, v16
	s_and_b64 s[16:17], vcc, s[6:7]
	v_mov_b32_e32 v16, 0
	s_and_saveexec_b64 s[6:7], s[16:17]
	s_cbranch_execz .LBB312_8
; %bb.7:                                ;   in Loop: Header=BB312_6 Depth=1
	flat_load_dword v16, v[4:5]
.LBB312_8:                              ;   in Loop: Header=BB312_6 Depth=1
	s_or_b64 exec, exec, s[6:7]
	s_waitcnt vmcnt(0) lgkmcnt(0)
	ds_write_b32 v12, v16
	v_add_u32_e32 v16, s5, v10
	v_cmp_gt_i32_e64 s[6:7], s9, v16
	s_and_b64 s[16:17], s[6:7], s[2:3]
	v_mov_b32_e32 v16, 0
	s_and_saveexec_b64 s[6:7], s[16:17]
	s_cbranch_execz .LBB312_5
; %bb.9:                                ;   in Loop: Header=BB312_6 Depth=1
	flat_load_dword v16, v[6:7]
	s_branch .LBB312_5
.LBB312_10:
	s_load_dwordx2 s[6:7], s[0:1], 0x58
	s_load_dword s9, s[0:1], 0x50
	v_add_u32_e32 v4, s4, v8
	v_add_u32_e32 v10, s11, v9
	v_cmp_gt_i32_e64 s[2:3], s8, v10
	s_waitcnt lgkmcnt(0)
	s_lshl_b64 s[0:1], s[6:7], 2
	s_add_u32 s4, s12, s0
	s_addc_u32 s5, s13, s1
	v_mad_i64_i32 v[6:7], s[0:1], v10, s9, 0
	v_cmp_neq_f32_e64 s[0:1], s14, 0
	v_lshl_add_u64 v[8:9], v[6:7], 2, s[4:5]
	v_cmp_le_i32_e32 vcc, v4, v10
	v_cndmask_b32_e64 v6, 0, 1, s[0:1]
	s_and_b64 s[12:13], s[2:3], vcc
	v_ashrrev_i32_e32 v5, 31, v4
	v_cmp_ne_u32_e64 s[0:1], 1, v6
	s_and_saveexec_b64 s[6:7], s[12:13]
	s_cbranch_execz .LBB312_14
; %bb.11:
	v_mul_f32_e32 v2, s10, v2
	s_and_b64 vcc, exec, s[0:1]
	v_lshl_add_u64 v[6:7], v[4:5], 2, v[8:9]
	s_cbranch_vccnz .LBB312_13
; %bb.12:
	flat_load_dword v11, v[6:7]
	s_waitcnt vmcnt(0) lgkmcnt(0)
	v_fmac_f32_e32 v2, s14, v11
.LBB312_13:
	flat_store_dword v[6:7], v2
.LBB312_14:
	s_or_b64 exec, exec, s[6:7]
	v_add_u32_e32 v6, 16, v4
	v_cmp_le_i32_e32 vcc, v6, v10
	s_and_b64 s[6:7], s[2:3], vcc
	v_ashrrev_i32_e32 v7, 31, v6
	s_and_saveexec_b64 s[2:3], s[6:7]
	s_cbranch_execz .LBB312_18
; %bb.15:
	v_mul_f32_e32 v11, s10, v3
	s_and_b64 vcc, exec, s[0:1]
	v_lshl_add_u64 v[2:3], v[6:7], 2, v[8:9]
	s_cbranch_vccnz .LBB312_17
; %bb.16:
	flat_load_dword v8, v[2:3]
	s_waitcnt vmcnt(0) lgkmcnt(0)
	v_fmac_f32_e32 v11, s14, v8
.LBB312_17:
	flat_store_dword v[2:3], v11
.LBB312_18:
	s_or_b64 exec, exec, s[2:3]
	v_add_u32_e32 v8, 16, v10
	v_cmp_gt_i32_e64 s[2:3], s8, v8
	v_mad_i64_i32 v[2:3], s[6:7], v8, s9, 0
	v_cmp_le_i32_e32 vcc, v4, v8
	v_lshl_add_u64 v[2:3], v[2:3], 2, s[4:5]
	s_and_b64 s[6:7], s[2:3], vcc
	s_and_saveexec_b64 s[4:5], s[6:7]
	s_cbranch_execz .LBB312_22
; %bb.19:
	v_mul_f32_e32 v0, s10, v0
	s_and_b64 vcc, exec, s[0:1]
	v_lshl_add_u64 v[4:5], v[4:5], 2, v[2:3]
	s_cbranch_vccnz .LBB312_21
; %bb.20:
	flat_load_dword v9, v[4:5]
	s_waitcnt vmcnt(0) lgkmcnt(0)
	v_fmac_f32_e32 v0, s14, v9
.LBB312_21:
	flat_store_dword v[4:5], v0
.LBB312_22:
	s_or_b64 exec, exec, s[4:5]
	v_cmp_le_i32_e32 vcc, v6, v8
	s_and_b64 s[2:3], s[2:3], vcc
	s_and_saveexec_b64 s[4:5], s[2:3]
	s_cbranch_execz .LBB312_26
; %bb.23:
	v_mul_f32_e32 v4, s10, v1
	s_and_b64 vcc, exec, s[0:1]
	v_lshl_add_u64 v[0:1], v[6:7], 2, v[2:3]
	s_cbranch_vccnz .LBB312_25
; %bb.24:
	flat_load_dword v2, v[0:1]
	s_waitcnt vmcnt(0) lgkmcnt(0)
	v_fmac_f32_e32 v4, s14, v2
.LBB312_25:
	flat_store_dword v[0:1], v4
.LBB312_26:
	s_endpgm
	.section	.rodata,"a",@progbits
	.p2align	6, 0x0
	.amdhsa_kernel _ZL29rocblas_internal_gemmt_kernelIiLi16ELi32ELi8ELc67ELc78ELc85ELb0ELb0EffPKPKfPKPfEviT_T9_T10_S7_lS9_S7_lS8_T11_S7_li
		.amdhsa_group_segment_fixed_size 2048
		.amdhsa_private_segment_fixed_size 0
		.amdhsa_kernarg_size 100
		.amdhsa_user_sgpr_count 2
		.amdhsa_user_sgpr_dispatch_ptr 0
		.amdhsa_user_sgpr_queue_ptr 0
		.amdhsa_user_sgpr_kernarg_segment_ptr 1
		.amdhsa_user_sgpr_dispatch_id 0
		.amdhsa_user_sgpr_kernarg_preload_length 0
		.amdhsa_user_sgpr_kernarg_preload_offset 0
		.amdhsa_user_sgpr_private_segment_size 0
		.amdhsa_uses_dynamic_stack 0
		.amdhsa_enable_private_segment 0
		.amdhsa_system_sgpr_workgroup_id_x 1
		.amdhsa_system_sgpr_workgroup_id_y 1
		.amdhsa_system_sgpr_workgroup_id_z 1
		.amdhsa_system_sgpr_workgroup_info 0
		.amdhsa_system_vgpr_workitem_id 1
		.amdhsa_next_free_vgpr 48
		.amdhsa_next_free_sgpr 25
		.amdhsa_accum_offset 48
		.amdhsa_reserve_vcc 1
		.amdhsa_float_round_mode_32 0
		.amdhsa_float_round_mode_16_64 0
		.amdhsa_float_denorm_mode_32 3
		.amdhsa_float_denorm_mode_16_64 3
		.amdhsa_dx10_clamp 1
		.amdhsa_ieee_mode 1
		.amdhsa_fp16_overflow 0
		.amdhsa_tg_split 0
		.amdhsa_exception_fp_ieee_invalid_op 0
		.amdhsa_exception_fp_denorm_src 0
		.amdhsa_exception_fp_ieee_div_zero 0
		.amdhsa_exception_fp_ieee_overflow 0
		.amdhsa_exception_fp_ieee_underflow 0
		.amdhsa_exception_fp_ieee_inexact 0
		.amdhsa_exception_int_div_zero 0
	.end_amdhsa_kernel
	.section	.text._ZL29rocblas_internal_gemmt_kernelIiLi16ELi32ELi8ELc67ELc78ELc85ELb0ELb0EffPKPKfPKPfEviT_T9_T10_S7_lS9_S7_lS8_T11_S7_li,"axG",@progbits,_ZL29rocblas_internal_gemmt_kernelIiLi16ELi32ELi8ELc67ELc78ELc85ELb0ELb0EffPKPKfPKPfEviT_T9_T10_S7_lS9_S7_lS8_T11_S7_li,comdat
.Lfunc_end312:
	.size	_ZL29rocblas_internal_gemmt_kernelIiLi16ELi32ELi8ELc67ELc78ELc85ELb0ELb0EffPKPKfPKPfEviT_T9_T10_S7_lS9_S7_lS8_T11_S7_li, .Lfunc_end312-_ZL29rocblas_internal_gemmt_kernelIiLi16ELi32ELi8ELc67ELc78ELc85ELb0ELb0EffPKPKfPKPfEviT_T9_T10_S7_lS9_S7_lS8_T11_S7_li
                                        ; -- End function
	.set _ZL29rocblas_internal_gemmt_kernelIiLi16ELi32ELi8ELc67ELc78ELc85ELb0ELb0EffPKPKfPKPfEviT_T9_T10_S7_lS9_S7_lS8_T11_S7_li.num_vgpr, 48
	.set _ZL29rocblas_internal_gemmt_kernelIiLi16ELi32ELi8ELc67ELc78ELc85ELb0ELb0EffPKPKfPKPfEviT_T9_T10_S7_lS9_S7_lS8_T11_S7_li.num_agpr, 0
	.set _ZL29rocblas_internal_gemmt_kernelIiLi16ELi32ELi8ELc67ELc78ELc85ELb0ELb0EffPKPKfPKPfEviT_T9_T10_S7_lS9_S7_lS8_T11_S7_li.numbered_sgpr, 25
	.set _ZL29rocblas_internal_gemmt_kernelIiLi16ELi32ELi8ELc67ELc78ELc85ELb0ELb0EffPKPKfPKPfEviT_T9_T10_S7_lS9_S7_lS8_T11_S7_li.num_named_barrier, 0
	.set _ZL29rocblas_internal_gemmt_kernelIiLi16ELi32ELi8ELc67ELc78ELc85ELb0ELb0EffPKPKfPKPfEviT_T9_T10_S7_lS9_S7_lS8_T11_S7_li.private_seg_size, 0
	.set _ZL29rocblas_internal_gemmt_kernelIiLi16ELi32ELi8ELc67ELc78ELc85ELb0ELb0EffPKPKfPKPfEviT_T9_T10_S7_lS9_S7_lS8_T11_S7_li.uses_vcc, 1
	.set _ZL29rocblas_internal_gemmt_kernelIiLi16ELi32ELi8ELc67ELc78ELc85ELb0ELb0EffPKPKfPKPfEviT_T9_T10_S7_lS9_S7_lS8_T11_S7_li.uses_flat_scratch, 0
	.set _ZL29rocblas_internal_gemmt_kernelIiLi16ELi32ELi8ELc67ELc78ELc85ELb0ELb0EffPKPKfPKPfEviT_T9_T10_S7_lS9_S7_lS8_T11_S7_li.has_dyn_sized_stack, 0
	.set _ZL29rocblas_internal_gemmt_kernelIiLi16ELi32ELi8ELc67ELc78ELc85ELb0ELb0EffPKPKfPKPfEviT_T9_T10_S7_lS9_S7_lS8_T11_S7_li.has_recursion, 0
	.set _ZL29rocblas_internal_gemmt_kernelIiLi16ELi32ELi8ELc67ELc78ELc85ELb0ELb0EffPKPKfPKPfEviT_T9_T10_S7_lS9_S7_lS8_T11_S7_li.has_indirect_call, 0
	.section	.AMDGPU.csdata,"",@progbits
; Kernel info:
; codeLenInByte = 1244
; TotalNumSgprs: 31
; NumVgprs: 48
; NumAgprs: 0
; TotalNumVgprs: 48
; ScratchSize: 0
; MemoryBound: 0
; FloatMode: 240
; IeeeMode: 1
; LDSByteSize: 2048 bytes/workgroup (compile time only)
; SGPRBlocks: 3
; VGPRBlocks: 5
; NumSGPRsForWavesPerEU: 31
; NumVGPRsForWavesPerEU: 48
; AccumOffset: 48
; Occupancy: 8
; WaveLimiterHint : 1
; COMPUTE_PGM_RSRC2:SCRATCH_EN: 0
; COMPUTE_PGM_RSRC2:USER_SGPR: 2
; COMPUTE_PGM_RSRC2:TRAP_HANDLER: 0
; COMPUTE_PGM_RSRC2:TGID_X_EN: 1
; COMPUTE_PGM_RSRC2:TGID_Y_EN: 1
; COMPUTE_PGM_RSRC2:TGID_Z_EN: 1
; COMPUTE_PGM_RSRC2:TIDIG_COMP_CNT: 1
; COMPUTE_PGM_RSRC3_GFX90A:ACCUM_OFFSET: 11
; COMPUTE_PGM_RSRC3_GFX90A:TG_SPLIT: 0
	.section	.text._ZL29rocblas_internal_gemmt_kernelIiLi16ELi32ELi8ELc67ELc84ELc85ELb0ELb0EffPKPKfPKPfEviT_T9_T10_S7_lS9_S7_lS8_T11_S7_li,"axG",@progbits,_ZL29rocblas_internal_gemmt_kernelIiLi16ELi32ELi8ELc67ELc84ELc85ELb0ELb0EffPKPKfPKPfEviT_T9_T10_S7_lS9_S7_lS8_T11_S7_li,comdat
	.globl	_ZL29rocblas_internal_gemmt_kernelIiLi16ELi32ELi8ELc67ELc84ELc85ELb0ELb0EffPKPKfPKPfEviT_T9_T10_S7_lS9_S7_lS8_T11_S7_li ; -- Begin function _ZL29rocblas_internal_gemmt_kernelIiLi16ELi32ELi8ELc67ELc84ELc85ELb0ELb0EffPKPKfPKPfEviT_T9_T10_S7_lS9_S7_lS8_T11_S7_li
	.p2align	8
	.type	_ZL29rocblas_internal_gemmt_kernelIiLi16ELi32ELi8ELc67ELc84ELc85ELb0ELb0EffPKPKfPKPfEviT_T9_T10_S7_lS9_S7_lS8_T11_S7_li,@function
_ZL29rocblas_internal_gemmt_kernelIiLi16ELi32ELi8ELc67ELc84ELc85ELb0ELb0EffPKPKfPKPfEviT_T9_T10_S7_lS9_S7_lS8_T11_S7_li: ; @_ZL29rocblas_internal_gemmt_kernelIiLi16ELi32ELi8ELc67ELc84ELc85ELb0ELb0EffPKPKfPKPfEviT_T9_T10_S7_lS9_S7_lS8_T11_S7_li
; %bb.0:
	s_load_dword s16, s[0:1], 0x40
	s_load_dwordx4 s[8:11], s[0:1], 0x0
	s_waitcnt lgkmcnt(0)
	v_cmp_neq_f32_e64 s[6:7], s16, 1.0
	s_and_b64 vcc, exec, s[6:7]
	s_cbranch_vccnz .LBB313_2
; %bb.1:
	s_cmp_lg_u32 s9, 0
	s_cselect_b64 s[6:7], -1, 0
	v_cmp_neq_f32_e64 s[12:13], s10, 0
	s_and_b64 s[6:7], s[6:7], s[12:13]
.LBB313_2:
	s_andn2_b64 vcc, exec, s[6:7]
	s_cbranch_vccnz .LBB313_26
; %bb.3:
	s_load_dwordx2 s[12:13], s[0:1], 0x48
	s_mov_b32 s5, 0
	s_lshl_b64 s[6:7], s[4:5], 3
	v_mov_b32_e32 v3, 0
	v_and_b32_e32 v8, 0x3ff, v0
	s_waitcnt lgkmcnt(0)
	s_add_u32 s12, s12, s6
	s_addc_u32 s13, s13, s7
	s_load_dwordx2 s[12:13], s[12:13], 0x0
	s_lshl_b32 s4, s2, 5
	s_lshl_b32 s11, s3, 5
	s_cmp_lt_i32 s9, 1
	v_cmp_eq_f32_e64 s[2:3], s10, 0
	s_cselect_b64 s[14:15], -1, 0
	s_or_b64 s[2:3], s[2:3], s[14:15]
	v_bfe_u32 v9, v0, 10, 10
	s_and_b64 vcc, exec, s[2:3]
	v_mov_b32_e32 v2, v3
	v_mov_b32_e32 v1, v3
	;; [unrolled: 1-line block ×3, first 2 shown]
	s_cbranch_vccnz .LBB313_10
; %bb.4:
	s_load_dwordx4 s[20:23], s[0:1], 0x20
	s_load_dword s14, s[0:1], 0x30
	v_lshl_add_u32 v0, v9, 4, v8
	s_load_dwordx2 s[2:3], s[0:1], 0x10
	s_load_dword s17, s[0:1], 0x18
	s_load_dwordx2 s[18:19], s[0:1], 0x38
	v_lshrrev_b32_e32 v11, 5, v0
	v_lshrrev_b32_e32 v1, 3, v0
	s_waitcnt lgkmcnt(0)
	s_ashr_i32 s15, s14, 31
	v_and_b32_e32 v0, 31, v0
	s_add_u32 s22, s22, s6
	v_or_b32_e32 v3, s4, v0
	s_addc_u32 s23, s23, s7
	v_and_b32_e32 v10, 7, v8
	s_add_u32 s2, s2, s6
	v_cmp_gt_i32_e32 vcc, s8, v3
	v_lshlrev_b32_e32 v3, 2, v0
	s_addc_u32 s3, s3, s7
	v_lshl_or_b32 v12, v11, 7, v3
	v_lshlrev_b32_e32 v3, 2, v10
	v_add_u32_e32 v2, s11, v1
	s_load_dwordx2 s[6:7], s[2:3], 0x0
	v_lshl_or_b32 v1, v1, 5, v3
	v_add_u32_e32 v13, 0x400, v1
	v_mov_b32_e32 v1, 0x400
	v_add_u32_e32 v0, s4, v0
	v_lshl_add_u32 v15, v9, 5, v1
	v_mad_i64_i32 v[0:1], s[24:25], s17, v0, 0
	s_lshl_b64 s[20:21], s[20:21], 2
	v_lshl_add_u64 v[4:5], v[0:1], 2, s[20:21]
	v_lshlrev_b32_e32 v0, 2, v11
	v_mov_b32_e32 v1, 0
	s_load_dwordx2 s[22:23], s[22:23], 0x0
	v_lshl_add_u64 v[4:5], v[4:5], 0, v[0:1]
	s_waitcnt lgkmcnt(0)
	v_lshl_add_u64 v[4:5], s[6:7], 0, v[4:5]
	v_mad_i64_i32 v[6:7], s[6:7], s14, v10, 0
	s_lshl_b64 s[6:7], s[18:19], 2
	v_ashrrev_i32_e32 v3, 31, v2
	v_lshl_add_u64 v[6:7], v[6:7], 2, s[6:7]
	v_cmp_gt_i32_e64 s[2:3], s8, v2
	v_lshl_add_u64 v[2:3], v[2:3], 2, v[6:7]
	v_lshlrev_b32_e32 v14, 2, v8
	v_lshl_add_u64 v[6:7], s[22:23], 0, v[2:3]
	s_lshl_b64 s[14:15], s[14:15], 5
	v_mov_b32_e32 v0, v1
	v_mov_b32_e32 v2, v1
	;; [unrolled: 1-line block ×3, first 2 shown]
	s_branch .LBB313_6
.LBB313_5:                              ;   in Loop: Header=BB313_6 Depth=1
	s_or_b64 exec, exec, s[6:7]
	s_waitcnt vmcnt(0) lgkmcnt(0)
	ds_write_b32 v13, v16
	s_waitcnt lgkmcnt(0)
	s_barrier
	ds_read_b128 v[16:19], v15
	ds_read_b128 v[20:23], v15 offset:16
	ds_read2_b32 v[32:33], v14 offset1:16
	ds_read2_b32 v[34:35], v14 offset0:32 offset1:48
	ds_read2_b32 v[36:37], v14 offset0:64 offset1:80
	;; [unrolled: 1-line block ×4, first 2 shown]
	ds_read_b128 v[24:27], v15 offset:512
	ds_read_b128 v[28:31], v15 offset:528
	ds_read2_b32 v[42:43], v14 offset0:160 offset1:176
	ds_read2_b32 v[44:45], v14 offset0:192 offset1:208
	ds_read2_b32 v[46:47], v14 offset0:224 offset1:240
	s_waitcnt lgkmcnt(9)
	v_pk_fma_f32 v[2:3], v[32:33], v[16:17], v[2:3] op_sel_hi:[1,0,1]
	s_waitcnt lgkmcnt(4)
	v_pk_fma_f32 v[0:1], v[32:33], v[24:25], v[0:1] op_sel_hi:[1,0,1]
	v_pk_fma_f32 v[2:3], v[34:35], v[16:17], v[2:3] op_sel:[0,1,0]
	v_mov_b32_e32 v16, v19
	v_pk_fma_f32 v[2:3], v[36:37], v[18:19], v[2:3] op_sel_hi:[1,0,1]
	v_pk_fma_f32 v[0:1], v[34:35], v[24:25], v[0:1] op_sel:[0,1,0]
	v_pk_fma_f32 v[2:3], v[38:39], v[16:17], v[2:3] op_sel_hi:[1,0,1]
	v_mov_b32_e32 v16, v23
	v_pk_fma_f32 v[2:3], v[40:41], v[20:21], v[2:3] op_sel_hi:[1,0,1]
	v_pk_fma_f32 v[0:1], v[36:37], v[26:27], v[0:1] op_sel_hi:[1,0,1]
	s_waitcnt lgkmcnt(2)
	v_pk_fma_f32 v[2:3], v[42:43], v[20:21], v[2:3] op_sel:[0,1,0]
	s_add_i32 s5, s5, 8
	s_waitcnt lgkmcnt(1)
	v_pk_fma_f32 v[2:3], v[44:45], v[22:23], v[2:3] op_sel_hi:[1,0,1]
	v_lshl_add_u64 v[4:5], v[4:5], 0, 32
	s_waitcnt lgkmcnt(0)
	v_pk_fma_f32 v[2:3], v[46:47], v[16:17], v[2:3] op_sel_hi:[1,0,1]
	v_mov_b32_e32 v16, v27
	v_pk_fma_f32 v[0:1], v[38:39], v[16:17], v[0:1] op_sel_hi:[1,0,1]
	v_mov_b32_e32 v16, v31
	v_pk_fma_f32 v[0:1], v[40:41], v[28:29], v[0:1] op_sel_hi:[1,0,1]
	s_cmp_lt_i32 s5, s9
	v_pk_fma_f32 v[0:1], v[42:43], v[28:29], v[0:1] op_sel:[0,1,0]
	v_lshl_add_u64 v[6:7], v[6:7], 0, s[14:15]
	v_pk_fma_f32 v[0:1], v[44:45], v[30:31], v[0:1] op_sel_hi:[1,0,1]
	s_nop 0
	v_pk_fma_f32 v[0:1], v[46:47], v[16:17], v[0:1] op_sel_hi:[1,0,1]
	s_barrier
	s_cbranch_scc0 .LBB313_10
.LBB313_6:                              ; =>This Inner Loop Header: Depth=1
	v_add_u32_e32 v16, s5, v11
	v_cmp_gt_i32_e64 s[6:7], s9, v16
	s_and_b64 s[18:19], vcc, s[6:7]
	v_mov_b32_e32 v16, 0
	s_and_saveexec_b64 s[6:7], s[18:19]
	s_cbranch_execz .LBB313_8
; %bb.7:                                ;   in Loop: Header=BB313_6 Depth=1
	flat_load_dword v16, v[4:5]
.LBB313_8:                              ;   in Loop: Header=BB313_6 Depth=1
	s_or_b64 exec, exec, s[6:7]
	s_waitcnt vmcnt(0) lgkmcnt(0)
	ds_write_b32 v12, v16
	v_add_u32_e32 v16, s5, v10
	v_cmp_gt_i32_e64 s[6:7], s9, v16
	s_and_b64 s[18:19], s[6:7], s[2:3]
	v_mov_b32_e32 v16, 0
	s_and_saveexec_b64 s[6:7], s[18:19]
	s_cbranch_execz .LBB313_5
; %bb.9:                                ;   in Loop: Header=BB313_6 Depth=1
	flat_load_dword v16, v[6:7]
	s_branch .LBB313_5
.LBB313_10:
	s_load_dwordx2 s[6:7], s[0:1], 0x58
	s_load_dword s9, s[0:1], 0x50
	v_add_u32_e32 v4, s4, v8
	v_add_u32_e32 v10, s11, v9
	v_cmp_gt_i32_e64 s[2:3], s8, v10
	s_waitcnt lgkmcnt(0)
	s_lshl_b64 s[0:1], s[6:7], 2
	s_add_u32 s4, s12, s0
	s_addc_u32 s5, s13, s1
	v_mad_i64_i32 v[6:7], s[0:1], v10, s9, 0
	v_cmp_neq_f32_e64 s[0:1], s16, 0
	v_lshl_add_u64 v[8:9], v[6:7], 2, s[4:5]
	v_cmp_le_i32_e32 vcc, v4, v10
	v_cndmask_b32_e64 v6, 0, 1, s[0:1]
	s_and_b64 s[12:13], s[2:3], vcc
	v_ashrrev_i32_e32 v5, 31, v4
	v_cmp_ne_u32_e64 s[0:1], 1, v6
	s_and_saveexec_b64 s[6:7], s[12:13]
	s_cbranch_execz .LBB313_14
; %bb.11:
	v_mul_f32_e32 v2, s10, v2
	s_and_b64 vcc, exec, s[0:1]
	v_lshl_add_u64 v[6:7], v[4:5], 2, v[8:9]
	s_cbranch_vccnz .LBB313_13
; %bb.12:
	flat_load_dword v11, v[6:7]
	s_waitcnt vmcnt(0) lgkmcnt(0)
	v_fmac_f32_e32 v2, s16, v11
.LBB313_13:
	flat_store_dword v[6:7], v2
.LBB313_14:
	s_or_b64 exec, exec, s[6:7]
	v_add_u32_e32 v6, 16, v4
	v_cmp_le_i32_e32 vcc, v6, v10
	s_and_b64 s[6:7], s[2:3], vcc
	v_ashrrev_i32_e32 v7, 31, v6
	s_and_saveexec_b64 s[2:3], s[6:7]
	s_cbranch_execz .LBB313_18
; %bb.15:
	v_mul_f32_e32 v11, s10, v3
	s_and_b64 vcc, exec, s[0:1]
	v_lshl_add_u64 v[2:3], v[6:7], 2, v[8:9]
	s_cbranch_vccnz .LBB313_17
; %bb.16:
	flat_load_dword v8, v[2:3]
	s_waitcnt vmcnt(0) lgkmcnt(0)
	v_fmac_f32_e32 v11, s16, v8
.LBB313_17:
	flat_store_dword v[2:3], v11
.LBB313_18:
	s_or_b64 exec, exec, s[2:3]
	v_add_u32_e32 v8, 16, v10
	v_cmp_gt_i32_e64 s[2:3], s8, v8
	v_mad_i64_i32 v[2:3], s[6:7], v8, s9, 0
	v_cmp_le_i32_e32 vcc, v4, v8
	v_lshl_add_u64 v[2:3], v[2:3], 2, s[4:5]
	s_and_b64 s[6:7], s[2:3], vcc
	s_and_saveexec_b64 s[4:5], s[6:7]
	s_cbranch_execz .LBB313_22
; %bb.19:
	v_mul_f32_e32 v0, s10, v0
	s_and_b64 vcc, exec, s[0:1]
	v_lshl_add_u64 v[4:5], v[4:5], 2, v[2:3]
	s_cbranch_vccnz .LBB313_21
; %bb.20:
	flat_load_dword v9, v[4:5]
	s_waitcnt vmcnt(0) lgkmcnt(0)
	v_fmac_f32_e32 v0, s16, v9
.LBB313_21:
	flat_store_dword v[4:5], v0
.LBB313_22:
	s_or_b64 exec, exec, s[4:5]
	v_cmp_le_i32_e32 vcc, v6, v8
	s_and_b64 s[2:3], s[2:3], vcc
	s_and_saveexec_b64 s[4:5], s[2:3]
	s_cbranch_execz .LBB313_26
; %bb.23:
	v_mul_f32_e32 v4, s10, v1
	s_and_b64 vcc, exec, s[0:1]
	v_lshl_add_u64 v[0:1], v[6:7], 2, v[2:3]
	s_cbranch_vccnz .LBB313_25
; %bb.24:
	flat_load_dword v2, v[0:1]
	s_waitcnt vmcnt(0) lgkmcnt(0)
	v_fmac_f32_e32 v4, s16, v2
.LBB313_25:
	flat_store_dword v[0:1], v4
.LBB313_26:
	s_endpgm
	.section	.rodata,"a",@progbits
	.p2align	6, 0x0
	.amdhsa_kernel _ZL29rocblas_internal_gemmt_kernelIiLi16ELi32ELi8ELc67ELc84ELc85ELb0ELb0EffPKPKfPKPfEviT_T9_T10_S7_lS9_S7_lS8_T11_S7_li
		.amdhsa_group_segment_fixed_size 2048
		.amdhsa_private_segment_fixed_size 0
		.amdhsa_kernarg_size 100
		.amdhsa_user_sgpr_count 2
		.amdhsa_user_sgpr_dispatch_ptr 0
		.amdhsa_user_sgpr_queue_ptr 0
		.amdhsa_user_sgpr_kernarg_segment_ptr 1
		.amdhsa_user_sgpr_dispatch_id 0
		.amdhsa_user_sgpr_kernarg_preload_length 0
		.amdhsa_user_sgpr_kernarg_preload_offset 0
		.amdhsa_user_sgpr_private_segment_size 0
		.amdhsa_uses_dynamic_stack 0
		.amdhsa_enable_private_segment 0
		.amdhsa_system_sgpr_workgroup_id_x 1
		.amdhsa_system_sgpr_workgroup_id_y 1
		.amdhsa_system_sgpr_workgroup_id_z 1
		.amdhsa_system_sgpr_workgroup_info 0
		.amdhsa_system_vgpr_workitem_id 1
		.amdhsa_next_free_vgpr 48
		.amdhsa_next_free_sgpr 26
		.amdhsa_accum_offset 48
		.amdhsa_reserve_vcc 1
		.amdhsa_float_round_mode_32 0
		.amdhsa_float_round_mode_16_64 0
		.amdhsa_float_denorm_mode_32 3
		.amdhsa_float_denorm_mode_16_64 3
		.amdhsa_dx10_clamp 1
		.amdhsa_ieee_mode 1
		.amdhsa_fp16_overflow 0
		.amdhsa_tg_split 0
		.amdhsa_exception_fp_ieee_invalid_op 0
		.amdhsa_exception_fp_denorm_src 0
		.amdhsa_exception_fp_ieee_div_zero 0
		.amdhsa_exception_fp_ieee_overflow 0
		.amdhsa_exception_fp_ieee_underflow 0
		.amdhsa_exception_fp_ieee_inexact 0
		.amdhsa_exception_int_div_zero 0
	.end_amdhsa_kernel
	.section	.text._ZL29rocblas_internal_gemmt_kernelIiLi16ELi32ELi8ELc67ELc84ELc85ELb0ELb0EffPKPKfPKPfEviT_T9_T10_S7_lS9_S7_lS8_T11_S7_li,"axG",@progbits,_ZL29rocblas_internal_gemmt_kernelIiLi16ELi32ELi8ELc67ELc84ELc85ELb0ELb0EffPKPKfPKPfEviT_T9_T10_S7_lS9_S7_lS8_T11_S7_li,comdat
.Lfunc_end313:
	.size	_ZL29rocblas_internal_gemmt_kernelIiLi16ELi32ELi8ELc67ELc84ELc85ELb0ELb0EffPKPKfPKPfEviT_T9_T10_S7_lS9_S7_lS8_T11_S7_li, .Lfunc_end313-_ZL29rocblas_internal_gemmt_kernelIiLi16ELi32ELi8ELc67ELc84ELc85ELb0ELb0EffPKPKfPKPfEviT_T9_T10_S7_lS9_S7_lS8_T11_S7_li
                                        ; -- End function
	.set _ZL29rocblas_internal_gemmt_kernelIiLi16ELi32ELi8ELc67ELc84ELc85ELb0ELb0EffPKPKfPKPfEviT_T9_T10_S7_lS9_S7_lS8_T11_S7_li.num_vgpr, 48
	.set _ZL29rocblas_internal_gemmt_kernelIiLi16ELi32ELi8ELc67ELc84ELc85ELb0ELb0EffPKPKfPKPfEviT_T9_T10_S7_lS9_S7_lS8_T11_S7_li.num_agpr, 0
	.set _ZL29rocblas_internal_gemmt_kernelIiLi16ELi32ELi8ELc67ELc84ELc85ELb0ELb0EffPKPKfPKPfEviT_T9_T10_S7_lS9_S7_lS8_T11_S7_li.numbered_sgpr, 26
	.set _ZL29rocblas_internal_gemmt_kernelIiLi16ELi32ELi8ELc67ELc84ELc85ELb0ELb0EffPKPKfPKPfEviT_T9_T10_S7_lS9_S7_lS8_T11_S7_li.num_named_barrier, 0
	.set _ZL29rocblas_internal_gemmt_kernelIiLi16ELi32ELi8ELc67ELc84ELc85ELb0ELb0EffPKPKfPKPfEviT_T9_T10_S7_lS9_S7_lS8_T11_S7_li.private_seg_size, 0
	.set _ZL29rocblas_internal_gemmt_kernelIiLi16ELi32ELi8ELc67ELc84ELc85ELb0ELb0EffPKPKfPKPfEviT_T9_T10_S7_lS9_S7_lS8_T11_S7_li.uses_vcc, 1
	.set _ZL29rocblas_internal_gemmt_kernelIiLi16ELi32ELi8ELc67ELc84ELc85ELb0ELb0EffPKPKfPKPfEviT_T9_T10_S7_lS9_S7_lS8_T11_S7_li.uses_flat_scratch, 0
	.set _ZL29rocblas_internal_gemmt_kernelIiLi16ELi32ELi8ELc67ELc84ELc85ELb0ELb0EffPKPKfPKPfEviT_T9_T10_S7_lS9_S7_lS8_T11_S7_li.has_dyn_sized_stack, 0
	.set _ZL29rocblas_internal_gemmt_kernelIiLi16ELi32ELi8ELc67ELc84ELc85ELb0ELb0EffPKPKfPKPfEviT_T9_T10_S7_lS9_S7_lS8_T11_S7_li.has_recursion, 0
	.set _ZL29rocblas_internal_gemmt_kernelIiLi16ELi32ELi8ELc67ELc84ELc85ELb0ELb0EffPKPKfPKPfEviT_T9_T10_S7_lS9_S7_lS8_T11_S7_li.has_indirect_call, 0
	.section	.AMDGPU.csdata,"",@progbits
; Kernel info:
; codeLenInByte = 1252
; TotalNumSgprs: 32
; NumVgprs: 48
; NumAgprs: 0
; TotalNumVgprs: 48
; ScratchSize: 0
; MemoryBound: 0
; FloatMode: 240
; IeeeMode: 1
; LDSByteSize: 2048 bytes/workgroup (compile time only)
; SGPRBlocks: 3
; VGPRBlocks: 5
; NumSGPRsForWavesPerEU: 32
; NumVGPRsForWavesPerEU: 48
; AccumOffset: 48
; Occupancy: 8
; WaveLimiterHint : 1
; COMPUTE_PGM_RSRC2:SCRATCH_EN: 0
; COMPUTE_PGM_RSRC2:USER_SGPR: 2
; COMPUTE_PGM_RSRC2:TRAP_HANDLER: 0
; COMPUTE_PGM_RSRC2:TGID_X_EN: 1
; COMPUTE_PGM_RSRC2:TGID_Y_EN: 1
; COMPUTE_PGM_RSRC2:TGID_Z_EN: 1
; COMPUTE_PGM_RSRC2:TIDIG_COMP_CNT: 1
; COMPUTE_PGM_RSRC3_GFX90A:ACCUM_OFFSET: 11
; COMPUTE_PGM_RSRC3_GFX90A:TG_SPLIT: 0
	.section	.text._ZL29rocblas_internal_gemmt_kernelIiLi16ELi32ELi8ELc67ELc67ELc85ELb0ELb0EffPKPKfPKPfEviT_T9_T10_S7_lS9_S7_lS8_T11_S7_li,"axG",@progbits,_ZL29rocblas_internal_gemmt_kernelIiLi16ELi32ELi8ELc67ELc67ELc85ELb0ELb0EffPKPKfPKPfEviT_T9_T10_S7_lS9_S7_lS8_T11_S7_li,comdat
	.globl	_ZL29rocblas_internal_gemmt_kernelIiLi16ELi32ELi8ELc67ELc67ELc85ELb0ELb0EffPKPKfPKPfEviT_T9_T10_S7_lS9_S7_lS8_T11_S7_li ; -- Begin function _ZL29rocblas_internal_gemmt_kernelIiLi16ELi32ELi8ELc67ELc67ELc85ELb0ELb0EffPKPKfPKPfEviT_T9_T10_S7_lS9_S7_lS8_T11_S7_li
	.p2align	8
	.type	_ZL29rocblas_internal_gemmt_kernelIiLi16ELi32ELi8ELc67ELc67ELc85ELb0ELb0EffPKPKfPKPfEviT_T9_T10_S7_lS9_S7_lS8_T11_S7_li,@function
_ZL29rocblas_internal_gemmt_kernelIiLi16ELi32ELi8ELc67ELc67ELc85ELb0ELb0EffPKPKfPKPfEviT_T9_T10_S7_lS9_S7_lS8_T11_S7_li: ; @_ZL29rocblas_internal_gemmt_kernelIiLi16ELi32ELi8ELc67ELc67ELc85ELb0ELb0EffPKPKfPKPfEviT_T9_T10_S7_lS9_S7_lS8_T11_S7_li
; %bb.0:
	s_load_dword s16, s[0:1], 0x40
	s_load_dwordx4 s[8:11], s[0:1], 0x0
	s_waitcnt lgkmcnt(0)
	v_cmp_neq_f32_e64 s[6:7], s16, 1.0
	s_and_b64 vcc, exec, s[6:7]
	s_cbranch_vccnz .LBB314_2
; %bb.1:
	s_cmp_lg_u32 s9, 0
	s_cselect_b64 s[6:7], -1, 0
	v_cmp_neq_f32_e64 s[12:13], s10, 0
	s_and_b64 s[6:7], s[6:7], s[12:13]
.LBB314_2:
	s_andn2_b64 vcc, exec, s[6:7]
	s_cbranch_vccnz .LBB314_26
; %bb.3:
	s_load_dwordx2 s[12:13], s[0:1], 0x48
	s_mov_b32 s5, 0
	s_lshl_b64 s[6:7], s[4:5], 3
	v_mov_b32_e32 v3, 0
	v_and_b32_e32 v8, 0x3ff, v0
	s_waitcnt lgkmcnt(0)
	s_add_u32 s12, s12, s6
	s_addc_u32 s13, s13, s7
	s_load_dwordx2 s[12:13], s[12:13], 0x0
	s_lshl_b32 s4, s2, 5
	s_lshl_b32 s11, s3, 5
	s_cmp_lt_i32 s9, 1
	v_cmp_eq_f32_e64 s[2:3], s10, 0
	s_cselect_b64 s[14:15], -1, 0
	s_or_b64 s[2:3], s[2:3], s[14:15]
	v_bfe_u32 v9, v0, 10, 10
	s_and_b64 vcc, exec, s[2:3]
	v_mov_b32_e32 v2, v3
	v_mov_b32_e32 v1, v3
	;; [unrolled: 1-line block ×3, first 2 shown]
	s_cbranch_vccnz .LBB314_10
; %bb.4:
	s_load_dwordx4 s[20:23], s[0:1], 0x20
	s_load_dword s14, s[0:1], 0x30
	v_lshl_add_u32 v0, v9, 4, v8
	s_load_dwordx2 s[2:3], s[0:1], 0x10
	s_load_dword s17, s[0:1], 0x18
	s_load_dwordx2 s[18:19], s[0:1], 0x38
	v_lshrrev_b32_e32 v11, 5, v0
	v_lshrrev_b32_e32 v1, 3, v0
	s_waitcnt lgkmcnt(0)
	s_ashr_i32 s15, s14, 31
	v_and_b32_e32 v0, 31, v0
	s_add_u32 s22, s22, s6
	v_or_b32_e32 v3, s4, v0
	s_addc_u32 s23, s23, s7
	v_and_b32_e32 v10, 7, v8
	s_add_u32 s2, s2, s6
	v_cmp_gt_i32_e32 vcc, s8, v3
	v_lshlrev_b32_e32 v3, 2, v0
	s_addc_u32 s3, s3, s7
	v_lshl_or_b32 v12, v11, 7, v3
	v_lshlrev_b32_e32 v3, 2, v10
	v_add_u32_e32 v2, s11, v1
	s_load_dwordx2 s[6:7], s[2:3], 0x0
	v_lshl_or_b32 v1, v1, 5, v3
	v_add_u32_e32 v13, 0x400, v1
	v_mov_b32_e32 v1, 0x400
	v_add_u32_e32 v0, s4, v0
	v_lshl_add_u32 v15, v9, 5, v1
	v_mad_i64_i32 v[0:1], s[24:25], s17, v0, 0
	s_lshl_b64 s[20:21], s[20:21], 2
	v_lshl_add_u64 v[4:5], v[0:1], 2, s[20:21]
	v_lshlrev_b32_e32 v0, 2, v11
	v_mov_b32_e32 v1, 0
	s_load_dwordx2 s[22:23], s[22:23], 0x0
	v_lshl_add_u64 v[4:5], v[4:5], 0, v[0:1]
	s_waitcnt lgkmcnt(0)
	v_lshl_add_u64 v[4:5], s[6:7], 0, v[4:5]
	v_mad_i64_i32 v[6:7], s[6:7], s14, v10, 0
	s_lshl_b64 s[6:7], s[18:19], 2
	v_ashrrev_i32_e32 v3, 31, v2
	v_lshl_add_u64 v[6:7], v[6:7], 2, s[6:7]
	v_cmp_gt_i32_e64 s[2:3], s8, v2
	v_lshl_add_u64 v[2:3], v[2:3], 2, v[6:7]
	v_lshlrev_b32_e32 v14, 2, v8
	v_lshl_add_u64 v[6:7], s[22:23], 0, v[2:3]
	s_lshl_b64 s[14:15], s[14:15], 5
	v_mov_b32_e32 v0, v1
	v_mov_b32_e32 v2, v1
	;; [unrolled: 1-line block ×3, first 2 shown]
	s_branch .LBB314_6
.LBB314_5:                              ;   in Loop: Header=BB314_6 Depth=1
	s_or_b64 exec, exec, s[6:7]
	s_waitcnt vmcnt(0) lgkmcnt(0)
	ds_write_b32 v13, v16
	s_waitcnt lgkmcnt(0)
	s_barrier
	ds_read_b128 v[16:19], v15
	ds_read_b128 v[20:23], v15 offset:16
	ds_read2_b32 v[32:33], v14 offset1:16
	ds_read2_b32 v[34:35], v14 offset0:32 offset1:48
	ds_read2_b32 v[36:37], v14 offset0:64 offset1:80
	;; [unrolled: 1-line block ×4, first 2 shown]
	ds_read_b128 v[24:27], v15 offset:512
	ds_read_b128 v[28:31], v15 offset:528
	ds_read2_b32 v[42:43], v14 offset0:160 offset1:176
	ds_read2_b32 v[44:45], v14 offset0:192 offset1:208
	;; [unrolled: 1-line block ×3, first 2 shown]
	s_waitcnt lgkmcnt(9)
	v_pk_fma_f32 v[2:3], v[32:33], v[16:17], v[2:3] op_sel_hi:[1,0,1]
	s_waitcnt lgkmcnt(4)
	v_pk_fma_f32 v[0:1], v[32:33], v[24:25], v[0:1] op_sel_hi:[1,0,1]
	v_pk_fma_f32 v[2:3], v[34:35], v[16:17], v[2:3] op_sel:[0,1,0]
	v_mov_b32_e32 v16, v19
	v_pk_fma_f32 v[2:3], v[36:37], v[18:19], v[2:3] op_sel_hi:[1,0,1]
	v_pk_fma_f32 v[0:1], v[34:35], v[24:25], v[0:1] op_sel:[0,1,0]
	v_pk_fma_f32 v[2:3], v[38:39], v[16:17], v[2:3] op_sel_hi:[1,0,1]
	v_mov_b32_e32 v16, v23
	v_pk_fma_f32 v[2:3], v[40:41], v[20:21], v[2:3] op_sel_hi:[1,0,1]
	v_pk_fma_f32 v[0:1], v[36:37], v[26:27], v[0:1] op_sel_hi:[1,0,1]
	s_waitcnt lgkmcnt(2)
	v_pk_fma_f32 v[2:3], v[42:43], v[20:21], v[2:3] op_sel:[0,1,0]
	s_add_i32 s5, s5, 8
	s_waitcnt lgkmcnt(1)
	v_pk_fma_f32 v[2:3], v[44:45], v[22:23], v[2:3] op_sel_hi:[1,0,1]
	v_lshl_add_u64 v[4:5], v[4:5], 0, 32
	s_waitcnt lgkmcnt(0)
	v_pk_fma_f32 v[2:3], v[46:47], v[16:17], v[2:3] op_sel_hi:[1,0,1]
	v_mov_b32_e32 v16, v27
	v_pk_fma_f32 v[0:1], v[38:39], v[16:17], v[0:1] op_sel_hi:[1,0,1]
	v_mov_b32_e32 v16, v31
	v_pk_fma_f32 v[0:1], v[40:41], v[28:29], v[0:1] op_sel_hi:[1,0,1]
	s_cmp_lt_i32 s5, s9
	v_pk_fma_f32 v[0:1], v[42:43], v[28:29], v[0:1] op_sel:[0,1,0]
	v_lshl_add_u64 v[6:7], v[6:7], 0, s[14:15]
	v_pk_fma_f32 v[0:1], v[44:45], v[30:31], v[0:1] op_sel_hi:[1,0,1]
	s_nop 0
	v_pk_fma_f32 v[0:1], v[46:47], v[16:17], v[0:1] op_sel_hi:[1,0,1]
	s_barrier
	s_cbranch_scc0 .LBB314_10
.LBB314_6:                              ; =>This Inner Loop Header: Depth=1
	v_add_u32_e32 v16, s5, v11
	v_cmp_gt_i32_e64 s[6:7], s9, v16
	s_and_b64 s[18:19], vcc, s[6:7]
	v_mov_b32_e32 v16, 0
	s_and_saveexec_b64 s[6:7], s[18:19]
	s_cbranch_execz .LBB314_8
; %bb.7:                                ;   in Loop: Header=BB314_6 Depth=1
	flat_load_dword v16, v[4:5]
.LBB314_8:                              ;   in Loop: Header=BB314_6 Depth=1
	s_or_b64 exec, exec, s[6:7]
	s_waitcnt vmcnt(0) lgkmcnt(0)
	ds_write_b32 v12, v16
	v_add_u32_e32 v16, s5, v10
	v_cmp_gt_i32_e64 s[6:7], s9, v16
	s_and_b64 s[18:19], s[6:7], s[2:3]
	v_mov_b32_e32 v16, 0
	s_and_saveexec_b64 s[6:7], s[18:19]
	s_cbranch_execz .LBB314_5
; %bb.9:                                ;   in Loop: Header=BB314_6 Depth=1
	flat_load_dword v16, v[6:7]
	s_branch .LBB314_5
.LBB314_10:
	s_load_dwordx2 s[6:7], s[0:1], 0x58
	s_load_dword s9, s[0:1], 0x50
	v_add_u32_e32 v4, s4, v8
	v_add_u32_e32 v10, s11, v9
	v_cmp_gt_i32_e64 s[2:3], s8, v10
	s_waitcnt lgkmcnt(0)
	s_lshl_b64 s[0:1], s[6:7], 2
	s_add_u32 s4, s12, s0
	s_addc_u32 s5, s13, s1
	v_mad_i64_i32 v[6:7], s[0:1], v10, s9, 0
	v_cmp_neq_f32_e64 s[0:1], s16, 0
	v_lshl_add_u64 v[8:9], v[6:7], 2, s[4:5]
	v_cmp_le_i32_e32 vcc, v4, v10
	v_cndmask_b32_e64 v6, 0, 1, s[0:1]
	s_and_b64 s[12:13], s[2:3], vcc
	v_ashrrev_i32_e32 v5, 31, v4
	v_cmp_ne_u32_e64 s[0:1], 1, v6
	s_and_saveexec_b64 s[6:7], s[12:13]
	s_cbranch_execz .LBB314_14
; %bb.11:
	v_mul_f32_e32 v2, s10, v2
	s_and_b64 vcc, exec, s[0:1]
	v_lshl_add_u64 v[6:7], v[4:5], 2, v[8:9]
	s_cbranch_vccnz .LBB314_13
; %bb.12:
	flat_load_dword v11, v[6:7]
	s_waitcnt vmcnt(0) lgkmcnt(0)
	v_fmac_f32_e32 v2, s16, v11
.LBB314_13:
	flat_store_dword v[6:7], v2
.LBB314_14:
	s_or_b64 exec, exec, s[6:7]
	v_add_u32_e32 v6, 16, v4
	v_cmp_le_i32_e32 vcc, v6, v10
	s_and_b64 s[6:7], s[2:3], vcc
	v_ashrrev_i32_e32 v7, 31, v6
	s_and_saveexec_b64 s[2:3], s[6:7]
	s_cbranch_execz .LBB314_18
; %bb.15:
	v_mul_f32_e32 v11, s10, v3
	s_and_b64 vcc, exec, s[0:1]
	v_lshl_add_u64 v[2:3], v[6:7], 2, v[8:9]
	s_cbranch_vccnz .LBB314_17
; %bb.16:
	flat_load_dword v8, v[2:3]
	s_waitcnt vmcnt(0) lgkmcnt(0)
	v_fmac_f32_e32 v11, s16, v8
.LBB314_17:
	flat_store_dword v[2:3], v11
.LBB314_18:
	s_or_b64 exec, exec, s[2:3]
	v_add_u32_e32 v8, 16, v10
	v_cmp_gt_i32_e64 s[2:3], s8, v8
	v_mad_i64_i32 v[2:3], s[6:7], v8, s9, 0
	v_cmp_le_i32_e32 vcc, v4, v8
	v_lshl_add_u64 v[2:3], v[2:3], 2, s[4:5]
	s_and_b64 s[6:7], s[2:3], vcc
	s_and_saveexec_b64 s[4:5], s[6:7]
	s_cbranch_execz .LBB314_22
; %bb.19:
	v_mul_f32_e32 v0, s10, v0
	s_and_b64 vcc, exec, s[0:1]
	v_lshl_add_u64 v[4:5], v[4:5], 2, v[2:3]
	s_cbranch_vccnz .LBB314_21
; %bb.20:
	flat_load_dword v9, v[4:5]
	s_waitcnt vmcnt(0) lgkmcnt(0)
	v_fmac_f32_e32 v0, s16, v9
.LBB314_21:
	flat_store_dword v[4:5], v0
.LBB314_22:
	s_or_b64 exec, exec, s[4:5]
	v_cmp_le_i32_e32 vcc, v6, v8
	s_and_b64 s[2:3], s[2:3], vcc
	s_and_saveexec_b64 s[4:5], s[2:3]
	s_cbranch_execz .LBB314_26
; %bb.23:
	v_mul_f32_e32 v4, s10, v1
	s_and_b64 vcc, exec, s[0:1]
	v_lshl_add_u64 v[0:1], v[6:7], 2, v[2:3]
	s_cbranch_vccnz .LBB314_25
; %bb.24:
	flat_load_dword v2, v[0:1]
	s_waitcnt vmcnt(0) lgkmcnt(0)
	v_fmac_f32_e32 v4, s16, v2
.LBB314_25:
	flat_store_dword v[0:1], v4
.LBB314_26:
	s_endpgm
	.section	.rodata,"a",@progbits
	.p2align	6, 0x0
	.amdhsa_kernel _ZL29rocblas_internal_gemmt_kernelIiLi16ELi32ELi8ELc67ELc67ELc85ELb0ELb0EffPKPKfPKPfEviT_T9_T10_S7_lS9_S7_lS8_T11_S7_li
		.amdhsa_group_segment_fixed_size 2048
		.amdhsa_private_segment_fixed_size 0
		.amdhsa_kernarg_size 100
		.amdhsa_user_sgpr_count 2
		.amdhsa_user_sgpr_dispatch_ptr 0
		.amdhsa_user_sgpr_queue_ptr 0
		.amdhsa_user_sgpr_kernarg_segment_ptr 1
		.amdhsa_user_sgpr_dispatch_id 0
		.amdhsa_user_sgpr_kernarg_preload_length 0
		.amdhsa_user_sgpr_kernarg_preload_offset 0
		.amdhsa_user_sgpr_private_segment_size 0
		.amdhsa_uses_dynamic_stack 0
		.amdhsa_enable_private_segment 0
		.amdhsa_system_sgpr_workgroup_id_x 1
		.amdhsa_system_sgpr_workgroup_id_y 1
		.amdhsa_system_sgpr_workgroup_id_z 1
		.amdhsa_system_sgpr_workgroup_info 0
		.amdhsa_system_vgpr_workitem_id 1
		.amdhsa_next_free_vgpr 48
		.amdhsa_next_free_sgpr 26
		.amdhsa_accum_offset 48
		.amdhsa_reserve_vcc 1
		.amdhsa_float_round_mode_32 0
		.amdhsa_float_round_mode_16_64 0
		.amdhsa_float_denorm_mode_32 3
		.amdhsa_float_denorm_mode_16_64 3
		.amdhsa_dx10_clamp 1
		.amdhsa_ieee_mode 1
		.amdhsa_fp16_overflow 0
		.amdhsa_tg_split 0
		.amdhsa_exception_fp_ieee_invalid_op 0
		.amdhsa_exception_fp_denorm_src 0
		.amdhsa_exception_fp_ieee_div_zero 0
		.amdhsa_exception_fp_ieee_overflow 0
		.amdhsa_exception_fp_ieee_underflow 0
		.amdhsa_exception_fp_ieee_inexact 0
		.amdhsa_exception_int_div_zero 0
	.end_amdhsa_kernel
	.section	.text._ZL29rocblas_internal_gemmt_kernelIiLi16ELi32ELi8ELc67ELc67ELc85ELb0ELb0EffPKPKfPKPfEviT_T9_T10_S7_lS9_S7_lS8_T11_S7_li,"axG",@progbits,_ZL29rocblas_internal_gemmt_kernelIiLi16ELi32ELi8ELc67ELc67ELc85ELb0ELb0EffPKPKfPKPfEviT_T9_T10_S7_lS9_S7_lS8_T11_S7_li,comdat
.Lfunc_end314:
	.size	_ZL29rocblas_internal_gemmt_kernelIiLi16ELi32ELi8ELc67ELc67ELc85ELb0ELb0EffPKPKfPKPfEviT_T9_T10_S7_lS9_S7_lS8_T11_S7_li, .Lfunc_end314-_ZL29rocblas_internal_gemmt_kernelIiLi16ELi32ELi8ELc67ELc67ELc85ELb0ELb0EffPKPKfPKPfEviT_T9_T10_S7_lS9_S7_lS8_T11_S7_li
                                        ; -- End function
	.set _ZL29rocblas_internal_gemmt_kernelIiLi16ELi32ELi8ELc67ELc67ELc85ELb0ELb0EffPKPKfPKPfEviT_T9_T10_S7_lS9_S7_lS8_T11_S7_li.num_vgpr, 48
	.set _ZL29rocblas_internal_gemmt_kernelIiLi16ELi32ELi8ELc67ELc67ELc85ELb0ELb0EffPKPKfPKPfEviT_T9_T10_S7_lS9_S7_lS8_T11_S7_li.num_agpr, 0
	.set _ZL29rocblas_internal_gemmt_kernelIiLi16ELi32ELi8ELc67ELc67ELc85ELb0ELb0EffPKPKfPKPfEviT_T9_T10_S7_lS9_S7_lS8_T11_S7_li.numbered_sgpr, 26
	.set _ZL29rocblas_internal_gemmt_kernelIiLi16ELi32ELi8ELc67ELc67ELc85ELb0ELb0EffPKPKfPKPfEviT_T9_T10_S7_lS9_S7_lS8_T11_S7_li.num_named_barrier, 0
	.set _ZL29rocblas_internal_gemmt_kernelIiLi16ELi32ELi8ELc67ELc67ELc85ELb0ELb0EffPKPKfPKPfEviT_T9_T10_S7_lS9_S7_lS8_T11_S7_li.private_seg_size, 0
	.set _ZL29rocblas_internal_gemmt_kernelIiLi16ELi32ELi8ELc67ELc67ELc85ELb0ELb0EffPKPKfPKPfEviT_T9_T10_S7_lS9_S7_lS8_T11_S7_li.uses_vcc, 1
	.set _ZL29rocblas_internal_gemmt_kernelIiLi16ELi32ELi8ELc67ELc67ELc85ELb0ELb0EffPKPKfPKPfEviT_T9_T10_S7_lS9_S7_lS8_T11_S7_li.uses_flat_scratch, 0
	.set _ZL29rocblas_internal_gemmt_kernelIiLi16ELi32ELi8ELc67ELc67ELc85ELb0ELb0EffPKPKfPKPfEviT_T9_T10_S7_lS9_S7_lS8_T11_S7_li.has_dyn_sized_stack, 0
	.set _ZL29rocblas_internal_gemmt_kernelIiLi16ELi32ELi8ELc67ELc67ELc85ELb0ELb0EffPKPKfPKPfEviT_T9_T10_S7_lS9_S7_lS8_T11_S7_li.has_recursion, 0
	.set _ZL29rocblas_internal_gemmt_kernelIiLi16ELi32ELi8ELc67ELc67ELc85ELb0ELb0EffPKPKfPKPfEviT_T9_T10_S7_lS9_S7_lS8_T11_S7_li.has_indirect_call, 0
	.section	.AMDGPU.csdata,"",@progbits
; Kernel info:
; codeLenInByte = 1252
; TotalNumSgprs: 32
; NumVgprs: 48
; NumAgprs: 0
; TotalNumVgprs: 48
; ScratchSize: 0
; MemoryBound: 0
; FloatMode: 240
; IeeeMode: 1
; LDSByteSize: 2048 bytes/workgroup (compile time only)
; SGPRBlocks: 3
; VGPRBlocks: 5
; NumSGPRsForWavesPerEU: 32
; NumVGPRsForWavesPerEU: 48
; AccumOffset: 48
; Occupancy: 8
; WaveLimiterHint : 1
; COMPUTE_PGM_RSRC2:SCRATCH_EN: 0
; COMPUTE_PGM_RSRC2:USER_SGPR: 2
; COMPUTE_PGM_RSRC2:TRAP_HANDLER: 0
; COMPUTE_PGM_RSRC2:TGID_X_EN: 1
; COMPUTE_PGM_RSRC2:TGID_Y_EN: 1
; COMPUTE_PGM_RSRC2:TGID_Z_EN: 1
; COMPUTE_PGM_RSRC2:TIDIG_COMP_CNT: 1
; COMPUTE_PGM_RSRC3_GFX90A:ACCUM_OFFSET: 11
; COMPUTE_PGM_RSRC3_GFX90A:TG_SPLIT: 0
	.section	.text._ZL29rocblas_internal_gemmt_kernelIiLi16ELi32ELi8ELc78ELc78ELc76ELb0ELb0EffPKPKfPKPfEviT_T9_T10_S7_lS9_S7_lS8_T11_S7_li,"axG",@progbits,_ZL29rocblas_internal_gemmt_kernelIiLi16ELi32ELi8ELc78ELc78ELc76ELb0ELb0EffPKPKfPKPfEviT_T9_T10_S7_lS9_S7_lS8_T11_S7_li,comdat
	.globl	_ZL29rocblas_internal_gemmt_kernelIiLi16ELi32ELi8ELc78ELc78ELc76ELb0ELb0EffPKPKfPKPfEviT_T9_T10_S7_lS9_S7_lS8_T11_S7_li ; -- Begin function _ZL29rocblas_internal_gemmt_kernelIiLi16ELi32ELi8ELc78ELc78ELc76ELb0ELb0EffPKPKfPKPfEviT_T9_T10_S7_lS9_S7_lS8_T11_S7_li
	.p2align	8
	.type	_ZL29rocblas_internal_gemmt_kernelIiLi16ELi32ELi8ELc78ELc78ELc76ELb0ELb0EffPKPKfPKPfEviT_T9_T10_S7_lS9_S7_lS8_T11_S7_li,@function
_ZL29rocblas_internal_gemmt_kernelIiLi16ELi32ELi8ELc78ELc78ELc76ELb0ELb0EffPKPKfPKPfEviT_T9_T10_S7_lS9_S7_lS8_T11_S7_li: ; @_ZL29rocblas_internal_gemmt_kernelIiLi16ELi32ELi8ELc78ELc78ELc76ELb0ELb0EffPKPKfPKPfEviT_T9_T10_S7_lS9_S7_lS8_T11_S7_li
; %bb.0:
	s_load_dword s16, s[0:1], 0x40
	s_load_dwordx4 s[8:11], s[0:1], 0x0
	s_waitcnt lgkmcnt(0)
	v_cmp_neq_f32_e64 s[6:7], s16, 1.0
	s_and_b64 vcc, exec, s[6:7]
	s_cbranch_vccnz .LBB315_2
; %bb.1:
	s_cmp_lg_u32 s9, 0
	s_cselect_b64 s[6:7], -1, 0
	v_cmp_neq_f32_e64 s[12:13], s10, 0
	s_and_b64 s[6:7], s[6:7], s[12:13]
.LBB315_2:
	s_andn2_b64 vcc, exec, s[6:7]
	s_cbranch_vccnz .LBB315_26
; %bb.3:
	s_load_dwordx2 s[12:13], s[0:1], 0x48
	s_mov_b32 s5, 0
	s_lshl_b64 s[6:7], s[4:5], 3
	v_mov_b32_e32 v3, 0
	v_and_b32_e32 v8, 0x3ff, v0
	s_waitcnt lgkmcnt(0)
	s_add_u32 s12, s12, s6
	s_addc_u32 s13, s13, s7
	s_load_dwordx2 s[12:13], s[12:13], 0x0
	s_lshl_b32 s4, s2, 5
	s_lshl_b32 s11, s3, 5
	s_cmp_lt_i32 s9, 1
	v_cmp_eq_f32_e64 s[2:3], s10, 0
	s_cselect_b64 s[14:15], -1, 0
	s_or_b64 s[2:3], s[2:3], s[14:15]
	v_bfe_u32 v9, v0, 10, 10
	s_and_b64 vcc, exec, s[2:3]
	v_mov_b32_e32 v2, v3
	v_mov_b32_e32 v1, v3
	;; [unrolled: 1-line block ×3, first 2 shown]
	s_cbranch_vccnz .LBB315_10
; %bb.4:
	s_load_dwordx2 s[2:3], s[0:1], 0x10
	s_load_dword s14, s[0:1], 0x18
	s_load_dwordx4 s[20:23], s[0:1], 0x20
	s_load_dword s17, s[0:1], 0x30
	s_load_dwordx2 s[18:19], s[0:1], 0x38
	v_lshl_add_u32 v0, v9, 4, v8
	v_and_b32_e32 v4, 31, v0
	v_lshrrev_b32_e32 v11, 5, v0
	s_waitcnt lgkmcnt(0)
	s_ashr_i32 s15, s14, 31
	s_add_u32 s22, s22, s6
	s_addc_u32 s23, s23, s7
	s_add_u32 s2, s2, s6
	s_addc_u32 s3, s3, s7
	s_load_dwordx2 s[6:7], s[2:3], 0x0
	v_lshrrev_b32_e32 v1, 3, v0
	v_or_b32_e32 v0, s4, v4
	v_cmp_gt_i32_e32 vcc, s8, v0
	v_lshlrev_b32_e32 v0, 2, v4
	v_mad_i64_i32 v[2:3], s[24:25], v11, s14, 0
	s_lshl_b64 s[20:21], s[20:21], 2
	v_add_u32_e32 v4, s4, v4
	v_and_b32_e32 v10, 7, v8
	v_lshl_add_u64 v[2:3], v[2:3], 2, s[20:21]
	v_ashrrev_i32_e32 v5, 31, v4
	v_add_u32_e32 v6, s11, v1
	s_load_dwordx2 s[22:23], s[22:23], 0x0
	v_lshl_or_b32 v12, v11, 7, v0
	v_lshlrev_b32_e32 v0, 2, v10
	v_lshl_add_u64 v[2:3], v[4:5], 2, v[2:3]
	v_lshl_or_b32 v1, v1, 5, v0
	s_waitcnt lgkmcnt(0)
	v_lshl_add_u64 v[4:5], s[6:7], 0, v[2:3]
	v_mad_i64_i32 v[2:3], s[6:7], s17, v6, 0
	v_add_u32_e32 v13, 0x400, v1
	v_mov_b32_e32 v1, 0x400
	s_lshl_b64 s[6:7], s[18:19], 2
	v_lshl_add_u32 v15, v9, 5, v1
	v_lshl_add_u64 v[2:3], v[2:3], 2, s[6:7]
	v_mov_b32_e32 v1, 0
	v_lshl_add_u64 v[2:3], v[2:3], 0, v[0:1]
	v_cmp_gt_i32_e64 s[2:3], s8, v6
	v_lshlrev_b32_e32 v14, 2, v8
	s_lshl_b64 s[14:15], s[14:15], 5
	v_lshl_add_u64 v[6:7], s[22:23], 0, v[2:3]
	v_mov_b32_e32 v0, v1
	v_mov_b32_e32 v2, v1
	;; [unrolled: 1-line block ×3, first 2 shown]
	s_branch .LBB315_6
.LBB315_5:                              ;   in Loop: Header=BB315_6 Depth=1
	s_or_b64 exec, exec, s[6:7]
	s_waitcnt vmcnt(0) lgkmcnt(0)
	ds_write_b32 v13, v16
	s_waitcnt lgkmcnt(0)
	s_barrier
	ds_read_b128 v[16:19], v15
	ds_read_b128 v[20:23], v15 offset:16
	ds_read2_b32 v[32:33], v14 offset1:16
	ds_read2_b32 v[34:35], v14 offset0:32 offset1:48
	ds_read2_b32 v[36:37], v14 offset0:64 offset1:80
	;; [unrolled: 1-line block ×4, first 2 shown]
	ds_read_b128 v[24:27], v15 offset:512
	ds_read_b128 v[28:31], v15 offset:528
	ds_read2_b32 v[42:43], v14 offset0:160 offset1:176
	ds_read2_b32 v[44:45], v14 offset0:192 offset1:208
	;; [unrolled: 1-line block ×3, first 2 shown]
	s_waitcnt lgkmcnt(9)
	v_pk_fma_f32 v[2:3], v[32:33], v[16:17], v[2:3] op_sel_hi:[1,0,1]
	s_waitcnt lgkmcnt(4)
	v_pk_fma_f32 v[0:1], v[32:33], v[24:25], v[0:1] op_sel_hi:[1,0,1]
	v_pk_fma_f32 v[2:3], v[34:35], v[16:17], v[2:3] op_sel:[0,1,0]
	v_mov_b32_e32 v16, v19
	v_pk_fma_f32 v[2:3], v[36:37], v[18:19], v[2:3] op_sel_hi:[1,0,1]
	v_pk_fma_f32 v[0:1], v[34:35], v[24:25], v[0:1] op_sel:[0,1,0]
	v_pk_fma_f32 v[2:3], v[38:39], v[16:17], v[2:3] op_sel_hi:[1,0,1]
	v_mov_b32_e32 v16, v23
	v_pk_fma_f32 v[2:3], v[40:41], v[20:21], v[2:3] op_sel_hi:[1,0,1]
	v_pk_fma_f32 v[0:1], v[36:37], v[26:27], v[0:1] op_sel_hi:[1,0,1]
	s_waitcnt lgkmcnt(2)
	v_pk_fma_f32 v[2:3], v[42:43], v[20:21], v[2:3] op_sel:[0,1,0]
	s_add_i32 s5, s5, 8
	s_waitcnt lgkmcnt(1)
	v_pk_fma_f32 v[2:3], v[44:45], v[22:23], v[2:3] op_sel_hi:[1,0,1]
	v_lshl_add_u64 v[4:5], v[4:5], 0, s[14:15]
	s_waitcnt lgkmcnt(0)
	v_pk_fma_f32 v[2:3], v[46:47], v[16:17], v[2:3] op_sel_hi:[1,0,1]
	v_mov_b32_e32 v16, v27
	v_pk_fma_f32 v[0:1], v[38:39], v[16:17], v[0:1] op_sel_hi:[1,0,1]
	v_mov_b32_e32 v16, v31
	v_pk_fma_f32 v[0:1], v[40:41], v[28:29], v[0:1] op_sel_hi:[1,0,1]
	s_cmp_lt_i32 s5, s9
	v_pk_fma_f32 v[0:1], v[42:43], v[28:29], v[0:1] op_sel:[0,1,0]
	v_lshl_add_u64 v[6:7], v[6:7], 0, 32
	v_pk_fma_f32 v[0:1], v[44:45], v[30:31], v[0:1] op_sel_hi:[1,0,1]
	s_nop 0
	v_pk_fma_f32 v[0:1], v[46:47], v[16:17], v[0:1] op_sel_hi:[1,0,1]
	s_barrier
	s_cbranch_scc0 .LBB315_10
.LBB315_6:                              ; =>This Inner Loop Header: Depth=1
	v_add_u32_e32 v16, s5, v11
	v_cmp_gt_i32_e64 s[6:7], s9, v16
	s_and_b64 s[18:19], vcc, s[6:7]
	v_mov_b32_e32 v16, 0
	s_and_saveexec_b64 s[6:7], s[18:19]
	s_cbranch_execz .LBB315_8
; %bb.7:                                ;   in Loop: Header=BB315_6 Depth=1
	flat_load_dword v16, v[4:5]
.LBB315_8:                              ;   in Loop: Header=BB315_6 Depth=1
	s_or_b64 exec, exec, s[6:7]
	s_waitcnt vmcnt(0) lgkmcnt(0)
	ds_write_b32 v12, v16
	v_add_u32_e32 v16, s5, v10
	v_cmp_gt_i32_e64 s[6:7], s9, v16
	s_and_b64 s[18:19], s[6:7], s[2:3]
	v_mov_b32_e32 v16, 0
	s_and_saveexec_b64 s[6:7], s[18:19]
	s_cbranch_execz .LBB315_5
; %bb.9:                                ;   in Loop: Header=BB315_6 Depth=1
	flat_load_dword v16, v[6:7]
	s_branch .LBB315_5
.LBB315_10:
	s_load_dwordx2 s[2:3], s[0:1], 0x58
	s_load_dword s14, s[0:1], 0x50
	v_add_u32_e32 v10, s11, v9
	v_add_u32_e32 v4, s4, v8
	v_cmp_le_i32_e32 vcc, v10, v4
	s_waitcnt lgkmcnt(0)
	s_lshl_b64 s[0:1], s[2:3], 2
	s_add_u32 s6, s12, s0
	s_addc_u32 s7, s13, s1
	v_mad_i64_i32 v[6:7], s[0:1], v10, s14, 0
	v_cmp_neq_f32_e64 s[0:1], s16, 0
	v_lshl_add_u64 v[8:9], v[6:7], 2, s[6:7]
	v_cmp_gt_i32_e64 s[2:3], s8, v4
	v_cndmask_b32_e64 v6, 0, 1, s[0:1]
	s_and_b64 s[12:13], vcc, s[2:3]
	v_ashrrev_i32_e32 v5, 31, v4
	v_cmp_ne_u32_e64 s[0:1], 1, v6
	s_and_saveexec_b64 s[4:5], s[12:13]
	s_cbranch_execz .LBB315_14
; %bb.11:
	v_mul_f32_e32 v2, s10, v2
	s_and_b64 vcc, exec, s[0:1]
	v_lshl_add_u64 v[6:7], v[4:5], 2, v[8:9]
	s_cbranch_vccnz .LBB315_13
; %bb.12:
	flat_load_dword v11, v[6:7]
	s_waitcnt vmcnt(0) lgkmcnt(0)
	v_fmac_f32_e32 v2, s16, v11
.LBB315_13:
	flat_store_dword v[6:7], v2
.LBB315_14:
	s_or_b64 exec, exec, s[4:5]
	v_add_u32_e32 v6, 16, v4
	v_cmp_le_i32_e32 vcc, v10, v6
	v_cmp_gt_i32_e64 s[4:5], s8, v6
	s_and_b64 s[12:13], vcc, s[4:5]
	v_ashrrev_i32_e32 v7, 31, v6
	s_and_saveexec_b64 s[8:9], s[12:13]
	s_cbranch_execz .LBB315_18
; %bb.15:
	v_mul_f32_e32 v11, s10, v3
	s_and_b64 vcc, exec, s[0:1]
	v_lshl_add_u64 v[2:3], v[6:7], 2, v[8:9]
	s_cbranch_vccnz .LBB315_17
; %bb.16:
	flat_load_dword v8, v[2:3]
	s_waitcnt vmcnt(0) lgkmcnt(0)
	v_fmac_f32_e32 v11, s16, v8
.LBB315_17:
	flat_store_dword v[2:3], v11
.LBB315_18:
	s_or_b64 exec, exec, s[8:9]
	v_add_u32_e32 v8, 16, v10
	v_mad_i64_i32 v[2:3], s[8:9], v8, s14, 0
	v_cmp_le_i32_e32 vcc, v8, v4
	v_lshl_add_u64 v[2:3], v[2:3], 2, s[6:7]
	s_and_b64 s[6:7], vcc, s[2:3]
	s_and_saveexec_b64 s[2:3], s[6:7]
	s_cbranch_execz .LBB315_22
; %bb.19:
	v_mul_f32_e32 v0, s10, v0
	s_and_b64 vcc, exec, s[0:1]
	v_lshl_add_u64 v[4:5], v[4:5], 2, v[2:3]
	s_cbranch_vccnz .LBB315_21
; %bb.20:
	flat_load_dword v9, v[4:5]
	s_waitcnt vmcnt(0) lgkmcnt(0)
	v_fmac_f32_e32 v0, s16, v9
.LBB315_21:
	flat_store_dword v[4:5], v0
.LBB315_22:
	s_or_b64 exec, exec, s[2:3]
	v_cmp_le_i32_e32 vcc, v8, v6
	s_and_b64 s[2:3], vcc, s[4:5]
	s_and_saveexec_b64 s[4:5], s[2:3]
	s_cbranch_execz .LBB315_26
; %bb.23:
	v_mul_f32_e32 v4, s10, v1
	s_and_b64 vcc, exec, s[0:1]
	v_lshl_add_u64 v[0:1], v[6:7], 2, v[2:3]
	s_cbranch_vccnz .LBB315_25
; %bb.24:
	flat_load_dword v2, v[0:1]
	s_waitcnt vmcnt(0) lgkmcnt(0)
	v_fmac_f32_e32 v4, s16, v2
.LBB315_25:
	flat_store_dword v[0:1], v4
.LBB315_26:
	s_endpgm
	.section	.rodata,"a",@progbits
	.p2align	6, 0x0
	.amdhsa_kernel _ZL29rocblas_internal_gemmt_kernelIiLi16ELi32ELi8ELc78ELc78ELc76ELb0ELb0EffPKPKfPKPfEviT_T9_T10_S7_lS9_S7_lS8_T11_S7_li
		.amdhsa_group_segment_fixed_size 2048
		.amdhsa_private_segment_fixed_size 0
		.amdhsa_kernarg_size 100
		.amdhsa_user_sgpr_count 2
		.amdhsa_user_sgpr_dispatch_ptr 0
		.amdhsa_user_sgpr_queue_ptr 0
		.amdhsa_user_sgpr_kernarg_segment_ptr 1
		.amdhsa_user_sgpr_dispatch_id 0
		.amdhsa_user_sgpr_kernarg_preload_length 0
		.amdhsa_user_sgpr_kernarg_preload_offset 0
		.amdhsa_user_sgpr_private_segment_size 0
		.amdhsa_uses_dynamic_stack 0
		.amdhsa_enable_private_segment 0
		.amdhsa_system_sgpr_workgroup_id_x 1
		.amdhsa_system_sgpr_workgroup_id_y 1
		.amdhsa_system_sgpr_workgroup_id_z 1
		.amdhsa_system_sgpr_workgroup_info 0
		.amdhsa_system_vgpr_workitem_id 1
		.amdhsa_next_free_vgpr 48
		.amdhsa_next_free_sgpr 26
		.amdhsa_accum_offset 48
		.amdhsa_reserve_vcc 1
		.amdhsa_float_round_mode_32 0
		.amdhsa_float_round_mode_16_64 0
		.amdhsa_float_denorm_mode_32 3
		.amdhsa_float_denorm_mode_16_64 3
		.amdhsa_dx10_clamp 1
		.amdhsa_ieee_mode 1
		.amdhsa_fp16_overflow 0
		.amdhsa_tg_split 0
		.amdhsa_exception_fp_ieee_invalid_op 0
		.amdhsa_exception_fp_denorm_src 0
		.amdhsa_exception_fp_ieee_div_zero 0
		.amdhsa_exception_fp_ieee_overflow 0
		.amdhsa_exception_fp_ieee_underflow 0
		.amdhsa_exception_fp_ieee_inexact 0
		.amdhsa_exception_int_div_zero 0
	.end_amdhsa_kernel
	.section	.text._ZL29rocblas_internal_gemmt_kernelIiLi16ELi32ELi8ELc78ELc78ELc76ELb0ELb0EffPKPKfPKPfEviT_T9_T10_S7_lS9_S7_lS8_T11_S7_li,"axG",@progbits,_ZL29rocblas_internal_gemmt_kernelIiLi16ELi32ELi8ELc78ELc78ELc76ELb0ELb0EffPKPKfPKPfEviT_T9_T10_S7_lS9_S7_lS8_T11_S7_li,comdat
.Lfunc_end315:
	.size	_ZL29rocblas_internal_gemmt_kernelIiLi16ELi32ELi8ELc78ELc78ELc76ELb0ELb0EffPKPKfPKPfEviT_T9_T10_S7_lS9_S7_lS8_T11_S7_li, .Lfunc_end315-_ZL29rocblas_internal_gemmt_kernelIiLi16ELi32ELi8ELc78ELc78ELc76ELb0ELb0EffPKPKfPKPfEviT_T9_T10_S7_lS9_S7_lS8_T11_S7_li
                                        ; -- End function
	.set _ZL29rocblas_internal_gemmt_kernelIiLi16ELi32ELi8ELc78ELc78ELc76ELb0ELb0EffPKPKfPKPfEviT_T9_T10_S7_lS9_S7_lS8_T11_S7_li.num_vgpr, 48
	.set _ZL29rocblas_internal_gemmt_kernelIiLi16ELi32ELi8ELc78ELc78ELc76ELb0ELb0EffPKPKfPKPfEviT_T9_T10_S7_lS9_S7_lS8_T11_S7_li.num_agpr, 0
	.set _ZL29rocblas_internal_gemmt_kernelIiLi16ELi32ELi8ELc78ELc78ELc76ELb0ELb0EffPKPKfPKPfEviT_T9_T10_S7_lS9_S7_lS8_T11_S7_li.numbered_sgpr, 26
	.set _ZL29rocblas_internal_gemmt_kernelIiLi16ELi32ELi8ELc78ELc78ELc76ELb0ELb0EffPKPKfPKPfEviT_T9_T10_S7_lS9_S7_lS8_T11_S7_li.num_named_barrier, 0
	.set _ZL29rocblas_internal_gemmt_kernelIiLi16ELi32ELi8ELc78ELc78ELc76ELb0ELb0EffPKPKfPKPfEviT_T9_T10_S7_lS9_S7_lS8_T11_S7_li.private_seg_size, 0
	.set _ZL29rocblas_internal_gemmt_kernelIiLi16ELi32ELi8ELc78ELc78ELc76ELb0ELb0EffPKPKfPKPfEviT_T9_T10_S7_lS9_S7_lS8_T11_S7_li.uses_vcc, 1
	.set _ZL29rocblas_internal_gemmt_kernelIiLi16ELi32ELi8ELc78ELc78ELc76ELb0ELb0EffPKPKfPKPfEviT_T9_T10_S7_lS9_S7_lS8_T11_S7_li.uses_flat_scratch, 0
	.set _ZL29rocblas_internal_gemmt_kernelIiLi16ELi32ELi8ELc78ELc78ELc76ELb0ELb0EffPKPKfPKPfEviT_T9_T10_S7_lS9_S7_lS8_T11_S7_li.has_dyn_sized_stack, 0
	.set _ZL29rocblas_internal_gemmt_kernelIiLi16ELi32ELi8ELc78ELc78ELc76ELb0ELb0EffPKPKfPKPfEviT_T9_T10_S7_lS9_S7_lS8_T11_S7_li.has_recursion, 0
	.set _ZL29rocblas_internal_gemmt_kernelIiLi16ELi32ELi8ELc78ELc78ELc76ELb0ELb0EffPKPKfPKPfEviT_T9_T10_S7_lS9_S7_lS8_T11_S7_li.has_indirect_call, 0
	.section	.AMDGPU.csdata,"",@progbits
; Kernel info:
; codeLenInByte = 1248
; TotalNumSgprs: 32
; NumVgprs: 48
; NumAgprs: 0
; TotalNumVgprs: 48
; ScratchSize: 0
; MemoryBound: 0
; FloatMode: 240
; IeeeMode: 1
; LDSByteSize: 2048 bytes/workgroup (compile time only)
; SGPRBlocks: 3
; VGPRBlocks: 5
; NumSGPRsForWavesPerEU: 32
; NumVGPRsForWavesPerEU: 48
; AccumOffset: 48
; Occupancy: 8
; WaveLimiterHint : 1
; COMPUTE_PGM_RSRC2:SCRATCH_EN: 0
; COMPUTE_PGM_RSRC2:USER_SGPR: 2
; COMPUTE_PGM_RSRC2:TRAP_HANDLER: 0
; COMPUTE_PGM_RSRC2:TGID_X_EN: 1
; COMPUTE_PGM_RSRC2:TGID_Y_EN: 1
; COMPUTE_PGM_RSRC2:TGID_Z_EN: 1
; COMPUTE_PGM_RSRC2:TIDIG_COMP_CNT: 1
; COMPUTE_PGM_RSRC3_GFX90A:ACCUM_OFFSET: 11
; COMPUTE_PGM_RSRC3_GFX90A:TG_SPLIT: 0
	.section	.text._ZL29rocblas_internal_gemmt_kernelIiLi16ELi32ELi8ELc78ELc84ELc76ELb0ELb0EffPKPKfPKPfEviT_T9_T10_S7_lS9_S7_lS8_T11_S7_li,"axG",@progbits,_ZL29rocblas_internal_gemmt_kernelIiLi16ELi32ELi8ELc78ELc84ELc76ELb0ELb0EffPKPKfPKPfEviT_T9_T10_S7_lS9_S7_lS8_T11_S7_li,comdat
	.globl	_ZL29rocblas_internal_gemmt_kernelIiLi16ELi32ELi8ELc78ELc84ELc76ELb0ELb0EffPKPKfPKPfEviT_T9_T10_S7_lS9_S7_lS8_T11_S7_li ; -- Begin function _ZL29rocblas_internal_gemmt_kernelIiLi16ELi32ELi8ELc78ELc84ELc76ELb0ELb0EffPKPKfPKPfEviT_T9_T10_S7_lS9_S7_lS8_T11_S7_li
	.p2align	8
	.type	_ZL29rocblas_internal_gemmt_kernelIiLi16ELi32ELi8ELc78ELc84ELc76ELb0ELb0EffPKPKfPKPfEviT_T9_T10_S7_lS9_S7_lS8_T11_S7_li,@function
_ZL29rocblas_internal_gemmt_kernelIiLi16ELi32ELi8ELc78ELc84ELc76ELb0ELb0EffPKPKfPKPfEviT_T9_T10_S7_lS9_S7_lS8_T11_S7_li: ; @_ZL29rocblas_internal_gemmt_kernelIiLi16ELi32ELi8ELc78ELc84ELc76ELb0ELb0EffPKPKfPKPfEviT_T9_T10_S7_lS9_S7_lS8_T11_S7_li
; %bb.0:
	s_load_dword s18, s[0:1], 0x40
	s_load_dwordx4 s[8:11], s[0:1], 0x0
	s_waitcnt lgkmcnt(0)
	v_cmp_neq_f32_e64 s[6:7], s18, 1.0
	s_and_b64 vcc, exec, s[6:7]
	s_cbranch_vccnz .LBB316_2
; %bb.1:
	s_cmp_lg_u32 s9, 0
	s_cselect_b64 s[6:7], -1, 0
	v_cmp_neq_f32_e64 s[12:13], s10, 0
	s_and_b64 s[6:7], s[6:7], s[12:13]
.LBB316_2:
	s_andn2_b64 vcc, exec, s[6:7]
	s_cbranch_vccnz .LBB316_26
; %bb.3:
	s_load_dwordx2 s[12:13], s[0:1], 0x48
	s_mov_b32 s5, 0
	s_lshl_b64 s[6:7], s[4:5], 3
	v_mov_b32_e32 v3, 0
	v_and_b32_e32 v8, 0x3ff, v0
	s_waitcnt lgkmcnt(0)
	s_add_u32 s12, s12, s6
	s_addc_u32 s13, s13, s7
	s_load_dwordx2 s[12:13], s[12:13], 0x0
	s_lshl_b32 s4, s2, 5
	s_lshl_b32 s11, s3, 5
	s_cmp_lt_i32 s9, 1
	v_cmp_eq_f32_e64 s[2:3], s10, 0
	s_cselect_b64 s[14:15], -1, 0
	s_or_b64 s[2:3], s[2:3], s[14:15]
	v_bfe_u32 v9, v0, 10, 10
	s_and_b64 vcc, exec, s[2:3]
	v_mov_b32_e32 v2, v3
	v_mov_b32_e32 v1, v3
	;; [unrolled: 1-line block ×3, first 2 shown]
	s_cbranch_vccnz .LBB316_10
; %bb.4:
	s_load_dwordx2 s[2:3], s[0:1], 0x10
	s_load_dword s14, s[0:1], 0x18
	s_load_dwordx4 s[20:23], s[0:1], 0x20
	s_load_dword s16, s[0:1], 0x30
	v_lshl_add_u32 v1, v9, 4, v8
	v_and_b32_e32 v4, 31, v1
	s_waitcnt lgkmcnt(0)
	s_ashr_i32 s15, s14, 31
	v_lshrrev_b32_e32 v11, 5, v1
	s_ashr_i32 s17, s16, 31
	s_add_u32 s22, s22, s6
	s_addc_u32 s23, s23, s7
	v_lshrrev_b32_e32 v2, 3, v1
	v_or_b32_e32 v1, s4, v4
	s_add_u32 s2, s2, s6
	v_and_b32_e32 v10, 7, v8
	s_addc_u32 s3, s3, s7
	v_cmp_gt_i32_e32 vcc, s8, v1
	v_lshlrev_b32_e32 v1, 2, v4
	s_load_dwordx2 s[6:7], s[2:3], 0x0
	v_lshl_or_b32 v12, v11, 7, v1
	v_lshlrev_b32_e32 v1, 2, v10
	s_load_dwordx2 s[24:25], s[0:1], 0x38
	v_add_u32_e32 v0, s11, v2
	v_lshl_or_b32 v1, v2, 5, v1
	v_mov_b32_e32 v2, 0x400
	v_lshl_add_u32 v15, v9, 5, v2
	v_mad_i64_i32 v[2:3], s[26:27], v11, s14, 0
	s_lshl_b64 s[20:21], s[20:21], 2
	v_add_u32_e32 v4, s4, v4
	v_lshl_add_u64 v[2:3], v[2:3], 2, s[20:21]
	v_ashrrev_i32_e32 v5, 31, v4
	s_load_dwordx2 s[22:23], s[22:23], 0x0
	v_lshl_add_u64 v[2:3], v[4:5], 2, v[2:3]
	s_waitcnt lgkmcnt(0)
	v_lshl_add_u64 v[4:5], s[6:7], 0, v[2:3]
	v_mad_i64_i32 v[2:3], s[6:7], s16, v10, 0
	s_lshl_b64 s[6:7], s[24:25], 2
	v_add_u32_e32 v13, 0x400, v1
	v_ashrrev_i32_e32 v1, 31, v0
	v_lshl_add_u64 v[2:3], v[2:3], 2, s[6:7]
	v_cmp_gt_i32_e64 s[2:3], s8, v0
	v_lshl_add_u64 v[0:1], v[0:1], 2, v[2:3]
	v_lshl_add_u64 v[6:7], s[22:23], 0, v[0:1]
	v_mov_b32_e32 v0, 0
	v_lshlrev_b32_e32 v14, 2, v8
	s_lshl_b64 s[14:15], s[14:15], 5
	s_lshl_b64 s[16:17], s[16:17], 5
	v_mov_b32_e32 v1, v0
	v_mov_b32_e32 v2, v0
	;; [unrolled: 1-line block ×3, first 2 shown]
	s_branch .LBB316_6
.LBB316_5:                              ;   in Loop: Header=BB316_6 Depth=1
	s_or_b64 exec, exec, s[6:7]
	s_waitcnt vmcnt(0) lgkmcnt(0)
	ds_write_b32 v13, v16
	s_waitcnt lgkmcnt(0)
	s_barrier
	ds_read_b128 v[16:19], v15
	ds_read_b128 v[20:23], v15 offset:16
	ds_read2_b32 v[32:33], v14 offset1:16
	ds_read2_b32 v[34:35], v14 offset0:32 offset1:48
	ds_read2_b32 v[36:37], v14 offset0:64 offset1:80
	;; [unrolled: 1-line block ×4, first 2 shown]
	ds_read_b128 v[24:27], v15 offset:512
	ds_read_b128 v[28:31], v15 offset:528
	ds_read2_b32 v[42:43], v14 offset0:160 offset1:176
	ds_read2_b32 v[44:45], v14 offset0:192 offset1:208
	;; [unrolled: 1-line block ×3, first 2 shown]
	s_waitcnt lgkmcnt(9)
	v_pk_fma_f32 v[2:3], v[32:33], v[16:17], v[2:3] op_sel_hi:[1,0,1]
	s_waitcnt lgkmcnt(4)
	v_pk_fma_f32 v[0:1], v[32:33], v[24:25], v[0:1] op_sel_hi:[1,0,1]
	v_pk_fma_f32 v[2:3], v[34:35], v[16:17], v[2:3] op_sel:[0,1,0]
	v_mov_b32_e32 v16, v19
	v_pk_fma_f32 v[2:3], v[36:37], v[18:19], v[2:3] op_sel_hi:[1,0,1]
	v_pk_fma_f32 v[0:1], v[34:35], v[24:25], v[0:1] op_sel:[0,1,0]
	v_pk_fma_f32 v[2:3], v[38:39], v[16:17], v[2:3] op_sel_hi:[1,0,1]
	v_mov_b32_e32 v16, v23
	v_pk_fma_f32 v[2:3], v[40:41], v[20:21], v[2:3] op_sel_hi:[1,0,1]
	v_pk_fma_f32 v[0:1], v[36:37], v[26:27], v[0:1] op_sel_hi:[1,0,1]
	s_waitcnt lgkmcnt(2)
	v_pk_fma_f32 v[2:3], v[42:43], v[20:21], v[2:3] op_sel:[0,1,0]
	s_add_i32 s5, s5, 8
	s_waitcnt lgkmcnt(1)
	v_pk_fma_f32 v[2:3], v[44:45], v[22:23], v[2:3] op_sel_hi:[1,0,1]
	v_lshl_add_u64 v[4:5], v[4:5], 0, s[14:15]
	s_waitcnt lgkmcnt(0)
	v_pk_fma_f32 v[2:3], v[46:47], v[16:17], v[2:3] op_sel_hi:[1,0,1]
	v_mov_b32_e32 v16, v27
	v_pk_fma_f32 v[0:1], v[38:39], v[16:17], v[0:1] op_sel_hi:[1,0,1]
	v_mov_b32_e32 v16, v31
	v_pk_fma_f32 v[0:1], v[40:41], v[28:29], v[0:1] op_sel_hi:[1,0,1]
	s_cmp_lt_i32 s5, s9
	v_pk_fma_f32 v[0:1], v[42:43], v[28:29], v[0:1] op_sel:[0,1,0]
	v_lshl_add_u64 v[6:7], v[6:7], 0, s[16:17]
	v_pk_fma_f32 v[0:1], v[44:45], v[30:31], v[0:1] op_sel_hi:[1,0,1]
	s_nop 0
	v_pk_fma_f32 v[0:1], v[46:47], v[16:17], v[0:1] op_sel_hi:[1,0,1]
	s_barrier
	s_cbranch_scc0 .LBB316_10
.LBB316_6:                              ; =>This Inner Loop Header: Depth=1
	v_add_u32_e32 v16, s5, v11
	v_cmp_gt_i32_e64 s[6:7], s9, v16
	s_and_b64 s[20:21], vcc, s[6:7]
	v_mov_b32_e32 v16, 0
	s_and_saveexec_b64 s[6:7], s[20:21]
	s_cbranch_execz .LBB316_8
; %bb.7:                                ;   in Loop: Header=BB316_6 Depth=1
	flat_load_dword v16, v[4:5]
.LBB316_8:                              ;   in Loop: Header=BB316_6 Depth=1
	s_or_b64 exec, exec, s[6:7]
	s_waitcnt vmcnt(0) lgkmcnt(0)
	ds_write_b32 v12, v16
	v_add_u32_e32 v16, s5, v10
	v_cmp_gt_i32_e64 s[6:7], s9, v16
	s_and_b64 s[20:21], s[6:7], s[2:3]
	v_mov_b32_e32 v16, 0
	s_and_saveexec_b64 s[6:7], s[20:21]
	s_cbranch_execz .LBB316_5
; %bb.9:                                ;   in Loop: Header=BB316_6 Depth=1
	flat_load_dword v16, v[6:7]
	s_branch .LBB316_5
.LBB316_10:
	s_load_dwordx2 s[2:3], s[0:1], 0x58
	s_load_dword s14, s[0:1], 0x50
	v_add_u32_e32 v10, s11, v9
	v_add_u32_e32 v4, s4, v8
	v_cmp_le_i32_e32 vcc, v10, v4
	s_waitcnt lgkmcnt(0)
	s_lshl_b64 s[0:1], s[2:3], 2
	s_add_u32 s6, s12, s0
	s_addc_u32 s7, s13, s1
	v_mad_i64_i32 v[6:7], s[0:1], v10, s14, 0
	v_cmp_neq_f32_e64 s[0:1], s18, 0
	v_lshl_add_u64 v[8:9], v[6:7], 2, s[6:7]
	v_cmp_gt_i32_e64 s[2:3], s8, v4
	v_cndmask_b32_e64 v6, 0, 1, s[0:1]
	s_and_b64 s[12:13], vcc, s[2:3]
	v_ashrrev_i32_e32 v5, 31, v4
	v_cmp_ne_u32_e64 s[0:1], 1, v6
	s_and_saveexec_b64 s[4:5], s[12:13]
	s_cbranch_execz .LBB316_14
; %bb.11:
	v_mul_f32_e32 v2, s10, v2
	s_and_b64 vcc, exec, s[0:1]
	v_lshl_add_u64 v[6:7], v[4:5], 2, v[8:9]
	s_cbranch_vccnz .LBB316_13
; %bb.12:
	flat_load_dword v11, v[6:7]
	s_waitcnt vmcnt(0) lgkmcnt(0)
	v_fmac_f32_e32 v2, s18, v11
.LBB316_13:
	flat_store_dword v[6:7], v2
.LBB316_14:
	s_or_b64 exec, exec, s[4:5]
	v_add_u32_e32 v6, 16, v4
	v_cmp_le_i32_e32 vcc, v10, v6
	v_cmp_gt_i32_e64 s[4:5], s8, v6
	s_and_b64 s[12:13], vcc, s[4:5]
	v_ashrrev_i32_e32 v7, 31, v6
	s_and_saveexec_b64 s[8:9], s[12:13]
	s_cbranch_execz .LBB316_18
; %bb.15:
	v_mul_f32_e32 v11, s10, v3
	s_and_b64 vcc, exec, s[0:1]
	v_lshl_add_u64 v[2:3], v[6:7], 2, v[8:9]
	s_cbranch_vccnz .LBB316_17
; %bb.16:
	flat_load_dword v8, v[2:3]
	s_waitcnt vmcnt(0) lgkmcnt(0)
	v_fmac_f32_e32 v11, s18, v8
.LBB316_17:
	flat_store_dword v[2:3], v11
.LBB316_18:
	s_or_b64 exec, exec, s[8:9]
	v_add_u32_e32 v8, 16, v10
	v_mad_i64_i32 v[2:3], s[8:9], v8, s14, 0
	v_cmp_le_i32_e32 vcc, v8, v4
	v_lshl_add_u64 v[2:3], v[2:3], 2, s[6:7]
	s_and_b64 s[6:7], vcc, s[2:3]
	s_and_saveexec_b64 s[2:3], s[6:7]
	s_cbranch_execz .LBB316_22
; %bb.19:
	v_mul_f32_e32 v0, s10, v0
	s_and_b64 vcc, exec, s[0:1]
	v_lshl_add_u64 v[4:5], v[4:5], 2, v[2:3]
	s_cbranch_vccnz .LBB316_21
; %bb.20:
	flat_load_dword v9, v[4:5]
	s_waitcnt vmcnt(0) lgkmcnt(0)
	v_fmac_f32_e32 v0, s18, v9
.LBB316_21:
	flat_store_dword v[4:5], v0
.LBB316_22:
	s_or_b64 exec, exec, s[2:3]
	v_cmp_le_i32_e32 vcc, v8, v6
	s_and_b64 s[2:3], vcc, s[4:5]
	s_and_saveexec_b64 s[4:5], s[2:3]
	s_cbranch_execz .LBB316_26
; %bb.23:
	v_mul_f32_e32 v4, s10, v1
	s_and_b64 vcc, exec, s[0:1]
	v_lshl_add_u64 v[0:1], v[6:7], 2, v[2:3]
	s_cbranch_vccnz .LBB316_25
; %bb.24:
	flat_load_dword v2, v[0:1]
	s_waitcnt vmcnt(0) lgkmcnt(0)
	v_fmac_f32_e32 v4, s18, v2
.LBB316_25:
	flat_store_dword v[0:1], v4
.LBB316_26:
	s_endpgm
	.section	.rodata,"a",@progbits
	.p2align	6, 0x0
	.amdhsa_kernel _ZL29rocblas_internal_gemmt_kernelIiLi16ELi32ELi8ELc78ELc84ELc76ELb0ELb0EffPKPKfPKPfEviT_T9_T10_S7_lS9_S7_lS8_T11_S7_li
		.amdhsa_group_segment_fixed_size 2048
		.amdhsa_private_segment_fixed_size 0
		.amdhsa_kernarg_size 100
		.amdhsa_user_sgpr_count 2
		.amdhsa_user_sgpr_dispatch_ptr 0
		.amdhsa_user_sgpr_queue_ptr 0
		.amdhsa_user_sgpr_kernarg_segment_ptr 1
		.amdhsa_user_sgpr_dispatch_id 0
		.amdhsa_user_sgpr_kernarg_preload_length 0
		.amdhsa_user_sgpr_kernarg_preload_offset 0
		.amdhsa_user_sgpr_private_segment_size 0
		.amdhsa_uses_dynamic_stack 0
		.amdhsa_enable_private_segment 0
		.amdhsa_system_sgpr_workgroup_id_x 1
		.amdhsa_system_sgpr_workgroup_id_y 1
		.amdhsa_system_sgpr_workgroup_id_z 1
		.amdhsa_system_sgpr_workgroup_info 0
		.amdhsa_system_vgpr_workitem_id 1
		.amdhsa_next_free_vgpr 48
		.amdhsa_next_free_sgpr 28
		.amdhsa_accum_offset 48
		.amdhsa_reserve_vcc 1
		.amdhsa_float_round_mode_32 0
		.amdhsa_float_round_mode_16_64 0
		.amdhsa_float_denorm_mode_32 3
		.amdhsa_float_denorm_mode_16_64 3
		.amdhsa_dx10_clamp 1
		.amdhsa_ieee_mode 1
		.amdhsa_fp16_overflow 0
		.amdhsa_tg_split 0
		.amdhsa_exception_fp_ieee_invalid_op 0
		.amdhsa_exception_fp_denorm_src 0
		.amdhsa_exception_fp_ieee_div_zero 0
		.amdhsa_exception_fp_ieee_overflow 0
		.amdhsa_exception_fp_ieee_underflow 0
		.amdhsa_exception_fp_ieee_inexact 0
		.amdhsa_exception_int_div_zero 0
	.end_amdhsa_kernel
	.section	.text._ZL29rocblas_internal_gemmt_kernelIiLi16ELi32ELi8ELc78ELc84ELc76ELb0ELb0EffPKPKfPKPfEviT_T9_T10_S7_lS9_S7_lS8_T11_S7_li,"axG",@progbits,_ZL29rocblas_internal_gemmt_kernelIiLi16ELi32ELi8ELc78ELc84ELc76ELb0ELb0EffPKPKfPKPfEviT_T9_T10_S7_lS9_S7_lS8_T11_S7_li,comdat
.Lfunc_end316:
	.size	_ZL29rocblas_internal_gemmt_kernelIiLi16ELi32ELi8ELc78ELc84ELc76ELb0ELb0EffPKPKfPKPfEviT_T9_T10_S7_lS9_S7_lS8_T11_S7_li, .Lfunc_end316-_ZL29rocblas_internal_gemmt_kernelIiLi16ELi32ELi8ELc78ELc84ELc76ELb0ELb0EffPKPKfPKPfEviT_T9_T10_S7_lS9_S7_lS8_T11_S7_li
                                        ; -- End function
	.set _ZL29rocblas_internal_gemmt_kernelIiLi16ELi32ELi8ELc78ELc84ELc76ELb0ELb0EffPKPKfPKPfEviT_T9_T10_S7_lS9_S7_lS8_T11_S7_li.num_vgpr, 48
	.set _ZL29rocblas_internal_gemmt_kernelIiLi16ELi32ELi8ELc78ELc84ELc76ELb0ELb0EffPKPKfPKPfEviT_T9_T10_S7_lS9_S7_lS8_T11_S7_li.num_agpr, 0
	.set _ZL29rocblas_internal_gemmt_kernelIiLi16ELi32ELi8ELc78ELc84ELc76ELb0ELb0EffPKPKfPKPfEviT_T9_T10_S7_lS9_S7_lS8_T11_S7_li.numbered_sgpr, 28
	.set _ZL29rocblas_internal_gemmt_kernelIiLi16ELi32ELi8ELc78ELc84ELc76ELb0ELb0EffPKPKfPKPfEviT_T9_T10_S7_lS9_S7_lS8_T11_S7_li.num_named_barrier, 0
	.set _ZL29rocblas_internal_gemmt_kernelIiLi16ELi32ELi8ELc78ELc84ELc76ELb0ELb0EffPKPKfPKPfEviT_T9_T10_S7_lS9_S7_lS8_T11_S7_li.private_seg_size, 0
	.set _ZL29rocblas_internal_gemmt_kernelIiLi16ELi32ELi8ELc78ELc84ELc76ELb0ELb0EffPKPKfPKPfEviT_T9_T10_S7_lS9_S7_lS8_T11_S7_li.uses_vcc, 1
	.set _ZL29rocblas_internal_gemmt_kernelIiLi16ELi32ELi8ELc78ELc84ELc76ELb0ELb0EffPKPKfPKPfEviT_T9_T10_S7_lS9_S7_lS8_T11_S7_li.uses_flat_scratch, 0
	.set _ZL29rocblas_internal_gemmt_kernelIiLi16ELi32ELi8ELc78ELc84ELc76ELb0ELb0EffPKPKfPKPfEviT_T9_T10_S7_lS9_S7_lS8_T11_S7_li.has_dyn_sized_stack, 0
	.set _ZL29rocblas_internal_gemmt_kernelIiLi16ELi32ELi8ELc78ELc84ELc76ELb0ELb0EffPKPKfPKPfEviT_T9_T10_S7_lS9_S7_lS8_T11_S7_li.has_recursion, 0
	.set _ZL29rocblas_internal_gemmt_kernelIiLi16ELi32ELi8ELc78ELc84ELc76ELb0ELb0EffPKPKfPKPfEviT_T9_T10_S7_lS9_S7_lS8_T11_S7_li.has_indirect_call, 0
	.section	.AMDGPU.csdata,"",@progbits
; Kernel info:
; codeLenInByte = 1260
; TotalNumSgprs: 34
; NumVgprs: 48
; NumAgprs: 0
; TotalNumVgprs: 48
; ScratchSize: 0
; MemoryBound: 0
; FloatMode: 240
; IeeeMode: 1
; LDSByteSize: 2048 bytes/workgroup (compile time only)
; SGPRBlocks: 4
; VGPRBlocks: 5
; NumSGPRsForWavesPerEU: 34
; NumVGPRsForWavesPerEU: 48
; AccumOffset: 48
; Occupancy: 8
; WaveLimiterHint : 1
; COMPUTE_PGM_RSRC2:SCRATCH_EN: 0
; COMPUTE_PGM_RSRC2:USER_SGPR: 2
; COMPUTE_PGM_RSRC2:TRAP_HANDLER: 0
; COMPUTE_PGM_RSRC2:TGID_X_EN: 1
; COMPUTE_PGM_RSRC2:TGID_Y_EN: 1
; COMPUTE_PGM_RSRC2:TGID_Z_EN: 1
; COMPUTE_PGM_RSRC2:TIDIG_COMP_CNT: 1
; COMPUTE_PGM_RSRC3_GFX90A:ACCUM_OFFSET: 11
; COMPUTE_PGM_RSRC3_GFX90A:TG_SPLIT: 0
	.section	.text._ZL29rocblas_internal_gemmt_kernelIiLi16ELi32ELi8ELc78ELc67ELc76ELb0ELb0EffPKPKfPKPfEviT_T9_T10_S7_lS9_S7_lS8_T11_S7_li,"axG",@progbits,_ZL29rocblas_internal_gemmt_kernelIiLi16ELi32ELi8ELc78ELc67ELc76ELb0ELb0EffPKPKfPKPfEviT_T9_T10_S7_lS9_S7_lS8_T11_S7_li,comdat
	.globl	_ZL29rocblas_internal_gemmt_kernelIiLi16ELi32ELi8ELc78ELc67ELc76ELb0ELb0EffPKPKfPKPfEviT_T9_T10_S7_lS9_S7_lS8_T11_S7_li ; -- Begin function _ZL29rocblas_internal_gemmt_kernelIiLi16ELi32ELi8ELc78ELc67ELc76ELb0ELb0EffPKPKfPKPfEviT_T9_T10_S7_lS9_S7_lS8_T11_S7_li
	.p2align	8
	.type	_ZL29rocblas_internal_gemmt_kernelIiLi16ELi32ELi8ELc78ELc67ELc76ELb0ELb0EffPKPKfPKPfEviT_T9_T10_S7_lS9_S7_lS8_T11_S7_li,@function
_ZL29rocblas_internal_gemmt_kernelIiLi16ELi32ELi8ELc78ELc67ELc76ELb0ELb0EffPKPKfPKPfEviT_T9_T10_S7_lS9_S7_lS8_T11_S7_li: ; @_ZL29rocblas_internal_gemmt_kernelIiLi16ELi32ELi8ELc78ELc67ELc76ELb0ELb0EffPKPKfPKPfEviT_T9_T10_S7_lS9_S7_lS8_T11_S7_li
; %bb.0:
	s_load_dword s18, s[0:1], 0x40
	s_load_dwordx4 s[8:11], s[0:1], 0x0
	s_waitcnt lgkmcnt(0)
	v_cmp_neq_f32_e64 s[6:7], s18, 1.0
	s_and_b64 vcc, exec, s[6:7]
	s_cbranch_vccnz .LBB317_2
; %bb.1:
	s_cmp_lg_u32 s9, 0
	s_cselect_b64 s[6:7], -1, 0
	v_cmp_neq_f32_e64 s[12:13], s10, 0
	s_and_b64 s[6:7], s[6:7], s[12:13]
.LBB317_2:
	s_andn2_b64 vcc, exec, s[6:7]
	s_cbranch_vccnz .LBB317_26
; %bb.3:
	s_load_dwordx2 s[12:13], s[0:1], 0x48
	s_mov_b32 s5, 0
	s_lshl_b64 s[6:7], s[4:5], 3
	v_mov_b32_e32 v3, 0
	v_and_b32_e32 v8, 0x3ff, v0
	s_waitcnt lgkmcnt(0)
	s_add_u32 s12, s12, s6
	s_addc_u32 s13, s13, s7
	s_load_dwordx2 s[12:13], s[12:13], 0x0
	s_lshl_b32 s4, s2, 5
	s_lshl_b32 s11, s3, 5
	s_cmp_lt_i32 s9, 1
	v_cmp_eq_f32_e64 s[2:3], s10, 0
	s_cselect_b64 s[14:15], -1, 0
	s_or_b64 s[2:3], s[2:3], s[14:15]
	v_bfe_u32 v9, v0, 10, 10
	s_and_b64 vcc, exec, s[2:3]
	v_mov_b32_e32 v2, v3
	v_mov_b32_e32 v1, v3
	;; [unrolled: 1-line block ×3, first 2 shown]
	s_cbranch_vccnz .LBB317_10
; %bb.4:
	s_load_dwordx2 s[2:3], s[0:1], 0x10
	s_load_dword s14, s[0:1], 0x18
	s_load_dwordx4 s[20:23], s[0:1], 0x20
	s_load_dword s16, s[0:1], 0x30
	v_lshl_add_u32 v1, v9, 4, v8
	v_and_b32_e32 v4, 31, v1
	s_waitcnt lgkmcnt(0)
	s_ashr_i32 s15, s14, 31
	v_lshrrev_b32_e32 v11, 5, v1
	s_ashr_i32 s17, s16, 31
	s_add_u32 s22, s22, s6
	s_addc_u32 s23, s23, s7
	v_lshrrev_b32_e32 v2, 3, v1
	v_or_b32_e32 v1, s4, v4
	s_add_u32 s2, s2, s6
	v_and_b32_e32 v10, 7, v8
	s_addc_u32 s3, s3, s7
	v_cmp_gt_i32_e32 vcc, s8, v1
	v_lshlrev_b32_e32 v1, 2, v4
	s_load_dwordx2 s[6:7], s[2:3], 0x0
	v_lshl_or_b32 v12, v11, 7, v1
	v_lshlrev_b32_e32 v1, 2, v10
	s_load_dwordx2 s[24:25], s[0:1], 0x38
	v_add_u32_e32 v0, s11, v2
	v_lshl_or_b32 v1, v2, 5, v1
	v_mov_b32_e32 v2, 0x400
	v_lshl_add_u32 v15, v9, 5, v2
	v_mad_i64_i32 v[2:3], s[26:27], v11, s14, 0
	s_lshl_b64 s[20:21], s[20:21], 2
	v_add_u32_e32 v4, s4, v4
	v_lshl_add_u64 v[2:3], v[2:3], 2, s[20:21]
	v_ashrrev_i32_e32 v5, 31, v4
	s_load_dwordx2 s[22:23], s[22:23], 0x0
	v_lshl_add_u64 v[2:3], v[4:5], 2, v[2:3]
	s_waitcnt lgkmcnt(0)
	v_lshl_add_u64 v[4:5], s[6:7], 0, v[2:3]
	v_mad_i64_i32 v[2:3], s[6:7], s16, v10, 0
	s_lshl_b64 s[6:7], s[24:25], 2
	v_add_u32_e32 v13, 0x400, v1
	v_ashrrev_i32_e32 v1, 31, v0
	v_lshl_add_u64 v[2:3], v[2:3], 2, s[6:7]
	v_cmp_gt_i32_e64 s[2:3], s8, v0
	v_lshl_add_u64 v[0:1], v[0:1], 2, v[2:3]
	v_lshl_add_u64 v[6:7], s[22:23], 0, v[0:1]
	v_mov_b32_e32 v0, 0
	v_lshlrev_b32_e32 v14, 2, v8
	s_lshl_b64 s[14:15], s[14:15], 5
	s_lshl_b64 s[16:17], s[16:17], 5
	v_mov_b32_e32 v1, v0
	v_mov_b32_e32 v2, v0
	;; [unrolled: 1-line block ×3, first 2 shown]
	s_branch .LBB317_6
.LBB317_5:                              ;   in Loop: Header=BB317_6 Depth=1
	s_or_b64 exec, exec, s[6:7]
	s_waitcnt vmcnt(0) lgkmcnt(0)
	ds_write_b32 v13, v16
	s_waitcnt lgkmcnt(0)
	s_barrier
	ds_read_b128 v[16:19], v15
	ds_read_b128 v[20:23], v15 offset:16
	ds_read2_b32 v[32:33], v14 offset1:16
	ds_read2_b32 v[34:35], v14 offset0:32 offset1:48
	ds_read2_b32 v[36:37], v14 offset0:64 offset1:80
	;; [unrolled: 1-line block ×4, first 2 shown]
	ds_read_b128 v[24:27], v15 offset:512
	ds_read_b128 v[28:31], v15 offset:528
	ds_read2_b32 v[42:43], v14 offset0:160 offset1:176
	ds_read2_b32 v[44:45], v14 offset0:192 offset1:208
	ds_read2_b32 v[46:47], v14 offset0:224 offset1:240
	s_waitcnt lgkmcnt(9)
	v_pk_fma_f32 v[2:3], v[32:33], v[16:17], v[2:3] op_sel_hi:[1,0,1]
	s_waitcnt lgkmcnt(4)
	v_pk_fma_f32 v[0:1], v[32:33], v[24:25], v[0:1] op_sel_hi:[1,0,1]
	v_pk_fma_f32 v[2:3], v[34:35], v[16:17], v[2:3] op_sel:[0,1,0]
	v_mov_b32_e32 v16, v19
	v_pk_fma_f32 v[2:3], v[36:37], v[18:19], v[2:3] op_sel_hi:[1,0,1]
	v_pk_fma_f32 v[0:1], v[34:35], v[24:25], v[0:1] op_sel:[0,1,0]
	v_pk_fma_f32 v[2:3], v[38:39], v[16:17], v[2:3] op_sel_hi:[1,0,1]
	v_mov_b32_e32 v16, v23
	v_pk_fma_f32 v[2:3], v[40:41], v[20:21], v[2:3] op_sel_hi:[1,0,1]
	v_pk_fma_f32 v[0:1], v[36:37], v[26:27], v[0:1] op_sel_hi:[1,0,1]
	s_waitcnt lgkmcnt(2)
	v_pk_fma_f32 v[2:3], v[42:43], v[20:21], v[2:3] op_sel:[0,1,0]
	s_add_i32 s5, s5, 8
	s_waitcnt lgkmcnt(1)
	v_pk_fma_f32 v[2:3], v[44:45], v[22:23], v[2:3] op_sel_hi:[1,0,1]
	v_lshl_add_u64 v[4:5], v[4:5], 0, s[14:15]
	s_waitcnt lgkmcnt(0)
	v_pk_fma_f32 v[2:3], v[46:47], v[16:17], v[2:3] op_sel_hi:[1,0,1]
	v_mov_b32_e32 v16, v27
	v_pk_fma_f32 v[0:1], v[38:39], v[16:17], v[0:1] op_sel_hi:[1,0,1]
	v_mov_b32_e32 v16, v31
	v_pk_fma_f32 v[0:1], v[40:41], v[28:29], v[0:1] op_sel_hi:[1,0,1]
	s_cmp_lt_i32 s5, s9
	v_pk_fma_f32 v[0:1], v[42:43], v[28:29], v[0:1] op_sel:[0,1,0]
	v_lshl_add_u64 v[6:7], v[6:7], 0, s[16:17]
	v_pk_fma_f32 v[0:1], v[44:45], v[30:31], v[0:1] op_sel_hi:[1,0,1]
	s_nop 0
	v_pk_fma_f32 v[0:1], v[46:47], v[16:17], v[0:1] op_sel_hi:[1,0,1]
	s_barrier
	s_cbranch_scc0 .LBB317_10
.LBB317_6:                              ; =>This Inner Loop Header: Depth=1
	v_add_u32_e32 v16, s5, v11
	v_cmp_gt_i32_e64 s[6:7], s9, v16
	s_and_b64 s[20:21], vcc, s[6:7]
	v_mov_b32_e32 v16, 0
	s_and_saveexec_b64 s[6:7], s[20:21]
	s_cbranch_execz .LBB317_8
; %bb.7:                                ;   in Loop: Header=BB317_6 Depth=1
	flat_load_dword v16, v[4:5]
.LBB317_8:                              ;   in Loop: Header=BB317_6 Depth=1
	s_or_b64 exec, exec, s[6:7]
	s_waitcnt vmcnt(0) lgkmcnt(0)
	ds_write_b32 v12, v16
	v_add_u32_e32 v16, s5, v10
	v_cmp_gt_i32_e64 s[6:7], s9, v16
	s_and_b64 s[20:21], s[6:7], s[2:3]
	v_mov_b32_e32 v16, 0
	s_and_saveexec_b64 s[6:7], s[20:21]
	s_cbranch_execz .LBB317_5
; %bb.9:                                ;   in Loop: Header=BB317_6 Depth=1
	flat_load_dword v16, v[6:7]
	s_branch .LBB317_5
.LBB317_10:
	s_load_dwordx2 s[2:3], s[0:1], 0x58
	s_load_dword s14, s[0:1], 0x50
	v_add_u32_e32 v10, s11, v9
	v_add_u32_e32 v4, s4, v8
	v_cmp_le_i32_e32 vcc, v10, v4
	s_waitcnt lgkmcnt(0)
	s_lshl_b64 s[0:1], s[2:3], 2
	s_add_u32 s6, s12, s0
	s_addc_u32 s7, s13, s1
	v_mad_i64_i32 v[6:7], s[0:1], v10, s14, 0
	v_cmp_neq_f32_e64 s[0:1], s18, 0
	v_lshl_add_u64 v[8:9], v[6:7], 2, s[6:7]
	v_cmp_gt_i32_e64 s[2:3], s8, v4
	v_cndmask_b32_e64 v6, 0, 1, s[0:1]
	s_and_b64 s[12:13], vcc, s[2:3]
	v_ashrrev_i32_e32 v5, 31, v4
	v_cmp_ne_u32_e64 s[0:1], 1, v6
	s_and_saveexec_b64 s[4:5], s[12:13]
	s_cbranch_execz .LBB317_14
; %bb.11:
	v_mul_f32_e32 v2, s10, v2
	s_and_b64 vcc, exec, s[0:1]
	v_lshl_add_u64 v[6:7], v[4:5], 2, v[8:9]
	s_cbranch_vccnz .LBB317_13
; %bb.12:
	flat_load_dword v11, v[6:7]
	s_waitcnt vmcnt(0) lgkmcnt(0)
	v_fmac_f32_e32 v2, s18, v11
.LBB317_13:
	flat_store_dword v[6:7], v2
.LBB317_14:
	s_or_b64 exec, exec, s[4:5]
	v_add_u32_e32 v6, 16, v4
	v_cmp_le_i32_e32 vcc, v10, v6
	v_cmp_gt_i32_e64 s[4:5], s8, v6
	s_and_b64 s[12:13], vcc, s[4:5]
	v_ashrrev_i32_e32 v7, 31, v6
	s_and_saveexec_b64 s[8:9], s[12:13]
	s_cbranch_execz .LBB317_18
; %bb.15:
	v_mul_f32_e32 v11, s10, v3
	s_and_b64 vcc, exec, s[0:1]
	v_lshl_add_u64 v[2:3], v[6:7], 2, v[8:9]
	s_cbranch_vccnz .LBB317_17
; %bb.16:
	flat_load_dword v8, v[2:3]
	s_waitcnt vmcnt(0) lgkmcnt(0)
	v_fmac_f32_e32 v11, s18, v8
.LBB317_17:
	flat_store_dword v[2:3], v11
.LBB317_18:
	s_or_b64 exec, exec, s[8:9]
	v_add_u32_e32 v8, 16, v10
	v_mad_i64_i32 v[2:3], s[8:9], v8, s14, 0
	v_cmp_le_i32_e32 vcc, v8, v4
	v_lshl_add_u64 v[2:3], v[2:3], 2, s[6:7]
	s_and_b64 s[6:7], vcc, s[2:3]
	s_and_saveexec_b64 s[2:3], s[6:7]
	s_cbranch_execz .LBB317_22
; %bb.19:
	v_mul_f32_e32 v0, s10, v0
	s_and_b64 vcc, exec, s[0:1]
	v_lshl_add_u64 v[4:5], v[4:5], 2, v[2:3]
	s_cbranch_vccnz .LBB317_21
; %bb.20:
	flat_load_dword v9, v[4:5]
	s_waitcnt vmcnt(0) lgkmcnt(0)
	v_fmac_f32_e32 v0, s18, v9
.LBB317_21:
	flat_store_dword v[4:5], v0
.LBB317_22:
	s_or_b64 exec, exec, s[2:3]
	v_cmp_le_i32_e32 vcc, v8, v6
	s_and_b64 s[2:3], vcc, s[4:5]
	s_and_saveexec_b64 s[4:5], s[2:3]
	s_cbranch_execz .LBB317_26
; %bb.23:
	v_mul_f32_e32 v4, s10, v1
	s_and_b64 vcc, exec, s[0:1]
	v_lshl_add_u64 v[0:1], v[6:7], 2, v[2:3]
	s_cbranch_vccnz .LBB317_25
; %bb.24:
	flat_load_dword v2, v[0:1]
	s_waitcnt vmcnt(0) lgkmcnt(0)
	v_fmac_f32_e32 v4, s18, v2
.LBB317_25:
	flat_store_dword v[0:1], v4
.LBB317_26:
	s_endpgm
	.section	.rodata,"a",@progbits
	.p2align	6, 0x0
	.amdhsa_kernel _ZL29rocblas_internal_gemmt_kernelIiLi16ELi32ELi8ELc78ELc67ELc76ELb0ELb0EffPKPKfPKPfEviT_T9_T10_S7_lS9_S7_lS8_T11_S7_li
		.amdhsa_group_segment_fixed_size 2048
		.amdhsa_private_segment_fixed_size 0
		.amdhsa_kernarg_size 100
		.amdhsa_user_sgpr_count 2
		.amdhsa_user_sgpr_dispatch_ptr 0
		.amdhsa_user_sgpr_queue_ptr 0
		.amdhsa_user_sgpr_kernarg_segment_ptr 1
		.amdhsa_user_sgpr_dispatch_id 0
		.amdhsa_user_sgpr_kernarg_preload_length 0
		.amdhsa_user_sgpr_kernarg_preload_offset 0
		.amdhsa_user_sgpr_private_segment_size 0
		.amdhsa_uses_dynamic_stack 0
		.amdhsa_enable_private_segment 0
		.amdhsa_system_sgpr_workgroup_id_x 1
		.amdhsa_system_sgpr_workgroup_id_y 1
		.amdhsa_system_sgpr_workgroup_id_z 1
		.amdhsa_system_sgpr_workgroup_info 0
		.amdhsa_system_vgpr_workitem_id 1
		.amdhsa_next_free_vgpr 48
		.amdhsa_next_free_sgpr 28
		.amdhsa_accum_offset 48
		.amdhsa_reserve_vcc 1
		.amdhsa_float_round_mode_32 0
		.amdhsa_float_round_mode_16_64 0
		.amdhsa_float_denorm_mode_32 3
		.amdhsa_float_denorm_mode_16_64 3
		.amdhsa_dx10_clamp 1
		.amdhsa_ieee_mode 1
		.amdhsa_fp16_overflow 0
		.amdhsa_tg_split 0
		.amdhsa_exception_fp_ieee_invalid_op 0
		.amdhsa_exception_fp_denorm_src 0
		.amdhsa_exception_fp_ieee_div_zero 0
		.amdhsa_exception_fp_ieee_overflow 0
		.amdhsa_exception_fp_ieee_underflow 0
		.amdhsa_exception_fp_ieee_inexact 0
		.amdhsa_exception_int_div_zero 0
	.end_amdhsa_kernel
	.section	.text._ZL29rocblas_internal_gemmt_kernelIiLi16ELi32ELi8ELc78ELc67ELc76ELb0ELb0EffPKPKfPKPfEviT_T9_T10_S7_lS9_S7_lS8_T11_S7_li,"axG",@progbits,_ZL29rocblas_internal_gemmt_kernelIiLi16ELi32ELi8ELc78ELc67ELc76ELb0ELb0EffPKPKfPKPfEviT_T9_T10_S7_lS9_S7_lS8_T11_S7_li,comdat
.Lfunc_end317:
	.size	_ZL29rocblas_internal_gemmt_kernelIiLi16ELi32ELi8ELc78ELc67ELc76ELb0ELb0EffPKPKfPKPfEviT_T9_T10_S7_lS9_S7_lS8_T11_S7_li, .Lfunc_end317-_ZL29rocblas_internal_gemmt_kernelIiLi16ELi32ELi8ELc78ELc67ELc76ELb0ELb0EffPKPKfPKPfEviT_T9_T10_S7_lS9_S7_lS8_T11_S7_li
                                        ; -- End function
	.set _ZL29rocblas_internal_gemmt_kernelIiLi16ELi32ELi8ELc78ELc67ELc76ELb0ELb0EffPKPKfPKPfEviT_T9_T10_S7_lS9_S7_lS8_T11_S7_li.num_vgpr, 48
	.set _ZL29rocblas_internal_gemmt_kernelIiLi16ELi32ELi8ELc78ELc67ELc76ELb0ELb0EffPKPKfPKPfEviT_T9_T10_S7_lS9_S7_lS8_T11_S7_li.num_agpr, 0
	.set _ZL29rocblas_internal_gemmt_kernelIiLi16ELi32ELi8ELc78ELc67ELc76ELb0ELb0EffPKPKfPKPfEviT_T9_T10_S7_lS9_S7_lS8_T11_S7_li.numbered_sgpr, 28
	.set _ZL29rocblas_internal_gemmt_kernelIiLi16ELi32ELi8ELc78ELc67ELc76ELb0ELb0EffPKPKfPKPfEviT_T9_T10_S7_lS9_S7_lS8_T11_S7_li.num_named_barrier, 0
	.set _ZL29rocblas_internal_gemmt_kernelIiLi16ELi32ELi8ELc78ELc67ELc76ELb0ELb0EffPKPKfPKPfEviT_T9_T10_S7_lS9_S7_lS8_T11_S7_li.private_seg_size, 0
	.set _ZL29rocblas_internal_gemmt_kernelIiLi16ELi32ELi8ELc78ELc67ELc76ELb0ELb0EffPKPKfPKPfEviT_T9_T10_S7_lS9_S7_lS8_T11_S7_li.uses_vcc, 1
	.set _ZL29rocblas_internal_gemmt_kernelIiLi16ELi32ELi8ELc78ELc67ELc76ELb0ELb0EffPKPKfPKPfEviT_T9_T10_S7_lS9_S7_lS8_T11_S7_li.uses_flat_scratch, 0
	.set _ZL29rocblas_internal_gemmt_kernelIiLi16ELi32ELi8ELc78ELc67ELc76ELb0ELb0EffPKPKfPKPfEviT_T9_T10_S7_lS9_S7_lS8_T11_S7_li.has_dyn_sized_stack, 0
	.set _ZL29rocblas_internal_gemmt_kernelIiLi16ELi32ELi8ELc78ELc67ELc76ELb0ELb0EffPKPKfPKPfEviT_T9_T10_S7_lS9_S7_lS8_T11_S7_li.has_recursion, 0
	.set _ZL29rocblas_internal_gemmt_kernelIiLi16ELi32ELi8ELc78ELc67ELc76ELb0ELb0EffPKPKfPKPfEviT_T9_T10_S7_lS9_S7_lS8_T11_S7_li.has_indirect_call, 0
	.section	.AMDGPU.csdata,"",@progbits
; Kernel info:
; codeLenInByte = 1260
; TotalNumSgprs: 34
; NumVgprs: 48
; NumAgprs: 0
; TotalNumVgprs: 48
; ScratchSize: 0
; MemoryBound: 0
; FloatMode: 240
; IeeeMode: 1
; LDSByteSize: 2048 bytes/workgroup (compile time only)
; SGPRBlocks: 4
; VGPRBlocks: 5
; NumSGPRsForWavesPerEU: 34
; NumVGPRsForWavesPerEU: 48
; AccumOffset: 48
; Occupancy: 8
; WaveLimiterHint : 1
; COMPUTE_PGM_RSRC2:SCRATCH_EN: 0
; COMPUTE_PGM_RSRC2:USER_SGPR: 2
; COMPUTE_PGM_RSRC2:TRAP_HANDLER: 0
; COMPUTE_PGM_RSRC2:TGID_X_EN: 1
; COMPUTE_PGM_RSRC2:TGID_Y_EN: 1
; COMPUTE_PGM_RSRC2:TGID_Z_EN: 1
; COMPUTE_PGM_RSRC2:TIDIG_COMP_CNT: 1
; COMPUTE_PGM_RSRC3_GFX90A:ACCUM_OFFSET: 11
; COMPUTE_PGM_RSRC3_GFX90A:TG_SPLIT: 0
	.section	.text._ZL29rocblas_internal_gemmt_kernelIiLi16ELi32ELi8ELc84ELc78ELc76ELb0ELb0EffPKPKfPKPfEviT_T9_T10_S7_lS9_S7_lS8_T11_S7_li,"axG",@progbits,_ZL29rocblas_internal_gemmt_kernelIiLi16ELi32ELi8ELc84ELc78ELc76ELb0ELb0EffPKPKfPKPfEviT_T9_T10_S7_lS9_S7_lS8_T11_S7_li,comdat
	.globl	_ZL29rocblas_internal_gemmt_kernelIiLi16ELi32ELi8ELc84ELc78ELc76ELb0ELb0EffPKPKfPKPfEviT_T9_T10_S7_lS9_S7_lS8_T11_S7_li ; -- Begin function _ZL29rocblas_internal_gemmt_kernelIiLi16ELi32ELi8ELc84ELc78ELc76ELb0ELb0EffPKPKfPKPfEviT_T9_T10_S7_lS9_S7_lS8_T11_S7_li
	.p2align	8
	.type	_ZL29rocblas_internal_gemmt_kernelIiLi16ELi32ELi8ELc84ELc78ELc76ELb0ELb0EffPKPKfPKPfEviT_T9_T10_S7_lS9_S7_lS8_T11_S7_li,@function
_ZL29rocblas_internal_gemmt_kernelIiLi16ELi32ELi8ELc84ELc78ELc76ELb0ELb0EffPKPKfPKPfEviT_T9_T10_S7_lS9_S7_lS8_T11_S7_li: ; @_ZL29rocblas_internal_gemmt_kernelIiLi16ELi32ELi8ELc84ELc78ELc76ELb0ELb0EffPKPKfPKPfEviT_T9_T10_S7_lS9_S7_lS8_T11_S7_li
; %bb.0:
	s_load_dword s14, s[0:1], 0x40
	s_load_dwordx4 s[8:11], s[0:1], 0x0
	s_waitcnt lgkmcnt(0)
	v_cmp_neq_f32_e64 s[6:7], s14, 1.0
	s_and_b64 vcc, exec, s[6:7]
	s_cbranch_vccnz .LBB318_2
; %bb.1:
	s_cmp_lg_u32 s9, 0
	s_cselect_b64 s[6:7], -1, 0
	v_cmp_neq_f32_e64 s[12:13], s10, 0
	s_and_b64 s[6:7], s[6:7], s[12:13]
.LBB318_2:
	s_andn2_b64 vcc, exec, s[6:7]
	s_cbranch_vccnz .LBB318_26
; %bb.3:
	s_load_dwordx2 s[12:13], s[0:1], 0x48
	s_mov_b32 s5, 0
	s_lshl_b64 s[6:7], s[4:5], 3
	v_mov_b32_e32 v3, 0
	v_and_b32_e32 v8, 0x3ff, v0
	s_waitcnt lgkmcnt(0)
	s_add_u32 s12, s12, s6
	s_addc_u32 s13, s13, s7
	s_load_dwordx2 s[12:13], s[12:13], 0x0
	s_lshl_b32 s4, s2, 5
	s_lshl_b32 s11, s3, 5
	s_cmp_lt_i32 s9, 1
	v_cmp_eq_f32_e64 s[2:3], s10, 0
	s_cselect_b64 s[16:17], -1, 0
	s_or_b64 s[2:3], s[2:3], s[16:17]
	v_bfe_u32 v9, v0, 10, 10
	s_and_b64 vcc, exec, s[2:3]
	v_mov_b32_e32 v2, v3
	v_mov_b32_e32 v1, v3
	;; [unrolled: 1-line block ×3, first 2 shown]
	s_cbranch_vccnz .LBB318_10
; %bb.4:
	s_load_dwordx2 s[2:3], s[0:1], 0x10
	s_load_dword s15, s[0:1], 0x18
	s_load_dwordx4 s[16:19], s[0:1], 0x20
	s_load_dword s24, s[0:1], 0x30
	s_load_dwordx2 s[20:21], s[0:1], 0x38
	v_lshl_add_u32 v0, v9, 4, v8
	v_lshrrev_b32_e32 v11, 5, v0
	v_lshrrev_b32_e32 v1, 3, v0
	v_and_b32_e32 v0, 31, v0
	s_waitcnt lgkmcnt(0)
	s_add_u32 s18, s18, s6
	v_or_b32_e32 v2, s4, v0
	s_addc_u32 s19, s19, s7
	v_and_b32_e32 v10, 7, v8
	s_add_u32 s2, s2, s6
	v_cmp_gt_i32_e32 vcc, s8, v2
	v_lshlrev_b32_e32 v2, 2, v0
	s_addc_u32 s3, s3, s7
	v_lshl_or_b32 v12, v11, 7, v2
	v_lshlrev_b32_e32 v2, 2, v10
	v_add_u32_e32 v3, s11, v1
	s_load_dwordx2 s[6:7], s[2:3], 0x0
	v_lshl_or_b32 v1, v1, 5, v2
	v_add_u32_e32 v13, 0x400, v1
	v_mov_b32_e32 v1, 0x400
	v_add_u32_e32 v0, s4, v0
	v_lshl_add_u32 v15, v9, 5, v1
	v_mad_i64_i32 v[0:1], s[22:23], s15, v0, 0
	s_lshl_b64 s[16:17], s[16:17], 2
	v_lshl_add_u64 v[4:5], v[0:1], 2, s[16:17]
	v_lshlrev_b32_e32 v0, 2, v11
	v_mov_b32_e32 v1, 0
	s_load_dwordx2 s[18:19], s[18:19], 0x0
	v_lshl_add_u64 v[4:5], v[4:5], 0, v[0:1]
	s_waitcnt lgkmcnt(0)
	v_lshl_add_u64 v[4:5], s[6:7], 0, v[4:5]
	v_mad_i64_i32 v[6:7], s[6:7], s24, v3, 0
	s_lshl_b64 s[6:7], s[20:21], 2
	v_cmp_gt_i32_e64 s[2:3], s8, v3
	v_lshl_add_u64 v[6:7], v[6:7], 2, s[6:7]
	v_mov_b32_e32 v3, v1
	v_lshl_add_u64 v[2:3], v[6:7], 0, v[2:3]
	v_lshlrev_b32_e32 v14, 2, v8
	v_lshl_add_u64 v[6:7], s[18:19], 0, v[2:3]
	v_mov_b32_e32 v0, v1
	v_mov_b32_e32 v2, v1
	;; [unrolled: 1-line block ×3, first 2 shown]
	s_branch .LBB318_6
.LBB318_5:                              ;   in Loop: Header=BB318_6 Depth=1
	s_or_b64 exec, exec, s[6:7]
	s_waitcnt vmcnt(0) lgkmcnt(0)
	ds_write_b32 v13, v16
	s_waitcnt lgkmcnt(0)
	s_barrier
	ds_read_b128 v[16:19], v15
	ds_read_b128 v[20:23], v15 offset:16
	ds_read2_b32 v[32:33], v14 offset1:16
	ds_read2_b32 v[34:35], v14 offset0:32 offset1:48
	ds_read2_b32 v[36:37], v14 offset0:64 offset1:80
	;; [unrolled: 1-line block ×4, first 2 shown]
	ds_read_b128 v[24:27], v15 offset:512
	ds_read_b128 v[28:31], v15 offset:528
	ds_read2_b32 v[42:43], v14 offset0:160 offset1:176
	ds_read2_b32 v[44:45], v14 offset0:192 offset1:208
	;; [unrolled: 1-line block ×3, first 2 shown]
	s_waitcnt lgkmcnt(9)
	v_pk_fma_f32 v[2:3], v[32:33], v[16:17], v[2:3] op_sel_hi:[1,0,1]
	s_waitcnt lgkmcnt(4)
	v_pk_fma_f32 v[0:1], v[32:33], v[24:25], v[0:1] op_sel_hi:[1,0,1]
	v_pk_fma_f32 v[2:3], v[34:35], v[16:17], v[2:3] op_sel:[0,1,0]
	v_mov_b32_e32 v16, v19
	v_pk_fma_f32 v[2:3], v[36:37], v[18:19], v[2:3] op_sel_hi:[1,0,1]
	v_pk_fma_f32 v[0:1], v[34:35], v[24:25], v[0:1] op_sel:[0,1,0]
	v_pk_fma_f32 v[2:3], v[38:39], v[16:17], v[2:3] op_sel_hi:[1,0,1]
	v_mov_b32_e32 v16, v23
	v_pk_fma_f32 v[2:3], v[40:41], v[20:21], v[2:3] op_sel_hi:[1,0,1]
	v_pk_fma_f32 v[0:1], v[36:37], v[26:27], v[0:1] op_sel_hi:[1,0,1]
	s_waitcnt lgkmcnt(2)
	v_pk_fma_f32 v[2:3], v[42:43], v[20:21], v[2:3] op_sel:[0,1,0]
	s_add_i32 s5, s5, 8
	s_waitcnt lgkmcnt(1)
	v_pk_fma_f32 v[2:3], v[44:45], v[22:23], v[2:3] op_sel_hi:[1,0,1]
	v_lshl_add_u64 v[4:5], v[4:5], 0, 32
	s_waitcnt lgkmcnt(0)
	v_pk_fma_f32 v[2:3], v[46:47], v[16:17], v[2:3] op_sel_hi:[1,0,1]
	v_mov_b32_e32 v16, v27
	v_pk_fma_f32 v[0:1], v[38:39], v[16:17], v[0:1] op_sel_hi:[1,0,1]
	v_mov_b32_e32 v16, v31
	v_pk_fma_f32 v[0:1], v[40:41], v[28:29], v[0:1] op_sel_hi:[1,0,1]
	s_cmp_lt_i32 s5, s9
	v_pk_fma_f32 v[0:1], v[42:43], v[28:29], v[0:1] op_sel:[0,1,0]
	v_lshl_add_u64 v[6:7], v[6:7], 0, 32
	v_pk_fma_f32 v[0:1], v[44:45], v[30:31], v[0:1] op_sel_hi:[1,0,1]
	s_nop 0
	v_pk_fma_f32 v[0:1], v[46:47], v[16:17], v[0:1] op_sel_hi:[1,0,1]
	s_barrier
	s_cbranch_scc0 .LBB318_10
.LBB318_6:                              ; =>This Inner Loop Header: Depth=1
	v_add_u32_e32 v16, s5, v11
	v_cmp_gt_i32_e64 s[6:7], s9, v16
	s_and_b64 s[16:17], vcc, s[6:7]
	v_mov_b32_e32 v16, 0
	s_and_saveexec_b64 s[6:7], s[16:17]
	s_cbranch_execz .LBB318_8
; %bb.7:                                ;   in Loop: Header=BB318_6 Depth=1
	flat_load_dword v16, v[4:5]
.LBB318_8:                              ;   in Loop: Header=BB318_6 Depth=1
	s_or_b64 exec, exec, s[6:7]
	s_waitcnt vmcnt(0) lgkmcnt(0)
	ds_write_b32 v12, v16
	v_add_u32_e32 v16, s5, v10
	v_cmp_gt_i32_e64 s[6:7], s9, v16
	s_and_b64 s[16:17], s[6:7], s[2:3]
	v_mov_b32_e32 v16, 0
	s_and_saveexec_b64 s[6:7], s[16:17]
	s_cbranch_execz .LBB318_5
; %bb.9:                                ;   in Loop: Header=BB318_6 Depth=1
	flat_load_dword v16, v[6:7]
	s_branch .LBB318_5
.LBB318_10:
	s_load_dwordx2 s[2:3], s[0:1], 0x58
	s_load_dword s15, s[0:1], 0x50
	v_add_u32_e32 v10, s11, v9
	v_add_u32_e32 v4, s4, v8
	v_cmp_le_i32_e32 vcc, v10, v4
	s_waitcnt lgkmcnt(0)
	s_lshl_b64 s[0:1], s[2:3], 2
	s_add_u32 s6, s12, s0
	s_addc_u32 s7, s13, s1
	v_mad_i64_i32 v[6:7], s[0:1], v10, s15, 0
	v_cmp_neq_f32_e64 s[0:1], s14, 0
	v_lshl_add_u64 v[8:9], v[6:7], 2, s[6:7]
	v_cmp_gt_i32_e64 s[2:3], s8, v4
	v_cndmask_b32_e64 v6, 0, 1, s[0:1]
	s_and_b64 s[12:13], vcc, s[2:3]
	v_ashrrev_i32_e32 v5, 31, v4
	v_cmp_ne_u32_e64 s[0:1], 1, v6
	s_and_saveexec_b64 s[4:5], s[12:13]
	s_cbranch_execz .LBB318_14
; %bb.11:
	v_mul_f32_e32 v2, s10, v2
	s_and_b64 vcc, exec, s[0:1]
	v_lshl_add_u64 v[6:7], v[4:5], 2, v[8:9]
	s_cbranch_vccnz .LBB318_13
; %bb.12:
	flat_load_dword v11, v[6:7]
	s_waitcnt vmcnt(0) lgkmcnt(0)
	v_fmac_f32_e32 v2, s14, v11
.LBB318_13:
	flat_store_dword v[6:7], v2
.LBB318_14:
	s_or_b64 exec, exec, s[4:5]
	v_add_u32_e32 v6, 16, v4
	v_cmp_le_i32_e32 vcc, v10, v6
	v_cmp_gt_i32_e64 s[4:5], s8, v6
	s_and_b64 s[12:13], vcc, s[4:5]
	v_ashrrev_i32_e32 v7, 31, v6
	s_and_saveexec_b64 s[8:9], s[12:13]
	s_cbranch_execz .LBB318_18
; %bb.15:
	v_mul_f32_e32 v11, s10, v3
	s_and_b64 vcc, exec, s[0:1]
	v_lshl_add_u64 v[2:3], v[6:7], 2, v[8:9]
	s_cbranch_vccnz .LBB318_17
; %bb.16:
	flat_load_dword v8, v[2:3]
	s_waitcnt vmcnt(0) lgkmcnt(0)
	v_fmac_f32_e32 v11, s14, v8
.LBB318_17:
	flat_store_dword v[2:3], v11
.LBB318_18:
	s_or_b64 exec, exec, s[8:9]
	v_add_u32_e32 v8, 16, v10
	v_mad_i64_i32 v[2:3], s[8:9], v8, s15, 0
	v_cmp_le_i32_e32 vcc, v8, v4
	v_lshl_add_u64 v[2:3], v[2:3], 2, s[6:7]
	s_and_b64 s[6:7], vcc, s[2:3]
	s_and_saveexec_b64 s[2:3], s[6:7]
	s_cbranch_execz .LBB318_22
; %bb.19:
	v_mul_f32_e32 v0, s10, v0
	s_and_b64 vcc, exec, s[0:1]
	v_lshl_add_u64 v[4:5], v[4:5], 2, v[2:3]
	s_cbranch_vccnz .LBB318_21
; %bb.20:
	flat_load_dword v9, v[4:5]
	s_waitcnt vmcnt(0) lgkmcnt(0)
	v_fmac_f32_e32 v0, s14, v9
.LBB318_21:
	flat_store_dword v[4:5], v0
.LBB318_22:
	s_or_b64 exec, exec, s[2:3]
	v_cmp_le_i32_e32 vcc, v8, v6
	s_and_b64 s[2:3], vcc, s[4:5]
	s_and_saveexec_b64 s[4:5], s[2:3]
	s_cbranch_execz .LBB318_26
; %bb.23:
	v_mul_f32_e32 v4, s10, v1
	s_and_b64 vcc, exec, s[0:1]
	v_lshl_add_u64 v[0:1], v[6:7], 2, v[2:3]
	s_cbranch_vccnz .LBB318_25
; %bb.24:
	flat_load_dword v2, v[0:1]
	s_waitcnt vmcnt(0) lgkmcnt(0)
	v_fmac_f32_e32 v4, s14, v2
.LBB318_25:
	flat_store_dword v[0:1], v4
.LBB318_26:
	s_endpgm
	.section	.rodata,"a",@progbits
	.p2align	6, 0x0
	.amdhsa_kernel _ZL29rocblas_internal_gemmt_kernelIiLi16ELi32ELi8ELc84ELc78ELc76ELb0ELb0EffPKPKfPKPfEviT_T9_T10_S7_lS9_S7_lS8_T11_S7_li
		.amdhsa_group_segment_fixed_size 2048
		.amdhsa_private_segment_fixed_size 0
		.amdhsa_kernarg_size 100
		.amdhsa_user_sgpr_count 2
		.amdhsa_user_sgpr_dispatch_ptr 0
		.amdhsa_user_sgpr_queue_ptr 0
		.amdhsa_user_sgpr_kernarg_segment_ptr 1
		.amdhsa_user_sgpr_dispatch_id 0
		.amdhsa_user_sgpr_kernarg_preload_length 0
		.amdhsa_user_sgpr_kernarg_preload_offset 0
		.amdhsa_user_sgpr_private_segment_size 0
		.amdhsa_uses_dynamic_stack 0
		.amdhsa_enable_private_segment 0
		.amdhsa_system_sgpr_workgroup_id_x 1
		.amdhsa_system_sgpr_workgroup_id_y 1
		.amdhsa_system_sgpr_workgroup_id_z 1
		.amdhsa_system_sgpr_workgroup_info 0
		.amdhsa_system_vgpr_workitem_id 1
		.amdhsa_next_free_vgpr 48
		.amdhsa_next_free_sgpr 25
		.amdhsa_accum_offset 48
		.amdhsa_reserve_vcc 1
		.amdhsa_float_round_mode_32 0
		.amdhsa_float_round_mode_16_64 0
		.amdhsa_float_denorm_mode_32 3
		.amdhsa_float_denorm_mode_16_64 3
		.amdhsa_dx10_clamp 1
		.amdhsa_ieee_mode 1
		.amdhsa_fp16_overflow 0
		.amdhsa_tg_split 0
		.amdhsa_exception_fp_ieee_invalid_op 0
		.amdhsa_exception_fp_denorm_src 0
		.amdhsa_exception_fp_ieee_div_zero 0
		.amdhsa_exception_fp_ieee_overflow 0
		.amdhsa_exception_fp_ieee_underflow 0
		.amdhsa_exception_fp_ieee_inexact 0
		.amdhsa_exception_int_div_zero 0
	.end_amdhsa_kernel
	.section	.text._ZL29rocblas_internal_gemmt_kernelIiLi16ELi32ELi8ELc84ELc78ELc76ELb0ELb0EffPKPKfPKPfEviT_T9_T10_S7_lS9_S7_lS8_T11_S7_li,"axG",@progbits,_ZL29rocblas_internal_gemmt_kernelIiLi16ELi32ELi8ELc84ELc78ELc76ELb0ELb0EffPKPKfPKPfEviT_T9_T10_S7_lS9_S7_lS8_T11_S7_li,comdat
.Lfunc_end318:
	.size	_ZL29rocblas_internal_gemmt_kernelIiLi16ELi32ELi8ELc84ELc78ELc76ELb0ELb0EffPKPKfPKPfEviT_T9_T10_S7_lS9_S7_lS8_T11_S7_li, .Lfunc_end318-_ZL29rocblas_internal_gemmt_kernelIiLi16ELi32ELi8ELc84ELc78ELc76ELb0ELb0EffPKPKfPKPfEviT_T9_T10_S7_lS9_S7_lS8_T11_S7_li
                                        ; -- End function
	.set _ZL29rocblas_internal_gemmt_kernelIiLi16ELi32ELi8ELc84ELc78ELc76ELb0ELb0EffPKPKfPKPfEviT_T9_T10_S7_lS9_S7_lS8_T11_S7_li.num_vgpr, 48
	.set _ZL29rocblas_internal_gemmt_kernelIiLi16ELi32ELi8ELc84ELc78ELc76ELb0ELb0EffPKPKfPKPfEviT_T9_T10_S7_lS9_S7_lS8_T11_S7_li.num_agpr, 0
	.set _ZL29rocblas_internal_gemmt_kernelIiLi16ELi32ELi8ELc84ELc78ELc76ELb0ELb0EffPKPKfPKPfEviT_T9_T10_S7_lS9_S7_lS8_T11_S7_li.numbered_sgpr, 25
	.set _ZL29rocblas_internal_gemmt_kernelIiLi16ELi32ELi8ELc84ELc78ELc76ELb0ELb0EffPKPKfPKPfEviT_T9_T10_S7_lS9_S7_lS8_T11_S7_li.num_named_barrier, 0
	.set _ZL29rocblas_internal_gemmt_kernelIiLi16ELi32ELi8ELc84ELc78ELc76ELb0ELb0EffPKPKfPKPfEviT_T9_T10_S7_lS9_S7_lS8_T11_S7_li.private_seg_size, 0
	.set _ZL29rocblas_internal_gemmt_kernelIiLi16ELi32ELi8ELc84ELc78ELc76ELb0ELb0EffPKPKfPKPfEviT_T9_T10_S7_lS9_S7_lS8_T11_S7_li.uses_vcc, 1
	.set _ZL29rocblas_internal_gemmt_kernelIiLi16ELi32ELi8ELc84ELc78ELc76ELb0ELb0EffPKPKfPKPfEviT_T9_T10_S7_lS9_S7_lS8_T11_S7_li.uses_flat_scratch, 0
	.set _ZL29rocblas_internal_gemmt_kernelIiLi16ELi32ELi8ELc84ELc78ELc76ELb0ELb0EffPKPKfPKPfEviT_T9_T10_S7_lS9_S7_lS8_T11_S7_li.has_dyn_sized_stack, 0
	.set _ZL29rocblas_internal_gemmt_kernelIiLi16ELi32ELi8ELc84ELc78ELc76ELb0ELb0EffPKPKfPKPfEviT_T9_T10_S7_lS9_S7_lS8_T11_S7_li.has_recursion, 0
	.set _ZL29rocblas_internal_gemmt_kernelIiLi16ELi32ELi8ELc84ELc78ELc76ELb0ELb0EffPKPKfPKPfEviT_T9_T10_S7_lS9_S7_lS8_T11_S7_li.has_indirect_call, 0
	.section	.AMDGPU.csdata,"",@progbits
; Kernel info:
; codeLenInByte = 1244
; TotalNumSgprs: 31
; NumVgprs: 48
; NumAgprs: 0
; TotalNumVgprs: 48
; ScratchSize: 0
; MemoryBound: 0
; FloatMode: 240
; IeeeMode: 1
; LDSByteSize: 2048 bytes/workgroup (compile time only)
; SGPRBlocks: 3
; VGPRBlocks: 5
; NumSGPRsForWavesPerEU: 31
; NumVGPRsForWavesPerEU: 48
; AccumOffset: 48
; Occupancy: 8
; WaveLimiterHint : 1
; COMPUTE_PGM_RSRC2:SCRATCH_EN: 0
; COMPUTE_PGM_RSRC2:USER_SGPR: 2
; COMPUTE_PGM_RSRC2:TRAP_HANDLER: 0
; COMPUTE_PGM_RSRC2:TGID_X_EN: 1
; COMPUTE_PGM_RSRC2:TGID_Y_EN: 1
; COMPUTE_PGM_RSRC2:TGID_Z_EN: 1
; COMPUTE_PGM_RSRC2:TIDIG_COMP_CNT: 1
; COMPUTE_PGM_RSRC3_GFX90A:ACCUM_OFFSET: 11
; COMPUTE_PGM_RSRC3_GFX90A:TG_SPLIT: 0
	.section	.text._ZL29rocblas_internal_gemmt_kernelIiLi16ELi32ELi8ELc84ELc84ELc76ELb0ELb0EffPKPKfPKPfEviT_T9_T10_S7_lS9_S7_lS8_T11_S7_li,"axG",@progbits,_ZL29rocblas_internal_gemmt_kernelIiLi16ELi32ELi8ELc84ELc84ELc76ELb0ELb0EffPKPKfPKPfEviT_T9_T10_S7_lS9_S7_lS8_T11_S7_li,comdat
	.globl	_ZL29rocblas_internal_gemmt_kernelIiLi16ELi32ELi8ELc84ELc84ELc76ELb0ELb0EffPKPKfPKPfEviT_T9_T10_S7_lS9_S7_lS8_T11_S7_li ; -- Begin function _ZL29rocblas_internal_gemmt_kernelIiLi16ELi32ELi8ELc84ELc84ELc76ELb0ELb0EffPKPKfPKPfEviT_T9_T10_S7_lS9_S7_lS8_T11_S7_li
	.p2align	8
	.type	_ZL29rocblas_internal_gemmt_kernelIiLi16ELi32ELi8ELc84ELc84ELc76ELb0ELb0EffPKPKfPKPfEviT_T9_T10_S7_lS9_S7_lS8_T11_S7_li,@function
_ZL29rocblas_internal_gemmt_kernelIiLi16ELi32ELi8ELc84ELc84ELc76ELb0ELb0EffPKPKfPKPfEviT_T9_T10_S7_lS9_S7_lS8_T11_S7_li: ; @_ZL29rocblas_internal_gemmt_kernelIiLi16ELi32ELi8ELc84ELc84ELc76ELb0ELb0EffPKPKfPKPfEviT_T9_T10_S7_lS9_S7_lS8_T11_S7_li
; %bb.0:
	s_load_dword s16, s[0:1], 0x40
	s_load_dwordx4 s[8:11], s[0:1], 0x0
	s_waitcnt lgkmcnt(0)
	v_cmp_neq_f32_e64 s[6:7], s16, 1.0
	s_and_b64 vcc, exec, s[6:7]
	s_cbranch_vccnz .LBB319_2
; %bb.1:
	s_cmp_lg_u32 s9, 0
	s_cselect_b64 s[6:7], -1, 0
	v_cmp_neq_f32_e64 s[12:13], s10, 0
	s_and_b64 s[6:7], s[6:7], s[12:13]
.LBB319_2:
	s_andn2_b64 vcc, exec, s[6:7]
	s_cbranch_vccnz .LBB319_26
; %bb.3:
	s_load_dwordx2 s[12:13], s[0:1], 0x48
	s_mov_b32 s5, 0
	s_lshl_b64 s[6:7], s[4:5], 3
	v_mov_b32_e32 v3, 0
	v_and_b32_e32 v8, 0x3ff, v0
	s_waitcnt lgkmcnt(0)
	s_add_u32 s12, s12, s6
	s_addc_u32 s13, s13, s7
	s_load_dwordx2 s[12:13], s[12:13], 0x0
	s_lshl_b32 s4, s2, 5
	s_lshl_b32 s11, s3, 5
	s_cmp_lt_i32 s9, 1
	v_cmp_eq_f32_e64 s[2:3], s10, 0
	s_cselect_b64 s[14:15], -1, 0
	s_or_b64 s[2:3], s[2:3], s[14:15]
	v_bfe_u32 v9, v0, 10, 10
	s_and_b64 vcc, exec, s[2:3]
	v_mov_b32_e32 v2, v3
	v_mov_b32_e32 v1, v3
	;; [unrolled: 1-line block ×3, first 2 shown]
	s_cbranch_vccnz .LBB319_10
; %bb.4:
	s_load_dwordx4 s[20:23], s[0:1], 0x20
	s_load_dword s14, s[0:1], 0x30
	v_lshl_add_u32 v0, v9, 4, v8
	s_load_dwordx2 s[2:3], s[0:1], 0x10
	s_load_dword s17, s[0:1], 0x18
	s_load_dwordx2 s[18:19], s[0:1], 0x38
	v_lshrrev_b32_e32 v11, 5, v0
	v_lshrrev_b32_e32 v1, 3, v0
	s_waitcnt lgkmcnt(0)
	s_ashr_i32 s15, s14, 31
	v_and_b32_e32 v0, 31, v0
	s_add_u32 s22, s22, s6
	v_or_b32_e32 v3, s4, v0
	s_addc_u32 s23, s23, s7
	v_and_b32_e32 v10, 7, v8
	s_add_u32 s2, s2, s6
	v_cmp_gt_i32_e32 vcc, s8, v3
	v_lshlrev_b32_e32 v3, 2, v0
	s_addc_u32 s3, s3, s7
	v_lshl_or_b32 v12, v11, 7, v3
	v_lshlrev_b32_e32 v3, 2, v10
	v_add_u32_e32 v2, s11, v1
	s_load_dwordx2 s[6:7], s[2:3], 0x0
	v_lshl_or_b32 v1, v1, 5, v3
	v_add_u32_e32 v13, 0x400, v1
	v_mov_b32_e32 v1, 0x400
	v_add_u32_e32 v0, s4, v0
	v_lshl_add_u32 v15, v9, 5, v1
	v_mad_i64_i32 v[0:1], s[24:25], s17, v0, 0
	s_lshl_b64 s[20:21], s[20:21], 2
	v_lshl_add_u64 v[4:5], v[0:1], 2, s[20:21]
	v_lshlrev_b32_e32 v0, 2, v11
	v_mov_b32_e32 v1, 0
	s_load_dwordx2 s[22:23], s[22:23], 0x0
	v_lshl_add_u64 v[4:5], v[4:5], 0, v[0:1]
	s_waitcnt lgkmcnt(0)
	v_lshl_add_u64 v[4:5], s[6:7], 0, v[4:5]
	v_mad_i64_i32 v[6:7], s[6:7], s14, v10, 0
	s_lshl_b64 s[6:7], s[18:19], 2
	v_ashrrev_i32_e32 v3, 31, v2
	v_lshl_add_u64 v[6:7], v[6:7], 2, s[6:7]
	v_cmp_gt_i32_e64 s[2:3], s8, v2
	v_lshl_add_u64 v[2:3], v[2:3], 2, v[6:7]
	v_lshlrev_b32_e32 v14, 2, v8
	v_lshl_add_u64 v[6:7], s[22:23], 0, v[2:3]
	s_lshl_b64 s[14:15], s[14:15], 5
	v_mov_b32_e32 v0, v1
	v_mov_b32_e32 v2, v1
	;; [unrolled: 1-line block ×3, first 2 shown]
	s_branch .LBB319_6
.LBB319_5:                              ;   in Loop: Header=BB319_6 Depth=1
	s_or_b64 exec, exec, s[6:7]
	s_waitcnt vmcnt(0) lgkmcnt(0)
	ds_write_b32 v13, v16
	s_waitcnt lgkmcnt(0)
	s_barrier
	ds_read_b128 v[16:19], v15
	ds_read_b128 v[20:23], v15 offset:16
	ds_read2_b32 v[32:33], v14 offset1:16
	ds_read2_b32 v[34:35], v14 offset0:32 offset1:48
	ds_read2_b32 v[36:37], v14 offset0:64 offset1:80
	;; [unrolled: 1-line block ×4, first 2 shown]
	ds_read_b128 v[24:27], v15 offset:512
	ds_read_b128 v[28:31], v15 offset:528
	ds_read2_b32 v[42:43], v14 offset0:160 offset1:176
	ds_read2_b32 v[44:45], v14 offset0:192 offset1:208
	;; [unrolled: 1-line block ×3, first 2 shown]
	s_waitcnt lgkmcnt(9)
	v_pk_fma_f32 v[2:3], v[32:33], v[16:17], v[2:3] op_sel_hi:[1,0,1]
	s_waitcnt lgkmcnt(4)
	v_pk_fma_f32 v[0:1], v[32:33], v[24:25], v[0:1] op_sel_hi:[1,0,1]
	v_pk_fma_f32 v[2:3], v[34:35], v[16:17], v[2:3] op_sel:[0,1,0]
	v_mov_b32_e32 v16, v19
	v_pk_fma_f32 v[2:3], v[36:37], v[18:19], v[2:3] op_sel_hi:[1,0,1]
	v_pk_fma_f32 v[0:1], v[34:35], v[24:25], v[0:1] op_sel:[0,1,0]
	v_pk_fma_f32 v[2:3], v[38:39], v[16:17], v[2:3] op_sel_hi:[1,0,1]
	v_mov_b32_e32 v16, v23
	v_pk_fma_f32 v[2:3], v[40:41], v[20:21], v[2:3] op_sel_hi:[1,0,1]
	v_pk_fma_f32 v[0:1], v[36:37], v[26:27], v[0:1] op_sel_hi:[1,0,1]
	s_waitcnt lgkmcnt(2)
	v_pk_fma_f32 v[2:3], v[42:43], v[20:21], v[2:3] op_sel:[0,1,0]
	s_add_i32 s5, s5, 8
	s_waitcnt lgkmcnt(1)
	v_pk_fma_f32 v[2:3], v[44:45], v[22:23], v[2:3] op_sel_hi:[1,0,1]
	v_lshl_add_u64 v[4:5], v[4:5], 0, 32
	s_waitcnt lgkmcnt(0)
	v_pk_fma_f32 v[2:3], v[46:47], v[16:17], v[2:3] op_sel_hi:[1,0,1]
	v_mov_b32_e32 v16, v27
	v_pk_fma_f32 v[0:1], v[38:39], v[16:17], v[0:1] op_sel_hi:[1,0,1]
	v_mov_b32_e32 v16, v31
	v_pk_fma_f32 v[0:1], v[40:41], v[28:29], v[0:1] op_sel_hi:[1,0,1]
	s_cmp_lt_i32 s5, s9
	v_pk_fma_f32 v[0:1], v[42:43], v[28:29], v[0:1] op_sel:[0,1,0]
	v_lshl_add_u64 v[6:7], v[6:7], 0, s[14:15]
	v_pk_fma_f32 v[0:1], v[44:45], v[30:31], v[0:1] op_sel_hi:[1,0,1]
	s_nop 0
	v_pk_fma_f32 v[0:1], v[46:47], v[16:17], v[0:1] op_sel_hi:[1,0,1]
	s_barrier
	s_cbranch_scc0 .LBB319_10
.LBB319_6:                              ; =>This Inner Loop Header: Depth=1
	v_add_u32_e32 v16, s5, v11
	v_cmp_gt_i32_e64 s[6:7], s9, v16
	s_and_b64 s[18:19], vcc, s[6:7]
	v_mov_b32_e32 v16, 0
	s_and_saveexec_b64 s[6:7], s[18:19]
	s_cbranch_execz .LBB319_8
; %bb.7:                                ;   in Loop: Header=BB319_6 Depth=1
	flat_load_dword v16, v[4:5]
.LBB319_8:                              ;   in Loop: Header=BB319_6 Depth=1
	s_or_b64 exec, exec, s[6:7]
	s_waitcnt vmcnt(0) lgkmcnt(0)
	ds_write_b32 v12, v16
	v_add_u32_e32 v16, s5, v10
	v_cmp_gt_i32_e64 s[6:7], s9, v16
	s_and_b64 s[18:19], s[6:7], s[2:3]
	v_mov_b32_e32 v16, 0
	s_and_saveexec_b64 s[6:7], s[18:19]
	s_cbranch_execz .LBB319_5
; %bb.9:                                ;   in Loop: Header=BB319_6 Depth=1
	flat_load_dword v16, v[6:7]
	s_branch .LBB319_5
.LBB319_10:
	s_load_dwordx2 s[2:3], s[0:1], 0x58
	s_load_dword s14, s[0:1], 0x50
	v_add_u32_e32 v10, s11, v9
	v_add_u32_e32 v4, s4, v8
	v_cmp_le_i32_e32 vcc, v10, v4
	s_waitcnt lgkmcnt(0)
	s_lshl_b64 s[0:1], s[2:3], 2
	s_add_u32 s6, s12, s0
	s_addc_u32 s7, s13, s1
	v_mad_i64_i32 v[6:7], s[0:1], v10, s14, 0
	v_cmp_neq_f32_e64 s[0:1], s16, 0
	v_lshl_add_u64 v[8:9], v[6:7], 2, s[6:7]
	v_cmp_gt_i32_e64 s[2:3], s8, v4
	v_cndmask_b32_e64 v6, 0, 1, s[0:1]
	s_and_b64 s[12:13], vcc, s[2:3]
	v_ashrrev_i32_e32 v5, 31, v4
	v_cmp_ne_u32_e64 s[0:1], 1, v6
	s_and_saveexec_b64 s[4:5], s[12:13]
	s_cbranch_execz .LBB319_14
; %bb.11:
	v_mul_f32_e32 v2, s10, v2
	s_and_b64 vcc, exec, s[0:1]
	v_lshl_add_u64 v[6:7], v[4:5], 2, v[8:9]
	s_cbranch_vccnz .LBB319_13
; %bb.12:
	flat_load_dword v11, v[6:7]
	s_waitcnt vmcnt(0) lgkmcnt(0)
	v_fmac_f32_e32 v2, s16, v11
.LBB319_13:
	flat_store_dword v[6:7], v2
.LBB319_14:
	s_or_b64 exec, exec, s[4:5]
	v_add_u32_e32 v6, 16, v4
	v_cmp_le_i32_e32 vcc, v10, v6
	v_cmp_gt_i32_e64 s[4:5], s8, v6
	s_and_b64 s[12:13], vcc, s[4:5]
	v_ashrrev_i32_e32 v7, 31, v6
	s_and_saveexec_b64 s[8:9], s[12:13]
	s_cbranch_execz .LBB319_18
; %bb.15:
	v_mul_f32_e32 v11, s10, v3
	s_and_b64 vcc, exec, s[0:1]
	v_lshl_add_u64 v[2:3], v[6:7], 2, v[8:9]
	s_cbranch_vccnz .LBB319_17
; %bb.16:
	flat_load_dword v8, v[2:3]
	s_waitcnt vmcnt(0) lgkmcnt(0)
	v_fmac_f32_e32 v11, s16, v8
.LBB319_17:
	flat_store_dword v[2:3], v11
.LBB319_18:
	s_or_b64 exec, exec, s[8:9]
	v_add_u32_e32 v8, 16, v10
	v_mad_i64_i32 v[2:3], s[8:9], v8, s14, 0
	v_cmp_le_i32_e32 vcc, v8, v4
	v_lshl_add_u64 v[2:3], v[2:3], 2, s[6:7]
	s_and_b64 s[6:7], vcc, s[2:3]
	s_and_saveexec_b64 s[2:3], s[6:7]
	s_cbranch_execz .LBB319_22
; %bb.19:
	v_mul_f32_e32 v0, s10, v0
	s_and_b64 vcc, exec, s[0:1]
	v_lshl_add_u64 v[4:5], v[4:5], 2, v[2:3]
	s_cbranch_vccnz .LBB319_21
; %bb.20:
	flat_load_dword v9, v[4:5]
	s_waitcnt vmcnt(0) lgkmcnt(0)
	v_fmac_f32_e32 v0, s16, v9
.LBB319_21:
	flat_store_dword v[4:5], v0
.LBB319_22:
	s_or_b64 exec, exec, s[2:3]
	v_cmp_le_i32_e32 vcc, v8, v6
	s_and_b64 s[2:3], vcc, s[4:5]
	s_and_saveexec_b64 s[4:5], s[2:3]
	s_cbranch_execz .LBB319_26
; %bb.23:
	v_mul_f32_e32 v4, s10, v1
	s_and_b64 vcc, exec, s[0:1]
	v_lshl_add_u64 v[0:1], v[6:7], 2, v[2:3]
	s_cbranch_vccnz .LBB319_25
; %bb.24:
	flat_load_dword v2, v[0:1]
	s_waitcnt vmcnt(0) lgkmcnt(0)
	v_fmac_f32_e32 v4, s16, v2
.LBB319_25:
	flat_store_dword v[0:1], v4
.LBB319_26:
	s_endpgm
	.section	.rodata,"a",@progbits
	.p2align	6, 0x0
	.amdhsa_kernel _ZL29rocblas_internal_gemmt_kernelIiLi16ELi32ELi8ELc84ELc84ELc76ELb0ELb0EffPKPKfPKPfEviT_T9_T10_S7_lS9_S7_lS8_T11_S7_li
		.amdhsa_group_segment_fixed_size 2048
		.amdhsa_private_segment_fixed_size 0
		.amdhsa_kernarg_size 100
		.amdhsa_user_sgpr_count 2
		.amdhsa_user_sgpr_dispatch_ptr 0
		.amdhsa_user_sgpr_queue_ptr 0
		.amdhsa_user_sgpr_kernarg_segment_ptr 1
		.amdhsa_user_sgpr_dispatch_id 0
		.amdhsa_user_sgpr_kernarg_preload_length 0
		.amdhsa_user_sgpr_kernarg_preload_offset 0
		.amdhsa_user_sgpr_private_segment_size 0
		.amdhsa_uses_dynamic_stack 0
		.amdhsa_enable_private_segment 0
		.amdhsa_system_sgpr_workgroup_id_x 1
		.amdhsa_system_sgpr_workgroup_id_y 1
		.amdhsa_system_sgpr_workgroup_id_z 1
		.amdhsa_system_sgpr_workgroup_info 0
		.amdhsa_system_vgpr_workitem_id 1
		.amdhsa_next_free_vgpr 48
		.amdhsa_next_free_sgpr 26
		.amdhsa_accum_offset 48
		.amdhsa_reserve_vcc 1
		.amdhsa_float_round_mode_32 0
		.amdhsa_float_round_mode_16_64 0
		.amdhsa_float_denorm_mode_32 3
		.amdhsa_float_denorm_mode_16_64 3
		.amdhsa_dx10_clamp 1
		.amdhsa_ieee_mode 1
		.amdhsa_fp16_overflow 0
		.amdhsa_tg_split 0
		.amdhsa_exception_fp_ieee_invalid_op 0
		.amdhsa_exception_fp_denorm_src 0
		.amdhsa_exception_fp_ieee_div_zero 0
		.amdhsa_exception_fp_ieee_overflow 0
		.amdhsa_exception_fp_ieee_underflow 0
		.amdhsa_exception_fp_ieee_inexact 0
		.amdhsa_exception_int_div_zero 0
	.end_amdhsa_kernel
	.section	.text._ZL29rocblas_internal_gemmt_kernelIiLi16ELi32ELi8ELc84ELc84ELc76ELb0ELb0EffPKPKfPKPfEviT_T9_T10_S7_lS9_S7_lS8_T11_S7_li,"axG",@progbits,_ZL29rocblas_internal_gemmt_kernelIiLi16ELi32ELi8ELc84ELc84ELc76ELb0ELb0EffPKPKfPKPfEviT_T9_T10_S7_lS9_S7_lS8_T11_S7_li,comdat
.Lfunc_end319:
	.size	_ZL29rocblas_internal_gemmt_kernelIiLi16ELi32ELi8ELc84ELc84ELc76ELb0ELb0EffPKPKfPKPfEviT_T9_T10_S7_lS9_S7_lS8_T11_S7_li, .Lfunc_end319-_ZL29rocblas_internal_gemmt_kernelIiLi16ELi32ELi8ELc84ELc84ELc76ELb0ELb0EffPKPKfPKPfEviT_T9_T10_S7_lS9_S7_lS8_T11_S7_li
                                        ; -- End function
	.set _ZL29rocblas_internal_gemmt_kernelIiLi16ELi32ELi8ELc84ELc84ELc76ELb0ELb0EffPKPKfPKPfEviT_T9_T10_S7_lS9_S7_lS8_T11_S7_li.num_vgpr, 48
	.set _ZL29rocblas_internal_gemmt_kernelIiLi16ELi32ELi8ELc84ELc84ELc76ELb0ELb0EffPKPKfPKPfEviT_T9_T10_S7_lS9_S7_lS8_T11_S7_li.num_agpr, 0
	.set _ZL29rocblas_internal_gemmt_kernelIiLi16ELi32ELi8ELc84ELc84ELc76ELb0ELb0EffPKPKfPKPfEviT_T9_T10_S7_lS9_S7_lS8_T11_S7_li.numbered_sgpr, 26
	.set _ZL29rocblas_internal_gemmt_kernelIiLi16ELi32ELi8ELc84ELc84ELc76ELb0ELb0EffPKPKfPKPfEviT_T9_T10_S7_lS9_S7_lS8_T11_S7_li.num_named_barrier, 0
	.set _ZL29rocblas_internal_gemmt_kernelIiLi16ELi32ELi8ELc84ELc84ELc76ELb0ELb0EffPKPKfPKPfEviT_T9_T10_S7_lS9_S7_lS8_T11_S7_li.private_seg_size, 0
	.set _ZL29rocblas_internal_gemmt_kernelIiLi16ELi32ELi8ELc84ELc84ELc76ELb0ELb0EffPKPKfPKPfEviT_T9_T10_S7_lS9_S7_lS8_T11_S7_li.uses_vcc, 1
	.set _ZL29rocblas_internal_gemmt_kernelIiLi16ELi32ELi8ELc84ELc84ELc76ELb0ELb0EffPKPKfPKPfEviT_T9_T10_S7_lS9_S7_lS8_T11_S7_li.uses_flat_scratch, 0
	.set _ZL29rocblas_internal_gemmt_kernelIiLi16ELi32ELi8ELc84ELc84ELc76ELb0ELb0EffPKPKfPKPfEviT_T9_T10_S7_lS9_S7_lS8_T11_S7_li.has_dyn_sized_stack, 0
	.set _ZL29rocblas_internal_gemmt_kernelIiLi16ELi32ELi8ELc84ELc84ELc76ELb0ELb0EffPKPKfPKPfEviT_T9_T10_S7_lS9_S7_lS8_T11_S7_li.has_recursion, 0
	.set _ZL29rocblas_internal_gemmt_kernelIiLi16ELi32ELi8ELc84ELc84ELc76ELb0ELb0EffPKPKfPKPfEviT_T9_T10_S7_lS9_S7_lS8_T11_S7_li.has_indirect_call, 0
	.section	.AMDGPU.csdata,"",@progbits
; Kernel info:
; codeLenInByte = 1252
; TotalNumSgprs: 32
; NumVgprs: 48
; NumAgprs: 0
; TotalNumVgprs: 48
; ScratchSize: 0
; MemoryBound: 0
; FloatMode: 240
; IeeeMode: 1
; LDSByteSize: 2048 bytes/workgroup (compile time only)
; SGPRBlocks: 3
; VGPRBlocks: 5
; NumSGPRsForWavesPerEU: 32
; NumVGPRsForWavesPerEU: 48
; AccumOffset: 48
; Occupancy: 8
; WaveLimiterHint : 1
; COMPUTE_PGM_RSRC2:SCRATCH_EN: 0
; COMPUTE_PGM_RSRC2:USER_SGPR: 2
; COMPUTE_PGM_RSRC2:TRAP_HANDLER: 0
; COMPUTE_PGM_RSRC2:TGID_X_EN: 1
; COMPUTE_PGM_RSRC2:TGID_Y_EN: 1
; COMPUTE_PGM_RSRC2:TGID_Z_EN: 1
; COMPUTE_PGM_RSRC2:TIDIG_COMP_CNT: 1
; COMPUTE_PGM_RSRC3_GFX90A:ACCUM_OFFSET: 11
; COMPUTE_PGM_RSRC3_GFX90A:TG_SPLIT: 0
	.section	.text._ZL29rocblas_internal_gemmt_kernelIiLi16ELi32ELi8ELc84ELc67ELc76ELb0ELb0EffPKPKfPKPfEviT_T9_T10_S7_lS9_S7_lS8_T11_S7_li,"axG",@progbits,_ZL29rocblas_internal_gemmt_kernelIiLi16ELi32ELi8ELc84ELc67ELc76ELb0ELb0EffPKPKfPKPfEviT_T9_T10_S7_lS9_S7_lS8_T11_S7_li,comdat
	.globl	_ZL29rocblas_internal_gemmt_kernelIiLi16ELi32ELi8ELc84ELc67ELc76ELb0ELb0EffPKPKfPKPfEviT_T9_T10_S7_lS9_S7_lS8_T11_S7_li ; -- Begin function _ZL29rocblas_internal_gemmt_kernelIiLi16ELi32ELi8ELc84ELc67ELc76ELb0ELb0EffPKPKfPKPfEviT_T9_T10_S7_lS9_S7_lS8_T11_S7_li
	.p2align	8
	.type	_ZL29rocblas_internal_gemmt_kernelIiLi16ELi32ELi8ELc84ELc67ELc76ELb0ELb0EffPKPKfPKPfEviT_T9_T10_S7_lS9_S7_lS8_T11_S7_li,@function
_ZL29rocblas_internal_gemmt_kernelIiLi16ELi32ELi8ELc84ELc67ELc76ELb0ELb0EffPKPKfPKPfEviT_T9_T10_S7_lS9_S7_lS8_T11_S7_li: ; @_ZL29rocblas_internal_gemmt_kernelIiLi16ELi32ELi8ELc84ELc67ELc76ELb0ELb0EffPKPKfPKPfEviT_T9_T10_S7_lS9_S7_lS8_T11_S7_li
; %bb.0:
	s_load_dword s16, s[0:1], 0x40
	s_load_dwordx4 s[8:11], s[0:1], 0x0
	s_waitcnt lgkmcnt(0)
	v_cmp_neq_f32_e64 s[6:7], s16, 1.0
	s_and_b64 vcc, exec, s[6:7]
	s_cbranch_vccnz .LBB320_2
; %bb.1:
	s_cmp_lg_u32 s9, 0
	s_cselect_b64 s[6:7], -1, 0
	v_cmp_neq_f32_e64 s[12:13], s10, 0
	s_and_b64 s[6:7], s[6:7], s[12:13]
.LBB320_2:
	s_andn2_b64 vcc, exec, s[6:7]
	s_cbranch_vccnz .LBB320_26
; %bb.3:
	s_load_dwordx2 s[12:13], s[0:1], 0x48
	s_mov_b32 s5, 0
	s_lshl_b64 s[6:7], s[4:5], 3
	v_mov_b32_e32 v3, 0
	v_and_b32_e32 v8, 0x3ff, v0
	s_waitcnt lgkmcnt(0)
	s_add_u32 s12, s12, s6
	s_addc_u32 s13, s13, s7
	s_load_dwordx2 s[12:13], s[12:13], 0x0
	s_lshl_b32 s4, s2, 5
	s_lshl_b32 s11, s3, 5
	s_cmp_lt_i32 s9, 1
	v_cmp_eq_f32_e64 s[2:3], s10, 0
	s_cselect_b64 s[14:15], -1, 0
	s_or_b64 s[2:3], s[2:3], s[14:15]
	v_bfe_u32 v9, v0, 10, 10
	s_and_b64 vcc, exec, s[2:3]
	v_mov_b32_e32 v2, v3
	v_mov_b32_e32 v1, v3
	;; [unrolled: 1-line block ×3, first 2 shown]
	s_cbranch_vccnz .LBB320_10
; %bb.4:
	s_load_dwordx4 s[20:23], s[0:1], 0x20
	s_load_dword s14, s[0:1], 0x30
	v_lshl_add_u32 v0, v9, 4, v8
	s_load_dwordx2 s[2:3], s[0:1], 0x10
	s_load_dword s17, s[0:1], 0x18
	s_load_dwordx2 s[18:19], s[0:1], 0x38
	v_lshrrev_b32_e32 v11, 5, v0
	v_lshrrev_b32_e32 v1, 3, v0
	s_waitcnt lgkmcnt(0)
	s_ashr_i32 s15, s14, 31
	v_and_b32_e32 v0, 31, v0
	s_add_u32 s22, s22, s6
	v_or_b32_e32 v3, s4, v0
	s_addc_u32 s23, s23, s7
	v_and_b32_e32 v10, 7, v8
	s_add_u32 s2, s2, s6
	v_cmp_gt_i32_e32 vcc, s8, v3
	v_lshlrev_b32_e32 v3, 2, v0
	s_addc_u32 s3, s3, s7
	v_lshl_or_b32 v12, v11, 7, v3
	v_lshlrev_b32_e32 v3, 2, v10
	v_add_u32_e32 v2, s11, v1
	s_load_dwordx2 s[6:7], s[2:3], 0x0
	v_lshl_or_b32 v1, v1, 5, v3
	v_add_u32_e32 v13, 0x400, v1
	v_mov_b32_e32 v1, 0x400
	v_add_u32_e32 v0, s4, v0
	v_lshl_add_u32 v15, v9, 5, v1
	v_mad_i64_i32 v[0:1], s[24:25], s17, v0, 0
	s_lshl_b64 s[20:21], s[20:21], 2
	v_lshl_add_u64 v[4:5], v[0:1], 2, s[20:21]
	v_lshlrev_b32_e32 v0, 2, v11
	v_mov_b32_e32 v1, 0
	s_load_dwordx2 s[22:23], s[22:23], 0x0
	v_lshl_add_u64 v[4:5], v[4:5], 0, v[0:1]
	s_waitcnt lgkmcnt(0)
	v_lshl_add_u64 v[4:5], s[6:7], 0, v[4:5]
	v_mad_i64_i32 v[6:7], s[6:7], s14, v10, 0
	s_lshl_b64 s[6:7], s[18:19], 2
	v_ashrrev_i32_e32 v3, 31, v2
	v_lshl_add_u64 v[6:7], v[6:7], 2, s[6:7]
	v_cmp_gt_i32_e64 s[2:3], s8, v2
	v_lshl_add_u64 v[2:3], v[2:3], 2, v[6:7]
	v_lshlrev_b32_e32 v14, 2, v8
	v_lshl_add_u64 v[6:7], s[22:23], 0, v[2:3]
	s_lshl_b64 s[14:15], s[14:15], 5
	v_mov_b32_e32 v0, v1
	v_mov_b32_e32 v2, v1
	v_mov_b32_e32 v3, v1
	s_branch .LBB320_6
.LBB320_5:                              ;   in Loop: Header=BB320_6 Depth=1
	s_or_b64 exec, exec, s[6:7]
	s_waitcnt vmcnt(0) lgkmcnt(0)
	ds_write_b32 v13, v16
	s_waitcnt lgkmcnt(0)
	s_barrier
	ds_read_b128 v[16:19], v15
	ds_read_b128 v[20:23], v15 offset:16
	ds_read2_b32 v[32:33], v14 offset1:16
	ds_read2_b32 v[34:35], v14 offset0:32 offset1:48
	ds_read2_b32 v[36:37], v14 offset0:64 offset1:80
	;; [unrolled: 1-line block ×4, first 2 shown]
	ds_read_b128 v[24:27], v15 offset:512
	ds_read_b128 v[28:31], v15 offset:528
	ds_read2_b32 v[42:43], v14 offset0:160 offset1:176
	ds_read2_b32 v[44:45], v14 offset0:192 offset1:208
	;; [unrolled: 1-line block ×3, first 2 shown]
	s_waitcnt lgkmcnt(9)
	v_pk_fma_f32 v[2:3], v[32:33], v[16:17], v[2:3] op_sel_hi:[1,0,1]
	s_waitcnt lgkmcnt(4)
	v_pk_fma_f32 v[0:1], v[32:33], v[24:25], v[0:1] op_sel_hi:[1,0,1]
	v_pk_fma_f32 v[2:3], v[34:35], v[16:17], v[2:3] op_sel:[0,1,0]
	v_mov_b32_e32 v16, v19
	v_pk_fma_f32 v[2:3], v[36:37], v[18:19], v[2:3] op_sel_hi:[1,0,1]
	v_pk_fma_f32 v[0:1], v[34:35], v[24:25], v[0:1] op_sel:[0,1,0]
	v_pk_fma_f32 v[2:3], v[38:39], v[16:17], v[2:3] op_sel_hi:[1,0,1]
	v_mov_b32_e32 v16, v23
	v_pk_fma_f32 v[2:3], v[40:41], v[20:21], v[2:3] op_sel_hi:[1,0,1]
	v_pk_fma_f32 v[0:1], v[36:37], v[26:27], v[0:1] op_sel_hi:[1,0,1]
	s_waitcnt lgkmcnt(2)
	v_pk_fma_f32 v[2:3], v[42:43], v[20:21], v[2:3] op_sel:[0,1,0]
	s_add_i32 s5, s5, 8
	s_waitcnt lgkmcnt(1)
	v_pk_fma_f32 v[2:3], v[44:45], v[22:23], v[2:3] op_sel_hi:[1,0,1]
	v_lshl_add_u64 v[4:5], v[4:5], 0, 32
	s_waitcnt lgkmcnt(0)
	v_pk_fma_f32 v[2:3], v[46:47], v[16:17], v[2:3] op_sel_hi:[1,0,1]
	v_mov_b32_e32 v16, v27
	v_pk_fma_f32 v[0:1], v[38:39], v[16:17], v[0:1] op_sel_hi:[1,0,1]
	v_mov_b32_e32 v16, v31
	v_pk_fma_f32 v[0:1], v[40:41], v[28:29], v[0:1] op_sel_hi:[1,0,1]
	s_cmp_lt_i32 s5, s9
	v_pk_fma_f32 v[0:1], v[42:43], v[28:29], v[0:1] op_sel:[0,1,0]
	v_lshl_add_u64 v[6:7], v[6:7], 0, s[14:15]
	v_pk_fma_f32 v[0:1], v[44:45], v[30:31], v[0:1] op_sel_hi:[1,0,1]
	s_nop 0
	v_pk_fma_f32 v[0:1], v[46:47], v[16:17], v[0:1] op_sel_hi:[1,0,1]
	s_barrier
	s_cbranch_scc0 .LBB320_10
.LBB320_6:                              ; =>This Inner Loop Header: Depth=1
	v_add_u32_e32 v16, s5, v11
	v_cmp_gt_i32_e64 s[6:7], s9, v16
	s_and_b64 s[18:19], vcc, s[6:7]
	v_mov_b32_e32 v16, 0
	s_and_saveexec_b64 s[6:7], s[18:19]
	s_cbranch_execz .LBB320_8
; %bb.7:                                ;   in Loop: Header=BB320_6 Depth=1
	flat_load_dword v16, v[4:5]
.LBB320_8:                              ;   in Loop: Header=BB320_6 Depth=1
	s_or_b64 exec, exec, s[6:7]
	s_waitcnt vmcnt(0) lgkmcnt(0)
	ds_write_b32 v12, v16
	v_add_u32_e32 v16, s5, v10
	v_cmp_gt_i32_e64 s[6:7], s9, v16
	s_and_b64 s[18:19], s[6:7], s[2:3]
	v_mov_b32_e32 v16, 0
	s_and_saveexec_b64 s[6:7], s[18:19]
	s_cbranch_execz .LBB320_5
; %bb.9:                                ;   in Loop: Header=BB320_6 Depth=1
	flat_load_dword v16, v[6:7]
	s_branch .LBB320_5
.LBB320_10:
	s_load_dwordx2 s[2:3], s[0:1], 0x58
	s_load_dword s14, s[0:1], 0x50
	v_add_u32_e32 v10, s11, v9
	v_add_u32_e32 v4, s4, v8
	v_cmp_le_i32_e32 vcc, v10, v4
	s_waitcnt lgkmcnt(0)
	s_lshl_b64 s[0:1], s[2:3], 2
	s_add_u32 s6, s12, s0
	s_addc_u32 s7, s13, s1
	v_mad_i64_i32 v[6:7], s[0:1], v10, s14, 0
	v_cmp_neq_f32_e64 s[0:1], s16, 0
	v_lshl_add_u64 v[8:9], v[6:7], 2, s[6:7]
	v_cmp_gt_i32_e64 s[2:3], s8, v4
	v_cndmask_b32_e64 v6, 0, 1, s[0:1]
	s_and_b64 s[12:13], vcc, s[2:3]
	v_ashrrev_i32_e32 v5, 31, v4
	v_cmp_ne_u32_e64 s[0:1], 1, v6
	s_and_saveexec_b64 s[4:5], s[12:13]
	s_cbranch_execz .LBB320_14
; %bb.11:
	v_mul_f32_e32 v2, s10, v2
	s_and_b64 vcc, exec, s[0:1]
	v_lshl_add_u64 v[6:7], v[4:5], 2, v[8:9]
	s_cbranch_vccnz .LBB320_13
; %bb.12:
	flat_load_dword v11, v[6:7]
	s_waitcnt vmcnt(0) lgkmcnt(0)
	v_fmac_f32_e32 v2, s16, v11
.LBB320_13:
	flat_store_dword v[6:7], v2
.LBB320_14:
	s_or_b64 exec, exec, s[4:5]
	v_add_u32_e32 v6, 16, v4
	v_cmp_le_i32_e32 vcc, v10, v6
	v_cmp_gt_i32_e64 s[4:5], s8, v6
	s_and_b64 s[12:13], vcc, s[4:5]
	v_ashrrev_i32_e32 v7, 31, v6
	s_and_saveexec_b64 s[8:9], s[12:13]
	s_cbranch_execz .LBB320_18
; %bb.15:
	v_mul_f32_e32 v11, s10, v3
	s_and_b64 vcc, exec, s[0:1]
	v_lshl_add_u64 v[2:3], v[6:7], 2, v[8:9]
	s_cbranch_vccnz .LBB320_17
; %bb.16:
	flat_load_dword v8, v[2:3]
	s_waitcnt vmcnt(0) lgkmcnt(0)
	v_fmac_f32_e32 v11, s16, v8
.LBB320_17:
	flat_store_dword v[2:3], v11
.LBB320_18:
	s_or_b64 exec, exec, s[8:9]
	v_add_u32_e32 v8, 16, v10
	v_mad_i64_i32 v[2:3], s[8:9], v8, s14, 0
	v_cmp_le_i32_e32 vcc, v8, v4
	v_lshl_add_u64 v[2:3], v[2:3], 2, s[6:7]
	s_and_b64 s[6:7], vcc, s[2:3]
	s_and_saveexec_b64 s[2:3], s[6:7]
	s_cbranch_execz .LBB320_22
; %bb.19:
	v_mul_f32_e32 v0, s10, v0
	s_and_b64 vcc, exec, s[0:1]
	v_lshl_add_u64 v[4:5], v[4:5], 2, v[2:3]
	s_cbranch_vccnz .LBB320_21
; %bb.20:
	flat_load_dword v9, v[4:5]
	s_waitcnt vmcnt(0) lgkmcnt(0)
	v_fmac_f32_e32 v0, s16, v9
.LBB320_21:
	flat_store_dword v[4:5], v0
.LBB320_22:
	s_or_b64 exec, exec, s[2:3]
	v_cmp_le_i32_e32 vcc, v8, v6
	s_and_b64 s[2:3], vcc, s[4:5]
	s_and_saveexec_b64 s[4:5], s[2:3]
	s_cbranch_execz .LBB320_26
; %bb.23:
	v_mul_f32_e32 v4, s10, v1
	s_and_b64 vcc, exec, s[0:1]
	v_lshl_add_u64 v[0:1], v[6:7], 2, v[2:3]
	s_cbranch_vccnz .LBB320_25
; %bb.24:
	flat_load_dword v2, v[0:1]
	s_waitcnt vmcnt(0) lgkmcnt(0)
	v_fmac_f32_e32 v4, s16, v2
.LBB320_25:
	flat_store_dword v[0:1], v4
.LBB320_26:
	s_endpgm
	.section	.rodata,"a",@progbits
	.p2align	6, 0x0
	.amdhsa_kernel _ZL29rocblas_internal_gemmt_kernelIiLi16ELi32ELi8ELc84ELc67ELc76ELb0ELb0EffPKPKfPKPfEviT_T9_T10_S7_lS9_S7_lS8_T11_S7_li
		.amdhsa_group_segment_fixed_size 2048
		.amdhsa_private_segment_fixed_size 0
		.amdhsa_kernarg_size 100
		.amdhsa_user_sgpr_count 2
		.amdhsa_user_sgpr_dispatch_ptr 0
		.amdhsa_user_sgpr_queue_ptr 0
		.amdhsa_user_sgpr_kernarg_segment_ptr 1
		.amdhsa_user_sgpr_dispatch_id 0
		.amdhsa_user_sgpr_kernarg_preload_length 0
		.amdhsa_user_sgpr_kernarg_preload_offset 0
		.amdhsa_user_sgpr_private_segment_size 0
		.amdhsa_uses_dynamic_stack 0
		.amdhsa_enable_private_segment 0
		.amdhsa_system_sgpr_workgroup_id_x 1
		.amdhsa_system_sgpr_workgroup_id_y 1
		.amdhsa_system_sgpr_workgroup_id_z 1
		.amdhsa_system_sgpr_workgroup_info 0
		.amdhsa_system_vgpr_workitem_id 1
		.amdhsa_next_free_vgpr 48
		.amdhsa_next_free_sgpr 26
		.amdhsa_accum_offset 48
		.amdhsa_reserve_vcc 1
		.amdhsa_float_round_mode_32 0
		.amdhsa_float_round_mode_16_64 0
		.amdhsa_float_denorm_mode_32 3
		.amdhsa_float_denorm_mode_16_64 3
		.amdhsa_dx10_clamp 1
		.amdhsa_ieee_mode 1
		.amdhsa_fp16_overflow 0
		.amdhsa_tg_split 0
		.amdhsa_exception_fp_ieee_invalid_op 0
		.amdhsa_exception_fp_denorm_src 0
		.amdhsa_exception_fp_ieee_div_zero 0
		.amdhsa_exception_fp_ieee_overflow 0
		.amdhsa_exception_fp_ieee_underflow 0
		.amdhsa_exception_fp_ieee_inexact 0
		.amdhsa_exception_int_div_zero 0
	.end_amdhsa_kernel
	.section	.text._ZL29rocblas_internal_gemmt_kernelIiLi16ELi32ELi8ELc84ELc67ELc76ELb0ELb0EffPKPKfPKPfEviT_T9_T10_S7_lS9_S7_lS8_T11_S7_li,"axG",@progbits,_ZL29rocblas_internal_gemmt_kernelIiLi16ELi32ELi8ELc84ELc67ELc76ELb0ELb0EffPKPKfPKPfEviT_T9_T10_S7_lS9_S7_lS8_T11_S7_li,comdat
.Lfunc_end320:
	.size	_ZL29rocblas_internal_gemmt_kernelIiLi16ELi32ELi8ELc84ELc67ELc76ELb0ELb0EffPKPKfPKPfEviT_T9_T10_S7_lS9_S7_lS8_T11_S7_li, .Lfunc_end320-_ZL29rocblas_internal_gemmt_kernelIiLi16ELi32ELi8ELc84ELc67ELc76ELb0ELb0EffPKPKfPKPfEviT_T9_T10_S7_lS9_S7_lS8_T11_S7_li
                                        ; -- End function
	.set _ZL29rocblas_internal_gemmt_kernelIiLi16ELi32ELi8ELc84ELc67ELc76ELb0ELb0EffPKPKfPKPfEviT_T9_T10_S7_lS9_S7_lS8_T11_S7_li.num_vgpr, 48
	.set _ZL29rocblas_internal_gemmt_kernelIiLi16ELi32ELi8ELc84ELc67ELc76ELb0ELb0EffPKPKfPKPfEviT_T9_T10_S7_lS9_S7_lS8_T11_S7_li.num_agpr, 0
	.set _ZL29rocblas_internal_gemmt_kernelIiLi16ELi32ELi8ELc84ELc67ELc76ELb0ELb0EffPKPKfPKPfEviT_T9_T10_S7_lS9_S7_lS8_T11_S7_li.numbered_sgpr, 26
	.set _ZL29rocblas_internal_gemmt_kernelIiLi16ELi32ELi8ELc84ELc67ELc76ELb0ELb0EffPKPKfPKPfEviT_T9_T10_S7_lS9_S7_lS8_T11_S7_li.num_named_barrier, 0
	.set _ZL29rocblas_internal_gemmt_kernelIiLi16ELi32ELi8ELc84ELc67ELc76ELb0ELb0EffPKPKfPKPfEviT_T9_T10_S7_lS9_S7_lS8_T11_S7_li.private_seg_size, 0
	.set _ZL29rocblas_internal_gemmt_kernelIiLi16ELi32ELi8ELc84ELc67ELc76ELb0ELb0EffPKPKfPKPfEviT_T9_T10_S7_lS9_S7_lS8_T11_S7_li.uses_vcc, 1
	.set _ZL29rocblas_internal_gemmt_kernelIiLi16ELi32ELi8ELc84ELc67ELc76ELb0ELb0EffPKPKfPKPfEviT_T9_T10_S7_lS9_S7_lS8_T11_S7_li.uses_flat_scratch, 0
	.set _ZL29rocblas_internal_gemmt_kernelIiLi16ELi32ELi8ELc84ELc67ELc76ELb0ELb0EffPKPKfPKPfEviT_T9_T10_S7_lS9_S7_lS8_T11_S7_li.has_dyn_sized_stack, 0
	.set _ZL29rocblas_internal_gemmt_kernelIiLi16ELi32ELi8ELc84ELc67ELc76ELb0ELb0EffPKPKfPKPfEviT_T9_T10_S7_lS9_S7_lS8_T11_S7_li.has_recursion, 0
	.set _ZL29rocblas_internal_gemmt_kernelIiLi16ELi32ELi8ELc84ELc67ELc76ELb0ELb0EffPKPKfPKPfEviT_T9_T10_S7_lS9_S7_lS8_T11_S7_li.has_indirect_call, 0
	.section	.AMDGPU.csdata,"",@progbits
; Kernel info:
; codeLenInByte = 1252
; TotalNumSgprs: 32
; NumVgprs: 48
; NumAgprs: 0
; TotalNumVgprs: 48
; ScratchSize: 0
; MemoryBound: 0
; FloatMode: 240
; IeeeMode: 1
; LDSByteSize: 2048 bytes/workgroup (compile time only)
; SGPRBlocks: 3
; VGPRBlocks: 5
; NumSGPRsForWavesPerEU: 32
; NumVGPRsForWavesPerEU: 48
; AccumOffset: 48
; Occupancy: 8
; WaveLimiterHint : 1
; COMPUTE_PGM_RSRC2:SCRATCH_EN: 0
; COMPUTE_PGM_RSRC2:USER_SGPR: 2
; COMPUTE_PGM_RSRC2:TRAP_HANDLER: 0
; COMPUTE_PGM_RSRC2:TGID_X_EN: 1
; COMPUTE_PGM_RSRC2:TGID_Y_EN: 1
; COMPUTE_PGM_RSRC2:TGID_Z_EN: 1
; COMPUTE_PGM_RSRC2:TIDIG_COMP_CNT: 1
; COMPUTE_PGM_RSRC3_GFX90A:ACCUM_OFFSET: 11
; COMPUTE_PGM_RSRC3_GFX90A:TG_SPLIT: 0
	.section	.text._ZL29rocblas_internal_gemmt_kernelIiLi16ELi32ELi8ELc67ELc78ELc76ELb0ELb0EffPKPKfPKPfEviT_T9_T10_S7_lS9_S7_lS8_T11_S7_li,"axG",@progbits,_ZL29rocblas_internal_gemmt_kernelIiLi16ELi32ELi8ELc67ELc78ELc76ELb0ELb0EffPKPKfPKPfEviT_T9_T10_S7_lS9_S7_lS8_T11_S7_li,comdat
	.globl	_ZL29rocblas_internal_gemmt_kernelIiLi16ELi32ELi8ELc67ELc78ELc76ELb0ELb0EffPKPKfPKPfEviT_T9_T10_S7_lS9_S7_lS8_T11_S7_li ; -- Begin function _ZL29rocblas_internal_gemmt_kernelIiLi16ELi32ELi8ELc67ELc78ELc76ELb0ELb0EffPKPKfPKPfEviT_T9_T10_S7_lS9_S7_lS8_T11_S7_li
	.p2align	8
	.type	_ZL29rocblas_internal_gemmt_kernelIiLi16ELi32ELi8ELc67ELc78ELc76ELb0ELb0EffPKPKfPKPfEviT_T9_T10_S7_lS9_S7_lS8_T11_S7_li,@function
_ZL29rocblas_internal_gemmt_kernelIiLi16ELi32ELi8ELc67ELc78ELc76ELb0ELb0EffPKPKfPKPfEviT_T9_T10_S7_lS9_S7_lS8_T11_S7_li: ; @_ZL29rocblas_internal_gemmt_kernelIiLi16ELi32ELi8ELc67ELc78ELc76ELb0ELb0EffPKPKfPKPfEviT_T9_T10_S7_lS9_S7_lS8_T11_S7_li
; %bb.0:
	s_load_dword s14, s[0:1], 0x40
	s_load_dwordx4 s[8:11], s[0:1], 0x0
	s_waitcnt lgkmcnt(0)
	v_cmp_neq_f32_e64 s[6:7], s14, 1.0
	s_and_b64 vcc, exec, s[6:7]
	s_cbranch_vccnz .LBB321_2
; %bb.1:
	s_cmp_lg_u32 s9, 0
	s_cselect_b64 s[6:7], -1, 0
	v_cmp_neq_f32_e64 s[12:13], s10, 0
	s_and_b64 s[6:7], s[6:7], s[12:13]
.LBB321_2:
	s_andn2_b64 vcc, exec, s[6:7]
	s_cbranch_vccnz .LBB321_26
; %bb.3:
	s_load_dwordx2 s[12:13], s[0:1], 0x48
	s_mov_b32 s5, 0
	s_lshl_b64 s[6:7], s[4:5], 3
	v_mov_b32_e32 v3, 0
	v_and_b32_e32 v8, 0x3ff, v0
	s_waitcnt lgkmcnt(0)
	s_add_u32 s12, s12, s6
	s_addc_u32 s13, s13, s7
	s_load_dwordx2 s[12:13], s[12:13], 0x0
	s_lshl_b32 s4, s2, 5
	s_lshl_b32 s11, s3, 5
	s_cmp_lt_i32 s9, 1
	v_cmp_eq_f32_e64 s[2:3], s10, 0
	s_cselect_b64 s[16:17], -1, 0
	s_or_b64 s[2:3], s[2:3], s[16:17]
	v_bfe_u32 v9, v0, 10, 10
	s_and_b64 vcc, exec, s[2:3]
	v_mov_b32_e32 v2, v3
	v_mov_b32_e32 v1, v3
	v_mov_b32_e32 v0, v3
	s_cbranch_vccnz .LBB321_10
; %bb.4:
	s_load_dwordx2 s[2:3], s[0:1], 0x10
	s_load_dword s15, s[0:1], 0x18
	s_load_dwordx4 s[16:19], s[0:1], 0x20
	s_load_dword s24, s[0:1], 0x30
	s_load_dwordx2 s[20:21], s[0:1], 0x38
	v_lshl_add_u32 v0, v9, 4, v8
	v_lshrrev_b32_e32 v11, 5, v0
	v_lshrrev_b32_e32 v1, 3, v0
	v_and_b32_e32 v0, 31, v0
	s_waitcnt lgkmcnt(0)
	s_add_u32 s18, s18, s6
	v_or_b32_e32 v2, s4, v0
	s_addc_u32 s19, s19, s7
	v_and_b32_e32 v10, 7, v8
	s_add_u32 s2, s2, s6
	v_cmp_gt_i32_e32 vcc, s8, v2
	v_lshlrev_b32_e32 v2, 2, v0
	s_addc_u32 s3, s3, s7
	v_lshl_or_b32 v12, v11, 7, v2
	v_lshlrev_b32_e32 v2, 2, v10
	v_add_u32_e32 v3, s11, v1
	s_load_dwordx2 s[6:7], s[2:3], 0x0
	v_lshl_or_b32 v1, v1, 5, v2
	v_add_u32_e32 v13, 0x400, v1
	v_mov_b32_e32 v1, 0x400
	v_add_u32_e32 v0, s4, v0
	v_lshl_add_u32 v15, v9, 5, v1
	v_mad_i64_i32 v[0:1], s[22:23], s15, v0, 0
	s_lshl_b64 s[16:17], s[16:17], 2
	v_lshl_add_u64 v[4:5], v[0:1], 2, s[16:17]
	v_lshlrev_b32_e32 v0, 2, v11
	v_mov_b32_e32 v1, 0
	s_load_dwordx2 s[18:19], s[18:19], 0x0
	v_lshl_add_u64 v[4:5], v[4:5], 0, v[0:1]
	s_waitcnt lgkmcnt(0)
	v_lshl_add_u64 v[4:5], s[6:7], 0, v[4:5]
	v_mad_i64_i32 v[6:7], s[6:7], s24, v3, 0
	s_lshl_b64 s[6:7], s[20:21], 2
	v_cmp_gt_i32_e64 s[2:3], s8, v3
	v_lshl_add_u64 v[6:7], v[6:7], 2, s[6:7]
	v_mov_b32_e32 v3, v1
	v_lshl_add_u64 v[2:3], v[6:7], 0, v[2:3]
	v_lshlrev_b32_e32 v14, 2, v8
	v_lshl_add_u64 v[6:7], s[18:19], 0, v[2:3]
	v_mov_b32_e32 v0, v1
	v_mov_b32_e32 v2, v1
	;; [unrolled: 1-line block ×3, first 2 shown]
	s_branch .LBB321_6
.LBB321_5:                              ;   in Loop: Header=BB321_6 Depth=1
	s_or_b64 exec, exec, s[6:7]
	s_waitcnt vmcnt(0) lgkmcnt(0)
	ds_write_b32 v13, v16
	s_waitcnt lgkmcnt(0)
	s_barrier
	ds_read_b128 v[16:19], v15
	ds_read_b128 v[20:23], v15 offset:16
	ds_read2_b32 v[32:33], v14 offset1:16
	ds_read2_b32 v[34:35], v14 offset0:32 offset1:48
	ds_read2_b32 v[36:37], v14 offset0:64 offset1:80
	;; [unrolled: 1-line block ×4, first 2 shown]
	ds_read_b128 v[24:27], v15 offset:512
	ds_read_b128 v[28:31], v15 offset:528
	ds_read2_b32 v[42:43], v14 offset0:160 offset1:176
	ds_read2_b32 v[44:45], v14 offset0:192 offset1:208
	;; [unrolled: 1-line block ×3, first 2 shown]
	s_waitcnt lgkmcnt(9)
	v_pk_fma_f32 v[2:3], v[32:33], v[16:17], v[2:3] op_sel_hi:[1,0,1]
	s_waitcnt lgkmcnt(4)
	v_pk_fma_f32 v[0:1], v[32:33], v[24:25], v[0:1] op_sel_hi:[1,0,1]
	v_pk_fma_f32 v[2:3], v[34:35], v[16:17], v[2:3] op_sel:[0,1,0]
	v_mov_b32_e32 v16, v19
	v_pk_fma_f32 v[2:3], v[36:37], v[18:19], v[2:3] op_sel_hi:[1,0,1]
	v_pk_fma_f32 v[0:1], v[34:35], v[24:25], v[0:1] op_sel:[0,1,0]
	v_pk_fma_f32 v[2:3], v[38:39], v[16:17], v[2:3] op_sel_hi:[1,0,1]
	v_mov_b32_e32 v16, v23
	v_pk_fma_f32 v[2:3], v[40:41], v[20:21], v[2:3] op_sel_hi:[1,0,1]
	v_pk_fma_f32 v[0:1], v[36:37], v[26:27], v[0:1] op_sel_hi:[1,0,1]
	s_waitcnt lgkmcnt(2)
	v_pk_fma_f32 v[2:3], v[42:43], v[20:21], v[2:3] op_sel:[0,1,0]
	s_add_i32 s5, s5, 8
	s_waitcnt lgkmcnt(1)
	v_pk_fma_f32 v[2:3], v[44:45], v[22:23], v[2:3] op_sel_hi:[1,0,1]
	v_lshl_add_u64 v[4:5], v[4:5], 0, 32
	s_waitcnt lgkmcnt(0)
	v_pk_fma_f32 v[2:3], v[46:47], v[16:17], v[2:3] op_sel_hi:[1,0,1]
	v_mov_b32_e32 v16, v27
	v_pk_fma_f32 v[0:1], v[38:39], v[16:17], v[0:1] op_sel_hi:[1,0,1]
	v_mov_b32_e32 v16, v31
	v_pk_fma_f32 v[0:1], v[40:41], v[28:29], v[0:1] op_sel_hi:[1,0,1]
	s_cmp_lt_i32 s5, s9
	v_pk_fma_f32 v[0:1], v[42:43], v[28:29], v[0:1] op_sel:[0,1,0]
	v_lshl_add_u64 v[6:7], v[6:7], 0, 32
	v_pk_fma_f32 v[0:1], v[44:45], v[30:31], v[0:1] op_sel_hi:[1,0,1]
	s_nop 0
	v_pk_fma_f32 v[0:1], v[46:47], v[16:17], v[0:1] op_sel_hi:[1,0,1]
	s_barrier
	s_cbranch_scc0 .LBB321_10
.LBB321_6:                              ; =>This Inner Loop Header: Depth=1
	v_add_u32_e32 v16, s5, v11
	v_cmp_gt_i32_e64 s[6:7], s9, v16
	s_and_b64 s[16:17], vcc, s[6:7]
	v_mov_b32_e32 v16, 0
	s_and_saveexec_b64 s[6:7], s[16:17]
	s_cbranch_execz .LBB321_8
; %bb.7:                                ;   in Loop: Header=BB321_6 Depth=1
	flat_load_dword v16, v[4:5]
.LBB321_8:                              ;   in Loop: Header=BB321_6 Depth=1
	s_or_b64 exec, exec, s[6:7]
	s_waitcnt vmcnt(0) lgkmcnt(0)
	ds_write_b32 v12, v16
	v_add_u32_e32 v16, s5, v10
	v_cmp_gt_i32_e64 s[6:7], s9, v16
	s_and_b64 s[16:17], s[6:7], s[2:3]
	v_mov_b32_e32 v16, 0
	s_and_saveexec_b64 s[6:7], s[16:17]
	s_cbranch_execz .LBB321_5
; %bb.9:                                ;   in Loop: Header=BB321_6 Depth=1
	flat_load_dword v16, v[6:7]
	s_branch .LBB321_5
.LBB321_10:
	s_load_dwordx2 s[2:3], s[0:1], 0x58
	s_load_dword s15, s[0:1], 0x50
	v_add_u32_e32 v10, s11, v9
	v_add_u32_e32 v4, s4, v8
	v_cmp_le_i32_e32 vcc, v10, v4
	s_waitcnt lgkmcnt(0)
	s_lshl_b64 s[0:1], s[2:3], 2
	s_add_u32 s6, s12, s0
	s_addc_u32 s7, s13, s1
	v_mad_i64_i32 v[6:7], s[0:1], v10, s15, 0
	v_cmp_neq_f32_e64 s[0:1], s14, 0
	v_lshl_add_u64 v[8:9], v[6:7], 2, s[6:7]
	v_cmp_gt_i32_e64 s[2:3], s8, v4
	v_cndmask_b32_e64 v6, 0, 1, s[0:1]
	s_and_b64 s[12:13], vcc, s[2:3]
	v_ashrrev_i32_e32 v5, 31, v4
	v_cmp_ne_u32_e64 s[0:1], 1, v6
	s_and_saveexec_b64 s[4:5], s[12:13]
	s_cbranch_execz .LBB321_14
; %bb.11:
	v_mul_f32_e32 v2, s10, v2
	s_and_b64 vcc, exec, s[0:1]
	v_lshl_add_u64 v[6:7], v[4:5], 2, v[8:9]
	s_cbranch_vccnz .LBB321_13
; %bb.12:
	flat_load_dword v11, v[6:7]
	s_waitcnt vmcnt(0) lgkmcnt(0)
	v_fmac_f32_e32 v2, s14, v11
.LBB321_13:
	flat_store_dword v[6:7], v2
.LBB321_14:
	s_or_b64 exec, exec, s[4:5]
	v_add_u32_e32 v6, 16, v4
	v_cmp_le_i32_e32 vcc, v10, v6
	v_cmp_gt_i32_e64 s[4:5], s8, v6
	s_and_b64 s[12:13], vcc, s[4:5]
	v_ashrrev_i32_e32 v7, 31, v6
	s_and_saveexec_b64 s[8:9], s[12:13]
	s_cbranch_execz .LBB321_18
; %bb.15:
	v_mul_f32_e32 v11, s10, v3
	s_and_b64 vcc, exec, s[0:1]
	v_lshl_add_u64 v[2:3], v[6:7], 2, v[8:9]
	s_cbranch_vccnz .LBB321_17
; %bb.16:
	flat_load_dword v8, v[2:3]
	s_waitcnt vmcnt(0) lgkmcnt(0)
	v_fmac_f32_e32 v11, s14, v8
.LBB321_17:
	flat_store_dword v[2:3], v11
.LBB321_18:
	s_or_b64 exec, exec, s[8:9]
	v_add_u32_e32 v8, 16, v10
	v_mad_i64_i32 v[2:3], s[8:9], v8, s15, 0
	v_cmp_le_i32_e32 vcc, v8, v4
	v_lshl_add_u64 v[2:3], v[2:3], 2, s[6:7]
	s_and_b64 s[6:7], vcc, s[2:3]
	s_and_saveexec_b64 s[2:3], s[6:7]
	s_cbranch_execz .LBB321_22
; %bb.19:
	v_mul_f32_e32 v0, s10, v0
	s_and_b64 vcc, exec, s[0:1]
	v_lshl_add_u64 v[4:5], v[4:5], 2, v[2:3]
	s_cbranch_vccnz .LBB321_21
; %bb.20:
	flat_load_dword v9, v[4:5]
	s_waitcnt vmcnt(0) lgkmcnt(0)
	v_fmac_f32_e32 v0, s14, v9
.LBB321_21:
	flat_store_dword v[4:5], v0
.LBB321_22:
	s_or_b64 exec, exec, s[2:3]
	v_cmp_le_i32_e32 vcc, v8, v6
	s_and_b64 s[2:3], vcc, s[4:5]
	s_and_saveexec_b64 s[4:5], s[2:3]
	s_cbranch_execz .LBB321_26
; %bb.23:
	v_mul_f32_e32 v4, s10, v1
	s_and_b64 vcc, exec, s[0:1]
	v_lshl_add_u64 v[0:1], v[6:7], 2, v[2:3]
	s_cbranch_vccnz .LBB321_25
; %bb.24:
	flat_load_dword v2, v[0:1]
	s_waitcnt vmcnt(0) lgkmcnt(0)
	v_fmac_f32_e32 v4, s14, v2
.LBB321_25:
	flat_store_dword v[0:1], v4
.LBB321_26:
	s_endpgm
	.section	.rodata,"a",@progbits
	.p2align	6, 0x0
	.amdhsa_kernel _ZL29rocblas_internal_gemmt_kernelIiLi16ELi32ELi8ELc67ELc78ELc76ELb0ELb0EffPKPKfPKPfEviT_T9_T10_S7_lS9_S7_lS8_T11_S7_li
		.amdhsa_group_segment_fixed_size 2048
		.amdhsa_private_segment_fixed_size 0
		.amdhsa_kernarg_size 100
		.amdhsa_user_sgpr_count 2
		.amdhsa_user_sgpr_dispatch_ptr 0
		.amdhsa_user_sgpr_queue_ptr 0
		.amdhsa_user_sgpr_kernarg_segment_ptr 1
		.amdhsa_user_sgpr_dispatch_id 0
		.amdhsa_user_sgpr_kernarg_preload_length 0
		.amdhsa_user_sgpr_kernarg_preload_offset 0
		.amdhsa_user_sgpr_private_segment_size 0
		.amdhsa_uses_dynamic_stack 0
		.amdhsa_enable_private_segment 0
		.amdhsa_system_sgpr_workgroup_id_x 1
		.amdhsa_system_sgpr_workgroup_id_y 1
		.amdhsa_system_sgpr_workgroup_id_z 1
		.amdhsa_system_sgpr_workgroup_info 0
		.amdhsa_system_vgpr_workitem_id 1
		.amdhsa_next_free_vgpr 48
		.amdhsa_next_free_sgpr 25
		.amdhsa_accum_offset 48
		.amdhsa_reserve_vcc 1
		.amdhsa_float_round_mode_32 0
		.amdhsa_float_round_mode_16_64 0
		.amdhsa_float_denorm_mode_32 3
		.amdhsa_float_denorm_mode_16_64 3
		.amdhsa_dx10_clamp 1
		.amdhsa_ieee_mode 1
		.amdhsa_fp16_overflow 0
		.amdhsa_tg_split 0
		.amdhsa_exception_fp_ieee_invalid_op 0
		.amdhsa_exception_fp_denorm_src 0
		.amdhsa_exception_fp_ieee_div_zero 0
		.amdhsa_exception_fp_ieee_overflow 0
		.amdhsa_exception_fp_ieee_underflow 0
		.amdhsa_exception_fp_ieee_inexact 0
		.amdhsa_exception_int_div_zero 0
	.end_amdhsa_kernel
	.section	.text._ZL29rocblas_internal_gemmt_kernelIiLi16ELi32ELi8ELc67ELc78ELc76ELb0ELb0EffPKPKfPKPfEviT_T9_T10_S7_lS9_S7_lS8_T11_S7_li,"axG",@progbits,_ZL29rocblas_internal_gemmt_kernelIiLi16ELi32ELi8ELc67ELc78ELc76ELb0ELb0EffPKPKfPKPfEviT_T9_T10_S7_lS9_S7_lS8_T11_S7_li,comdat
.Lfunc_end321:
	.size	_ZL29rocblas_internal_gemmt_kernelIiLi16ELi32ELi8ELc67ELc78ELc76ELb0ELb0EffPKPKfPKPfEviT_T9_T10_S7_lS9_S7_lS8_T11_S7_li, .Lfunc_end321-_ZL29rocblas_internal_gemmt_kernelIiLi16ELi32ELi8ELc67ELc78ELc76ELb0ELb0EffPKPKfPKPfEviT_T9_T10_S7_lS9_S7_lS8_T11_S7_li
                                        ; -- End function
	.set _ZL29rocblas_internal_gemmt_kernelIiLi16ELi32ELi8ELc67ELc78ELc76ELb0ELb0EffPKPKfPKPfEviT_T9_T10_S7_lS9_S7_lS8_T11_S7_li.num_vgpr, 48
	.set _ZL29rocblas_internal_gemmt_kernelIiLi16ELi32ELi8ELc67ELc78ELc76ELb0ELb0EffPKPKfPKPfEviT_T9_T10_S7_lS9_S7_lS8_T11_S7_li.num_agpr, 0
	.set _ZL29rocblas_internal_gemmt_kernelIiLi16ELi32ELi8ELc67ELc78ELc76ELb0ELb0EffPKPKfPKPfEviT_T9_T10_S7_lS9_S7_lS8_T11_S7_li.numbered_sgpr, 25
	.set _ZL29rocblas_internal_gemmt_kernelIiLi16ELi32ELi8ELc67ELc78ELc76ELb0ELb0EffPKPKfPKPfEviT_T9_T10_S7_lS9_S7_lS8_T11_S7_li.num_named_barrier, 0
	.set _ZL29rocblas_internal_gemmt_kernelIiLi16ELi32ELi8ELc67ELc78ELc76ELb0ELb0EffPKPKfPKPfEviT_T9_T10_S7_lS9_S7_lS8_T11_S7_li.private_seg_size, 0
	.set _ZL29rocblas_internal_gemmt_kernelIiLi16ELi32ELi8ELc67ELc78ELc76ELb0ELb0EffPKPKfPKPfEviT_T9_T10_S7_lS9_S7_lS8_T11_S7_li.uses_vcc, 1
	.set _ZL29rocblas_internal_gemmt_kernelIiLi16ELi32ELi8ELc67ELc78ELc76ELb0ELb0EffPKPKfPKPfEviT_T9_T10_S7_lS9_S7_lS8_T11_S7_li.uses_flat_scratch, 0
	.set _ZL29rocblas_internal_gemmt_kernelIiLi16ELi32ELi8ELc67ELc78ELc76ELb0ELb0EffPKPKfPKPfEviT_T9_T10_S7_lS9_S7_lS8_T11_S7_li.has_dyn_sized_stack, 0
	.set _ZL29rocblas_internal_gemmt_kernelIiLi16ELi32ELi8ELc67ELc78ELc76ELb0ELb0EffPKPKfPKPfEviT_T9_T10_S7_lS9_S7_lS8_T11_S7_li.has_recursion, 0
	.set _ZL29rocblas_internal_gemmt_kernelIiLi16ELi32ELi8ELc67ELc78ELc76ELb0ELb0EffPKPKfPKPfEviT_T9_T10_S7_lS9_S7_lS8_T11_S7_li.has_indirect_call, 0
	.section	.AMDGPU.csdata,"",@progbits
; Kernel info:
; codeLenInByte = 1244
; TotalNumSgprs: 31
; NumVgprs: 48
; NumAgprs: 0
; TotalNumVgprs: 48
; ScratchSize: 0
; MemoryBound: 0
; FloatMode: 240
; IeeeMode: 1
; LDSByteSize: 2048 bytes/workgroup (compile time only)
; SGPRBlocks: 3
; VGPRBlocks: 5
; NumSGPRsForWavesPerEU: 31
; NumVGPRsForWavesPerEU: 48
; AccumOffset: 48
; Occupancy: 8
; WaveLimiterHint : 1
; COMPUTE_PGM_RSRC2:SCRATCH_EN: 0
; COMPUTE_PGM_RSRC2:USER_SGPR: 2
; COMPUTE_PGM_RSRC2:TRAP_HANDLER: 0
; COMPUTE_PGM_RSRC2:TGID_X_EN: 1
; COMPUTE_PGM_RSRC2:TGID_Y_EN: 1
; COMPUTE_PGM_RSRC2:TGID_Z_EN: 1
; COMPUTE_PGM_RSRC2:TIDIG_COMP_CNT: 1
; COMPUTE_PGM_RSRC3_GFX90A:ACCUM_OFFSET: 11
; COMPUTE_PGM_RSRC3_GFX90A:TG_SPLIT: 0
	.section	.text._ZL29rocblas_internal_gemmt_kernelIiLi16ELi32ELi8ELc67ELc84ELc76ELb0ELb0EffPKPKfPKPfEviT_T9_T10_S7_lS9_S7_lS8_T11_S7_li,"axG",@progbits,_ZL29rocblas_internal_gemmt_kernelIiLi16ELi32ELi8ELc67ELc84ELc76ELb0ELb0EffPKPKfPKPfEviT_T9_T10_S7_lS9_S7_lS8_T11_S7_li,comdat
	.globl	_ZL29rocblas_internal_gemmt_kernelIiLi16ELi32ELi8ELc67ELc84ELc76ELb0ELb0EffPKPKfPKPfEviT_T9_T10_S7_lS9_S7_lS8_T11_S7_li ; -- Begin function _ZL29rocblas_internal_gemmt_kernelIiLi16ELi32ELi8ELc67ELc84ELc76ELb0ELb0EffPKPKfPKPfEviT_T9_T10_S7_lS9_S7_lS8_T11_S7_li
	.p2align	8
	.type	_ZL29rocblas_internal_gemmt_kernelIiLi16ELi32ELi8ELc67ELc84ELc76ELb0ELb0EffPKPKfPKPfEviT_T9_T10_S7_lS9_S7_lS8_T11_S7_li,@function
_ZL29rocblas_internal_gemmt_kernelIiLi16ELi32ELi8ELc67ELc84ELc76ELb0ELb0EffPKPKfPKPfEviT_T9_T10_S7_lS9_S7_lS8_T11_S7_li: ; @_ZL29rocblas_internal_gemmt_kernelIiLi16ELi32ELi8ELc67ELc84ELc76ELb0ELb0EffPKPKfPKPfEviT_T9_T10_S7_lS9_S7_lS8_T11_S7_li
; %bb.0:
	s_load_dword s16, s[0:1], 0x40
	s_load_dwordx4 s[8:11], s[0:1], 0x0
	s_waitcnt lgkmcnt(0)
	v_cmp_neq_f32_e64 s[6:7], s16, 1.0
	s_and_b64 vcc, exec, s[6:7]
	s_cbranch_vccnz .LBB322_2
; %bb.1:
	s_cmp_lg_u32 s9, 0
	s_cselect_b64 s[6:7], -1, 0
	v_cmp_neq_f32_e64 s[12:13], s10, 0
	s_and_b64 s[6:7], s[6:7], s[12:13]
.LBB322_2:
	s_andn2_b64 vcc, exec, s[6:7]
	s_cbranch_vccnz .LBB322_26
; %bb.3:
	s_load_dwordx2 s[12:13], s[0:1], 0x48
	s_mov_b32 s5, 0
	s_lshl_b64 s[6:7], s[4:5], 3
	v_mov_b32_e32 v3, 0
	v_and_b32_e32 v8, 0x3ff, v0
	s_waitcnt lgkmcnt(0)
	s_add_u32 s12, s12, s6
	s_addc_u32 s13, s13, s7
	s_load_dwordx2 s[12:13], s[12:13], 0x0
	s_lshl_b32 s4, s2, 5
	s_lshl_b32 s11, s3, 5
	s_cmp_lt_i32 s9, 1
	v_cmp_eq_f32_e64 s[2:3], s10, 0
	s_cselect_b64 s[14:15], -1, 0
	s_or_b64 s[2:3], s[2:3], s[14:15]
	v_bfe_u32 v9, v0, 10, 10
	s_and_b64 vcc, exec, s[2:3]
	v_mov_b32_e32 v2, v3
	v_mov_b32_e32 v1, v3
	;; [unrolled: 1-line block ×3, first 2 shown]
	s_cbranch_vccnz .LBB322_10
; %bb.4:
	s_load_dwordx4 s[20:23], s[0:1], 0x20
	s_load_dword s14, s[0:1], 0x30
	v_lshl_add_u32 v0, v9, 4, v8
	s_load_dwordx2 s[2:3], s[0:1], 0x10
	s_load_dword s17, s[0:1], 0x18
	s_load_dwordx2 s[18:19], s[0:1], 0x38
	v_lshrrev_b32_e32 v11, 5, v0
	v_lshrrev_b32_e32 v1, 3, v0
	s_waitcnt lgkmcnt(0)
	s_ashr_i32 s15, s14, 31
	v_and_b32_e32 v0, 31, v0
	s_add_u32 s22, s22, s6
	v_or_b32_e32 v3, s4, v0
	s_addc_u32 s23, s23, s7
	v_and_b32_e32 v10, 7, v8
	s_add_u32 s2, s2, s6
	v_cmp_gt_i32_e32 vcc, s8, v3
	v_lshlrev_b32_e32 v3, 2, v0
	s_addc_u32 s3, s3, s7
	v_lshl_or_b32 v12, v11, 7, v3
	v_lshlrev_b32_e32 v3, 2, v10
	v_add_u32_e32 v2, s11, v1
	s_load_dwordx2 s[6:7], s[2:3], 0x0
	v_lshl_or_b32 v1, v1, 5, v3
	v_add_u32_e32 v13, 0x400, v1
	v_mov_b32_e32 v1, 0x400
	v_add_u32_e32 v0, s4, v0
	v_lshl_add_u32 v15, v9, 5, v1
	v_mad_i64_i32 v[0:1], s[24:25], s17, v0, 0
	s_lshl_b64 s[20:21], s[20:21], 2
	v_lshl_add_u64 v[4:5], v[0:1], 2, s[20:21]
	v_lshlrev_b32_e32 v0, 2, v11
	v_mov_b32_e32 v1, 0
	s_load_dwordx2 s[22:23], s[22:23], 0x0
	v_lshl_add_u64 v[4:5], v[4:5], 0, v[0:1]
	s_waitcnt lgkmcnt(0)
	v_lshl_add_u64 v[4:5], s[6:7], 0, v[4:5]
	v_mad_i64_i32 v[6:7], s[6:7], s14, v10, 0
	s_lshl_b64 s[6:7], s[18:19], 2
	v_ashrrev_i32_e32 v3, 31, v2
	v_lshl_add_u64 v[6:7], v[6:7], 2, s[6:7]
	v_cmp_gt_i32_e64 s[2:3], s8, v2
	v_lshl_add_u64 v[2:3], v[2:3], 2, v[6:7]
	v_lshlrev_b32_e32 v14, 2, v8
	v_lshl_add_u64 v[6:7], s[22:23], 0, v[2:3]
	s_lshl_b64 s[14:15], s[14:15], 5
	v_mov_b32_e32 v0, v1
	v_mov_b32_e32 v2, v1
	v_mov_b32_e32 v3, v1
	s_branch .LBB322_6
.LBB322_5:                              ;   in Loop: Header=BB322_6 Depth=1
	s_or_b64 exec, exec, s[6:7]
	s_waitcnt vmcnt(0) lgkmcnt(0)
	ds_write_b32 v13, v16
	s_waitcnt lgkmcnt(0)
	s_barrier
	ds_read_b128 v[16:19], v15
	ds_read_b128 v[20:23], v15 offset:16
	ds_read2_b32 v[32:33], v14 offset1:16
	ds_read2_b32 v[34:35], v14 offset0:32 offset1:48
	ds_read2_b32 v[36:37], v14 offset0:64 offset1:80
	ds_read2_b32 v[38:39], v14 offset0:96 offset1:112
	ds_read2_b32 v[40:41], v14 offset0:128 offset1:144
	ds_read_b128 v[24:27], v15 offset:512
	ds_read_b128 v[28:31], v15 offset:528
	ds_read2_b32 v[42:43], v14 offset0:160 offset1:176
	ds_read2_b32 v[44:45], v14 offset0:192 offset1:208
	;; [unrolled: 1-line block ×3, first 2 shown]
	s_waitcnt lgkmcnt(9)
	v_pk_fma_f32 v[2:3], v[32:33], v[16:17], v[2:3] op_sel_hi:[1,0,1]
	s_waitcnt lgkmcnt(4)
	v_pk_fma_f32 v[0:1], v[32:33], v[24:25], v[0:1] op_sel_hi:[1,0,1]
	v_pk_fma_f32 v[2:3], v[34:35], v[16:17], v[2:3] op_sel:[0,1,0]
	v_mov_b32_e32 v16, v19
	v_pk_fma_f32 v[2:3], v[36:37], v[18:19], v[2:3] op_sel_hi:[1,0,1]
	v_pk_fma_f32 v[0:1], v[34:35], v[24:25], v[0:1] op_sel:[0,1,0]
	v_pk_fma_f32 v[2:3], v[38:39], v[16:17], v[2:3] op_sel_hi:[1,0,1]
	v_mov_b32_e32 v16, v23
	v_pk_fma_f32 v[2:3], v[40:41], v[20:21], v[2:3] op_sel_hi:[1,0,1]
	v_pk_fma_f32 v[0:1], v[36:37], v[26:27], v[0:1] op_sel_hi:[1,0,1]
	s_waitcnt lgkmcnt(2)
	v_pk_fma_f32 v[2:3], v[42:43], v[20:21], v[2:3] op_sel:[0,1,0]
	s_add_i32 s5, s5, 8
	s_waitcnt lgkmcnt(1)
	v_pk_fma_f32 v[2:3], v[44:45], v[22:23], v[2:3] op_sel_hi:[1,0,1]
	v_lshl_add_u64 v[4:5], v[4:5], 0, 32
	s_waitcnt lgkmcnt(0)
	v_pk_fma_f32 v[2:3], v[46:47], v[16:17], v[2:3] op_sel_hi:[1,0,1]
	v_mov_b32_e32 v16, v27
	v_pk_fma_f32 v[0:1], v[38:39], v[16:17], v[0:1] op_sel_hi:[1,0,1]
	v_mov_b32_e32 v16, v31
	v_pk_fma_f32 v[0:1], v[40:41], v[28:29], v[0:1] op_sel_hi:[1,0,1]
	s_cmp_lt_i32 s5, s9
	v_pk_fma_f32 v[0:1], v[42:43], v[28:29], v[0:1] op_sel:[0,1,0]
	v_lshl_add_u64 v[6:7], v[6:7], 0, s[14:15]
	v_pk_fma_f32 v[0:1], v[44:45], v[30:31], v[0:1] op_sel_hi:[1,0,1]
	s_nop 0
	v_pk_fma_f32 v[0:1], v[46:47], v[16:17], v[0:1] op_sel_hi:[1,0,1]
	s_barrier
	s_cbranch_scc0 .LBB322_10
.LBB322_6:                              ; =>This Inner Loop Header: Depth=1
	v_add_u32_e32 v16, s5, v11
	v_cmp_gt_i32_e64 s[6:7], s9, v16
	s_and_b64 s[18:19], vcc, s[6:7]
	v_mov_b32_e32 v16, 0
	s_and_saveexec_b64 s[6:7], s[18:19]
	s_cbranch_execz .LBB322_8
; %bb.7:                                ;   in Loop: Header=BB322_6 Depth=1
	flat_load_dword v16, v[4:5]
.LBB322_8:                              ;   in Loop: Header=BB322_6 Depth=1
	s_or_b64 exec, exec, s[6:7]
	s_waitcnt vmcnt(0) lgkmcnt(0)
	ds_write_b32 v12, v16
	v_add_u32_e32 v16, s5, v10
	v_cmp_gt_i32_e64 s[6:7], s9, v16
	s_and_b64 s[18:19], s[6:7], s[2:3]
	v_mov_b32_e32 v16, 0
	s_and_saveexec_b64 s[6:7], s[18:19]
	s_cbranch_execz .LBB322_5
; %bb.9:                                ;   in Loop: Header=BB322_6 Depth=1
	flat_load_dword v16, v[6:7]
	s_branch .LBB322_5
.LBB322_10:
	s_load_dwordx2 s[2:3], s[0:1], 0x58
	s_load_dword s14, s[0:1], 0x50
	v_add_u32_e32 v10, s11, v9
	v_add_u32_e32 v4, s4, v8
	v_cmp_le_i32_e32 vcc, v10, v4
	s_waitcnt lgkmcnt(0)
	s_lshl_b64 s[0:1], s[2:3], 2
	s_add_u32 s6, s12, s0
	s_addc_u32 s7, s13, s1
	v_mad_i64_i32 v[6:7], s[0:1], v10, s14, 0
	v_cmp_neq_f32_e64 s[0:1], s16, 0
	v_lshl_add_u64 v[8:9], v[6:7], 2, s[6:7]
	v_cmp_gt_i32_e64 s[2:3], s8, v4
	v_cndmask_b32_e64 v6, 0, 1, s[0:1]
	s_and_b64 s[12:13], vcc, s[2:3]
	v_ashrrev_i32_e32 v5, 31, v4
	v_cmp_ne_u32_e64 s[0:1], 1, v6
	s_and_saveexec_b64 s[4:5], s[12:13]
	s_cbranch_execz .LBB322_14
; %bb.11:
	v_mul_f32_e32 v2, s10, v2
	s_and_b64 vcc, exec, s[0:1]
	v_lshl_add_u64 v[6:7], v[4:5], 2, v[8:9]
	s_cbranch_vccnz .LBB322_13
; %bb.12:
	flat_load_dword v11, v[6:7]
	s_waitcnt vmcnt(0) lgkmcnt(0)
	v_fmac_f32_e32 v2, s16, v11
.LBB322_13:
	flat_store_dword v[6:7], v2
.LBB322_14:
	s_or_b64 exec, exec, s[4:5]
	v_add_u32_e32 v6, 16, v4
	v_cmp_le_i32_e32 vcc, v10, v6
	v_cmp_gt_i32_e64 s[4:5], s8, v6
	s_and_b64 s[12:13], vcc, s[4:5]
	v_ashrrev_i32_e32 v7, 31, v6
	s_and_saveexec_b64 s[8:9], s[12:13]
	s_cbranch_execz .LBB322_18
; %bb.15:
	v_mul_f32_e32 v11, s10, v3
	s_and_b64 vcc, exec, s[0:1]
	v_lshl_add_u64 v[2:3], v[6:7], 2, v[8:9]
	s_cbranch_vccnz .LBB322_17
; %bb.16:
	flat_load_dword v8, v[2:3]
	s_waitcnt vmcnt(0) lgkmcnt(0)
	v_fmac_f32_e32 v11, s16, v8
.LBB322_17:
	flat_store_dword v[2:3], v11
.LBB322_18:
	s_or_b64 exec, exec, s[8:9]
	v_add_u32_e32 v8, 16, v10
	v_mad_i64_i32 v[2:3], s[8:9], v8, s14, 0
	v_cmp_le_i32_e32 vcc, v8, v4
	v_lshl_add_u64 v[2:3], v[2:3], 2, s[6:7]
	s_and_b64 s[6:7], vcc, s[2:3]
	s_and_saveexec_b64 s[2:3], s[6:7]
	s_cbranch_execz .LBB322_22
; %bb.19:
	v_mul_f32_e32 v0, s10, v0
	s_and_b64 vcc, exec, s[0:1]
	v_lshl_add_u64 v[4:5], v[4:5], 2, v[2:3]
	s_cbranch_vccnz .LBB322_21
; %bb.20:
	flat_load_dword v9, v[4:5]
	s_waitcnt vmcnt(0) lgkmcnt(0)
	v_fmac_f32_e32 v0, s16, v9
.LBB322_21:
	flat_store_dword v[4:5], v0
.LBB322_22:
	s_or_b64 exec, exec, s[2:3]
	v_cmp_le_i32_e32 vcc, v8, v6
	s_and_b64 s[2:3], vcc, s[4:5]
	s_and_saveexec_b64 s[4:5], s[2:3]
	s_cbranch_execz .LBB322_26
; %bb.23:
	v_mul_f32_e32 v4, s10, v1
	s_and_b64 vcc, exec, s[0:1]
	v_lshl_add_u64 v[0:1], v[6:7], 2, v[2:3]
	s_cbranch_vccnz .LBB322_25
; %bb.24:
	flat_load_dword v2, v[0:1]
	s_waitcnt vmcnt(0) lgkmcnt(0)
	v_fmac_f32_e32 v4, s16, v2
.LBB322_25:
	flat_store_dword v[0:1], v4
.LBB322_26:
	s_endpgm
	.section	.rodata,"a",@progbits
	.p2align	6, 0x0
	.amdhsa_kernel _ZL29rocblas_internal_gemmt_kernelIiLi16ELi32ELi8ELc67ELc84ELc76ELb0ELb0EffPKPKfPKPfEviT_T9_T10_S7_lS9_S7_lS8_T11_S7_li
		.amdhsa_group_segment_fixed_size 2048
		.amdhsa_private_segment_fixed_size 0
		.amdhsa_kernarg_size 100
		.amdhsa_user_sgpr_count 2
		.amdhsa_user_sgpr_dispatch_ptr 0
		.amdhsa_user_sgpr_queue_ptr 0
		.amdhsa_user_sgpr_kernarg_segment_ptr 1
		.amdhsa_user_sgpr_dispatch_id 0
		.amdhsa_user_sgpr_kernarg_preload_length 0
		.amdhsa_user_sgpr_kernarg_preload_offset 0
		.amdhsa_user_sgpr_private_segment_size 0
		.amdhsa_uses_dynamic_stack 0
		.amdhsa_enable_private_segment 0
		.amdhsa_system_sgpr_workgroup_id_x 1
		.amdhsa_system_sgpr_workgroup_id_y 1
		.amdhsa_system_sgpr_workgroup_id_z 1
		.amdhsa_system_sgpr_workgroup_info 0
		.amdhsa_system_vgpr_workitem_id 1
		.amdhsa_next_free_vgpr 48
		.amdhsa_next_free_sgpr 26
		.amdhsa_accum_offset 48
		.amdhsa_reserve_vcc 1
		.amdhsa_float_round_mode_32 0
		.amdhsa_float_round_mode_16_64 0
		.amdhsa_float_denorm_mode_32 3
		.amdhsa_float_denorm_mode_16_64 3
		.amdhsa_dx10_clamp 1
		.amdhsa_ieee_mode 1
		.amdhsa_fp16_overflow 0
		.amdhsa_tg_split 0
		.amdhsa_exception_fp_ieee_invalid_op 0
		.amdhsa_exception_fp_denorm_src 0
		.amdhsa_exception_fp_ieee_div_zero 0
		.amdhsa_exception_fp_ieee_overflow 0
		.amdhsa_exception_fp_ieee_underflow 0
		.amdhsa_exception_fp_ieee_inexact 0
		.amdhsa_exception_int_div_zero 0
	.end_amdhsa_kernel
	.section	.text._ZL29rocblas_internal_gemmt_kernelIiLi16ELi32ELi8ELc67ELc84ELc76ELb0ELb0EffPKPKfPKPfEviT_T9_T10_S7_lS9_S7_lS8_T11_S7_li,"axG",@progbits,_ZL29rocblas_internal_gemmt_kernelIiLi16ELi32ELi8ELc67ELc84ELc76ELb0ELb0EffPKPKfPKPfEviT_T9_T10_S7_lS9_S7_lS8_T11_S7_li,comdat
.Lfunc_end322:
	.size	_ZL29rocblas_internal_gemmt_kernelIiLi16ELi32ELi8ELc67ELc84ELc76ELb0ELb0EffPKPKfPKPfEviT_T9_T10_S7_lS9_S7_lS8_T11_S7_li, .Lfunc_end322-_ZL29rocblas_internal_gemmt_kernelIiLi16ELi32ELi8ELc67ELc84ELc76ELb0ELb0EffPKPKfPKPfEviT_T9_T10_S7_lS9_S7_lS8_T11_S7_li
                                        ; -- End function
	.set _ZL29rocblas_internal_gemmt_kernelIiLi16ELi32ELi8ELc67ELc84ELc76ELb0ELb0EffPKPKfPKPfEviT_T9_T10_S7_lS9_S7_lS8_T11_S7_li.num_vgpr, 48
	.set _ZL29rocblas_internal_gemmt_kernelIiLi16ELi32ELi8ELc67ELc84ELc76ELb0ELb0EffPKPKfPKPfEviT_T9_T10_S7_lS9_S7_lS8_T11_S7_li.num_agpr, 0
	.set _ZL29rocblas_internal_gemmt_kernelIiLi16ELi32ELi8ELc67ELc84ELc76ELb0ELb0EffPKPKfPKPfEviT_T9_T10_S7_lS9_S7_lS8_T11_S7_li.numbered_sgpr, 26
	.set _ZL29rocblas_internal_gemmt_kernelIiLi16ELi32ELi8ELc67ELc84ELc76ELb0ELb0EffPKPKfPKPfEviT_T9_T10_S7_lS9_S7_lS8_T11_S7_li.num_named_barrier, 0
	.set _ZL29rocblas_internal_gemmt_kernelIiLi16ELi32ELi8ELc67ELc84ELc76ELb0ELb0EffPKPKfPKPfEviT_T9_T10_S7_lS9_S7_lS8_T11_S7_li.private_seg_size, 0
	.set _ZL29rocblas_internal_gemmt_kernelIiLi16ELi32ELi8ELc67ELc84ELc76ELb0ELb0EffPKPKfPKPfEviT_T9_T10_S7_lS9_S7_lS8_T11_S7_li.uses_vcc, 1
	.set _ZL29rocblas_internal_gemmt_kernelIiLi16ELi32ELi8ELc67ELc84ELc76ELb0ELb0EffPKPKfPKPfEviT_T9_T10_S7_lS9_S7_lS8_T11_S7_li.uses_flat_scratch, 0
	.set _ZL29rocblas_internal_gemmt_kernelIiLi16ELi32ELi8ELc67ELc84ELc76ELb0ELb0EffPKPKfPKPfEviT_T9_T10_S7_lS9_S7_lS8_T11_S7_li.has_dyn_sized_stack, 0
	.set _ZL29rocblas_internal_gemmt_kernelIiLi16ELi32ELi8ELc67ELc84ELc76ELb0ELb0EffPKPKfPKPfEviT_T9_T10_S7_lS9_S7_lS8_T11_S7_li.has_recursion, 0
	.set _ZL29rocblas_internal_gemmt_kernelIiLi16ELi32ELi8ELc67ELc84ELc76ELb0ELb0EffPKPKfPKPfEviT_T9_T10_S7_lS9_S7_lS8_T11_S7_li.has_indirect_call, 0
	.section	.AMDGPU.csdata,"",@progbits
; Kernel info:
; codeLenInByte = 1252
; TotalNumSgprs: 32
; NumVgprs: 48
; NumAgprs: 0
; TotalNumVgprs: 48
; ScratchSize: 0
; MemoryBound: 0
; FloatMode: 240
; IeeeMode: 1
; LDSByteSize: 2048 bytes/workgroup (compile time only)
; SGPRBlocks: 3
; VGPRBlocks: 5
; NumSGPRsForWavesPerEU: 32
; NumVGPRsForWavesPerEU: 48
; AccumOffset: 48
; Occupancy: 8
; WaveLimiterHint : 1
; COMPUTE_PGM_RSRC2:SCRATCH_EN: 0
; COMPUTE_PGM_RSRC2:USER_SGPR: 2
; COMPUTE_PGM_RSRC2:TRAP_HANDLER: 0
; COMPUTE_PGM_RSRC2:TGID_X_EN: 1
; COMPUTE_PGM_RSRC2:TGID_Y_EN: 1
; COMPUTE_PGM_RSRC2:TGID_Z_EN: 1
; COMPUTE_PGM_RSRC2:TIDIG_COMP_CNT: 1
; COMPUTE_PGM_RSRC3_GFX90A:ACCUM_OFFSET: 11
; COMPUTE_PGM_RSRC3_GFX90A:TG_SPLIT: 0
	.section	.text._ZL29rocblas_internal_gemmt_kernelIiLi16ELi32ELi8ELc67ELc67ELc76ELb0ELb0EffPKPKfPKPfEviT_T9_T10_S7_lS9_S7_lS8_T11_S7_li,"axG",@progbits,_ZL29rocblas_internal_gemmt_kernelIiLi16ELi32ELi8ELc67ELc67ELc76ELb0ELb0EffPKPKfPKPfEviT_T9_T10_S7_lS9_S7_lS8_T11_S7_li,comdat
	.globl	_ZL29rocblas_internal_gemmt_kernelIiLi16ELi32ELi8ELc67ELc67ELc76ELb0ELb0EffPKPKfPKPfEviT_T9_T10_S7_lS9_S7_lS8_T11_S7_li ; -- Begin function _ZL29rocblas_internal_gemmt_kernelIiLi16ELi32ELi8ELc67ELc67ELc76ELb0ELb0EffPKPKfPKPfEviT_T9_T10_S7_lS9_S7_lS8_T11_S7_li
	.p2align	8
	.type	_ZL29rocblas_internal_gemmt_kernelIiLi16ELi32ELi8ELc67ELc67ELc76ELb0ELb0EffPKPKfPKPfEviT_T9_T10_S7_lS9_S7_lS8_T11_S7_li,@function
_ZL29rocblas_internal_gemmt_kernelIiLi16ELi32ELi8ELc67ELc67ELc76ELb0ELb0EffPKPKfPKPfEviT_T9_T10_S7_lS9_S7_lS8_T11_S7_li: ; @_ZL29rocblas_internal_gemmt_kernelIiLi16ELi32ELi8ELc67ELc67ELc76ELb0ELb0EffPKPKfPKPfEviT_T9_T10_S7_lS9_S7_lS8_T11_S7_li
; %bb.0:
	s_load_dword s16, s[0:1], 0x40
	s_load_dwordx4 s[8:11], s[0:1], 0x0
	s_waitcnt lgkmcnt(0)
	v_cmp_neq_f32_e64 s[6:7], s16, 1.0
	s_and_b64 vcc, exec, s[6:7]
	s_cbranch_vccnz .LBB323_2
; %bb.1:
	s_cmp_lg_u32 s9, 0
	s_cselect_b64 s[6:7], -1, 0
	v_cmp_neq_f32_e64 s[12:13], s10, 0
	s_and_b64 s[6:7], s[6:7], s[12:13]
.LBB323_2:
	s_andn2_b64 vcc, exec, s[6:7]
	s_cbranch_vccnz .LBB323_26
; %bb.3:
	s_load_dwordx2 s[12:13], s[0:1], 0x48
	s_mov_b32 s5, 0
	s_lshl_b64 s[6:7], s[4:5], 3
	v_mov_b32_e32 v3, 0
	v_and_b32_e32 v8, 0x3ff, v0
	s_waitcnt lgkmcnt(0)
	s_add_u32 s12, s12, s6
	s_addc_u32 s13, s13, s7
	s_load_dwordx2 s[12:13], s[12:13], 0x0
	s_lshl_b32 s4, s2, 5
	s_lshl_b32 s11, s3, 5
	s_cmp_lt_i32 s9, 1
	v_cmp_eq_f32_e64 s[2:3], s10, 0
	s_cselect_b64 s[14:15], -1, 0
	s_or_b64 s[2:3], s[2:3], s[14:15]
	v_bfe_u32 v9, v0, 10, 10
	s_and_b64 vcc, exec, s[2:3]
	v_mov_b32_e32 v2, v3
	v_mov_b32_e32 v1, v3
	;; [unrolled: 1-line block ×3, first 2 shown]
	s_cbranch_vccnz .LBB323_10
; %bb.4:
	s_load_dwordx4 s[20:23], s[0:1], 0x20
	s_load_dword s14, s[0:1], 0x30
	v_lshl_add_u32 v0, v9, 4, v8
	s_load_dwordx2 s[2:3], s[0:1], 0x10
	s_load_dword s17, s[0:1], 0x18
	s_load_dwordx2 s[18:19], s[0:1], 0x38
	v_lshrrev_b32_e32 v11, 5, v0
	v_lshrrev_b32_e32 v1, 3, v0
	s_waitcnt lgkmcnt(0)
	s_ashr_i32 s15, s14, 31
	v_and_b32_e32 v0, 31, v0
	s_add_u32 s22, s22, s6
	v_or_b32_e32 v3, s4, v0
	s_addc_u32 s23, s23, s7
	v_and_b32_e32 v10, 7, v8
	s_add_u32 s2, s2, s6
	v_cmp_gt_i32_e32 vcc, s8, v3
	v_lshlrev_b32_e32 v3, 2, v0
	s_addc_u32 s3, s3, s7
	v_lshl_or_b32 v12, v11, 7, v3
	v_lshlrev_b32_e32 v3, 2, v10
	v_add_u32_e32 v2, s11, v1
	s_load_dwordx2 s[6:7], s[2:3], 0x0
	v_lshl_or_b32 v1, v1, 5, v3
	v_add_u32_e32 v13, 0x400, v1
	v_mov_b32_e32 v1, 0x400
	v_add_u32_e32 v0, s4, v0
	v_lshl_add_u32 v15, v9, 5, v1
	v_mad_i64_i32 v[0:1], s[24:25], s17, v0, 0
	s_lshl_b64 s[20:21], s[20:21], 2
	v_lshl_add_u64 v[4:5], v[0:1], 2, s[20:21]
	v_lshlrev_b32_e32 v0, 2, v11
	v_mov_b32_e32 v1, 0
	s_load_dwordx2 s[22:23], s[22:23], 0x0
	v_lshl_add_u64 v[4:5], v[4:5], 0, v[0:1]
	s_waitcnt lgkmcnt(0)
	v_lshl_add_u64 v[4:5], s[6:7], 0, v[4:5]
	v_mad_i64_i32 v[6:7], s[6:7], s14, v10, 0
	s_lshl_b64 s[6:7], s[18:19], 2
	v_ashrrev_i32_e32 v3, 31, v2
	v_lshl_add_u64 v[6:7], v[6:7], 2, s[6:7]
	v_cmp_gt_i32_e64 s[2:3], s8, v2
	v_lshl_add_u64 v[2:3], v[2:3], 2, v[6:7]
	v_lshlrev_b32_e32 v14, 2, v8
	v_lshl_add_u64 v[6:7], s[22:23], 0, v[2:3]
	s_lshl_b64 s[14:15], s[14:15], 5
	v_mov_b32_e32 v0, v1
	v_mov_b32_e32 v2, v1
	v_mov_b32_e32 v3, v1
	s_branch .LBB323_6
.LBB323_5:                              ;   in Loop: Header=BB323_6 Depth=1
	s_or_b64 exec, exec, s[6:7]
	s_waitcnt vmcnt(0) lgkmcnt(0)
	ds_write_b32 v13, v16
	s_waitcnt lgkmcnt(0)
	s_barrier
	ds_read_b128 v[16:19], v15
	ds_read_b128 v[20:23], v15 offset:16
	ds_read2_b32 v[32:33], v14 offset1:16
	ds_read2_b32 v[34:35], v14 offset0:32 offset1:48
	ds_read2_b32 v[36:37], v14 offset0:64 offset1:80
	;; [unrolled: 1-line block ×4, first 2 shown]
	ds_read_b128 v[24:27], v15 offset:512
	ds_read_b128 v[28:31], v15 offset:528
	ds_read2_b32 v[42:43], v14 offset0:160 offset1:176
	ds_read2_b32 v[44:45], v14 offset0:192 offset1:208
	;; [unrolled: 1-line block ×3, first 2 shown]
	s_waitcnt lgkmcnt(9)
	v_pk_fma_f32 v[2:3], v[32:33], v[16:17], v[2:3] op_sel_hi:[1,0,1]
	s_waitcnt lgkmcnt(4)
	v_pk_fma_f32 v[0:1], v[32:33], v[24:25], v[0:1] op_sel_hi:[1,0,1]
	v_pk_fma_f32 v[2:3], v[34:35], v[16:17], v[2:3] op_sel:[0,1,0]
	v_mov_b32_e32 v16, v19
	v_pk_fma_f32 v[2:3], v[36:37], v[18:19], v[2:3] op_sel_hi:[1,0,1]
	v_pk_fma_f32 v[0:1], v[34:35], v[24:25], v[0:1] op_sel:[0,1,0]
	v_pk_fma_f32 v[2:3], v[38:39], v[16:17], v[2:3] op_sel_hi:[1,0,1]
	v_mov_b32_e32 v16, v23
	v_pk_fma_f32 v[2:3], v[40:41], v[20:21], v[2:3] op_sel_hi:[1,0,1]
	v_pk_fma_f32 v[0:1], v[36:37], v[26:27], v[0:1] op_sel_hi:[1,0,1]
	s_waitcnt lgkmcnt(2)
	v_pk_fma_f32 v[2:3], v[42:43], v[20:21], v[2:3] op_sel:[0,1,0]
	s_add_i32 s5, s5, 8
	s_waitcnt lgkmcnt(1)
	v_pk_fma_f32 v[2:3], v[44:45], v[22:23], v[2:3] op_sel_hi:[1,0,1]
	v_lshl_add_u64 v[4:5], v[4:5], 0, 32
	s_waitcnt lgkmcnt(0)
	v_pk_fma_f32 v[2:3], v[46:47], v[16:17], v[2:3] op_sel_hi:[1,0,1]
	v_mov_b32_e32 v16, v27
	v_pk_fma_f32 v[0:1], v[38:39], v[16:17], v[0:1] op_sel_hi:[1,0,1]
	v_mov_b32_e32 v16, v31
	v_pk_fma_f32 v[0:1], v[40:41], v[28:29], v[0:1] op_sel_hi:[1,0,1]
	s_cmp_lt_i32 s5, s9
	v_pk_fma_f32 v[0:1], v[42:43], v[28:29], v[0:1] op_sel:[0,1,0]
	v_lshl_add_u64 v[6:7], v[6:7], 0, s[14:15]
	v_pk_fma_f32 v[0:1], v[44:45], v[30:31], v[0:1] op_sel_hi:[1,0,1]
	s_nop 0
	v_pk_fma_f32 v[0:1], v[46:47], v[16:17], v[0:1] op_sel_hi:[1,0,1]
	s_barrier
	s_cbranch_scc0 .LBB323_10
.LBB323_6:                              ; =>This Inner Loop Header: Depth=1
	v_add_u32_e32 v16, s5, v11
	v_cmp_gt_i32_e64 s[6:7], s9, v16
	s_and_b64 s[18:19], vcc, s[6:7]
	v_mov_b32_e32 v16, 0
	s_and_saveexec_b64 s[6:7], s[18:19]
	s_cbranch_execz .LBB323_8
; %bb.7:                                ;   in Loop: Header=BB323_6 Depth=1
	flat_load_dword v16, v[4:5]
.LBB323_8:                              ;   in Loop: Header=BB323_6 Depth=1
	s_or_b64 exec, exec, s[6:7]
	s_waitcnt vmcnt(0) lgkmcnt(0)
	ds_write_b32 v12, v16
	v_add_u32_e32 v16, s5, v10
	v_cmp_gt_i32_e64 s[6:7], s9, v16
	s_and_b64 s[18:19], s[6:7], s[2:3]
	v_mov_b32_e32 v16, 0
	s_and_saveexec_b64 s[6:7], s[18:19]
	s_cbranch_execz .LBB323_5
; %bb.9:                                ;   in Loop: Header=BB323_6 Depth=1
	flat_load_dword v16, v[6:7]
	s_branch .LBB323_5
.LBB323_10:
	s_load_dwordx2 s[2:3], s[0:1], 0x58
	s_load_dword s14, s[0:1], 0x50
	v_add_u32_e32 v10, s11, v9
	v_add_u32_e32 v4, s4, v8
	v_cmp_le_i32_e32 vcc, v10, v4
	s_waitcnt lgkmcnt(0)
	s_lshl_b64 s[0:1], s[2:3], 2
	s_add_u32 s6, s12, s0
	s_addc_u32 s7, s13, s1
	v_mad_i64_i32 v[6:7], s[0:1], v10, s14, 0
	v_cmp_neq_f32_e64 s[0:1], s16, 0
	v_lshl_add_u64 v[8:9], v[6:7], 2, s[6:7]
	v_cmp_gt_i32_e64 s[2:3], s8, v4
	v_cndmask_b32_e64 v6, 0, 1, s[0:1]
	s_and_b64 s[12:13], vcc, s[2:3]
	v_ashrrev_i32_e32 v5, 31, v4
	v_cmp_ne_u32_e64 s[0:1], 1, v6
	s_and_saveexec_b64 s[4:5], s[12:13]
	s_cbranch_execz .LBB323_14
; %bb.11:
	v_mul_f32_e32 v2, s10, v2
	s_and_b64 vcc, exec, s[0:1]
	v_lshl_add_u64 v[6:7], v[4:5], 2, v[8:9]
	s_cbranch_vccnz .LBB323_13
; %bb.12:
	flat_load_dword v11, v[6:7]
	s_waitcnt vmcnt(0) lgkmcnt(0)
	v_fmac_f32_e32 v2, s16, v11
.LBB323_13:
	flat_store_dword v[6:7], v2
.LBB323_14:
	s_or_b64 exec, exec, s[4:5]
	v_add_u32_e32 v6, 16, v4
	v_cmp_le_i32_e32 vcc, v10, v6
	v_cmp_gt_i32_e64 s[4:5], s8, v6
	s_and_b64 s[12:13], vcc, s[4:5]
	v_ashrrev_i32_e32 v7, 31, v6
	s_and_saveexec_b64 s[8:9], s[12:13]
	s_cbranch_execz .LBB323_18
; %bb.15:
	v_mul_f32_e32 v11, s10, v3
	s_and_b64 vcc, exec, s[0:1]
	v_lshl_add_u64 v[2:3], v[6:7], 2, v[8:9]
	s_cbranch_vccnz .LBB323_17
; %bb.16:
	flat_load_dword v8, v[2:3]
	s_waitcnt vmcnt(0) lgkmcnt(0)
	v_fmac_f32_e32 v11, s16, v8
.LBB323_17:
	flat_store_dword v[2:3], v11
.LBB323_18:
	s_or_b64 exec, exec, s[8:9]
	v_add_u32_e32 v8, 16, v10
	v_mad_i64_i32 v[2:3], s[8:9], v8, s14, 0
	v_cmp_le_i32_e32 vcc, v8, v4
	v_lshl_add_u64 v[2:3], v[2:3], 2, s[6:7]
	s_and_b64 s[6:7], vcc, s[2:3]
	s_and_saveexec_b64 s[2:3], s[6:7]
	s_cbranch_execz .LBB323_22
; %bb.19:
	v_mul_f32_e32 v0, s10, v0
	s_and_b64 vcc, exec, s[0:1]
	v_lshl_add_u64 v[4:5], v[4:5], 2, v[2:3]
	s_cbranch_vccnz .LBB323_21
; %bb.20:
	flat_load_dword v9, v[4:5]
	s_waitcnt vmcnt(0) lgkmcnt(0)
	v_fmac_f32_e32 v0, s16, v9
.LBB323_21:
	flat_store_dword v[4:5], v0
.LBB323_22:
	s_or_b64 exec, exec, s[2:3]
	v_cmp_le_i32_e32 vcc, v8, v6
	s_and_b64 s[2:3], vcc, s[4:5]
	s_and_saveexec_b64 s[4:5], s[2:3]
	s_cbranch_execz .LBB323_26
; %bb.23:
	v_mul_f32_e32 v4, s10, v1
	s_and_b64 vcc, exec, s[0:1]
	v_lshl_add_u64 v[0:1], v[6:7], 2, v[2:3]
	s_cbranch_vccnz .LBB323_25
; %bb.24:
	flat_load_dword v2, v[0:1]
	s_waitcnt vmcnt(0) lgkmcnt(0)
	v_fmac_f32_e32 v4, s16, v2
.LBB323_25:
	flat_store_dword v[0:1], v4
.LBB323_26:
	s_endpgm
	.section	.rodata,"a",@progbits
	.p2align	6, 0x0
	.amdhsa_kernel _ZL29rocblas_internal_gemmt_kernelIiLi16ELi32ELi8ELc67ELc67ELc76ELb0ELb0EffPKPKfPKPfEviT_T9_T10_S7_lS9_S7_lS8_T11_S7_li
		.amdhsa_group_segment_fixed_size 2048
		.amdhsa_private_segment_fixed_size 0
		.amdhsa_kernarg_size 100
		.amdhsa_user_sgpr_count 2
		.amdhsa_user_sgpr_dispatch_ptr 0
		.amdhsa_user_sgpr_queue_ptr 0
		.amdhsa_user_sgpr_kernarg_segment_ptr 1
		.amdhsa_user_sgpr_dispatch_id 0
		.amdhsa_user_sgpr_kernarg_preload_length 0
		.amdhsa_user_sgpr_kernarg_preload_offset 0
		.amdhsa_user_sgpr_private_segment_size 0
		.amdhsa_uses_dynamic_stack 0
		.amdhsa_enable_private_segment 0
		.amdhsa_system_sgpr_workgroup_id_x 1
		.amdhsa_system_sgpr_workgroup_id_y 1
		.amdhsa_system_sgpr_workgroup_id_z 1
		.amdhsa_system_sgpr_workgroup_info 0
		.amdhsa_system_vgpr_workitem_id 1
		.amdhsa_next_free_vgpr 48
		.amdhsa_next_free_sgpr 26
		.amdhsa_accum_offset 48
		.amdhsa_reserve_vcc 1
		.amdhsa_float_round_mode_32 0
		.amdhsa_float_round_mode_16_64 0
		.amdhsa_float_denorm_mode_32 3
		.amdhsa_float_denorm_mode_16_64 3
		.amdhsa_dx10_clamp 1
		.amdhsa_ieee_mode 1
		.amdhsa_fp16_overflow 0
		.amdhsa_tg_split 0
		.amdhsa_exception_fp_ieee_invalid_op 0
		.amdhsa_exception_fp_denorm_src 0
		.amdhsa_exception_fp_ieee_div_zero 0
		.amdhsa_exception_fp_ieee_overflow 0
		.amdhsa_exception_fp_ieee_underflow 0
		.amdhsa_exception_fp_ieee_inexact 0
		.amdhsa_exception_int_div_zero 0
	.end_amdhsa_kernel
	.section	.text._ZL29rocblas_internal_gemmt_kernelIiLi16ELi32ELi8ELc67ELc67ELc76ELb0ELb0EffPKPKfPKPfEviT_T9_T10_S7_lS9_S7_lS8_T11_S7_li,"axG",@progbits,_ZL29rocblas_internal_gemmt_kernelIiLi16ELi32ELi8ELc67ELc67ELc76ELb0ELb0EffPKPKfPKPfEviT_T9_T10_S7_lS9_S7_lS8_T11_S7_li,comdat
.Lfunc_end323:
	.size	_ZL29rocblas_internal_gemmt_kernelIiLi16ELi32ELi8ELc67ELc67ELc76ELb0ELb0EffPKPKfPKPfEviT_T9_T10_S7_lS9_S7_lS8_T11_S7_li, .Lfunc_end323-_ZL29rocblas_internal_gemmt_kernelIiLi16ELi32ELi8ELc67ELc67ELc76ELb0ELb0EffPKPKfPKPfEviT_T9_T10_S7_lS9_S7_lS8_T11_S7_li
                                        ; -- End function
	.set _ZL29rocblas_internal_gemmt_kernelIiLi16ELi32ELi8ELc67ELc67ELc76ELb0ELb0EffPKPKfPKPfEviT_T9_T10_S7_lS9_S7_lS8_T11_S7_li.num_vgpr, 48
	.set _ZL29rocblas_internal_gemmt_kernelIiLi16ELi32ELi8ELc67ELc67ELc76ELb0ELb0EffPKPKfPKPfEviT_T9_T10_S7_lS9_S7_lS8_T11_S7_li.num_agpr, 0
	.set _ZL29rocblas_internal_gemmt_kernelIiLi16ELi32ELi8ELc67ELc67ELc76ELb0ELb0EffPKPKfPKPfEviT_T9_T10_S7_lS9_S7_lS8_T11_S7_li.numbered_sgpr, 26
	.set _ZL29rocblas_internal_gemmt_kernelIiLi16ELi32ELi8ELc67ELc67ELc76ELb0ELb0EffPKPKfPKPfEviT_T9_T10_S7_lS9_S7_lS8_T11_S7_li.num_named_barrier, 0
	.set _ZL29rocblas_internal_gemmt_kernelIiLi16ELi32ELi8ELc67ELc67ELc76ELb0ELb0EffPKPKfPKPfEviT_T9_T10_S7_lS9_S7_lS8_T11_S7_li.private_seg_size, 0
	.set _ZL29rocblas_internal_gemmt_kernelIiLi16ELi32ELi8ELc67ELc67ELc76ELb0ELb0EffPKPKfPKPfEviT_T9_T10_S7_lS9_S7_lS8_T11_S7_li.uses_vcc, 1
	.set _ZL29rocblas_internal_gemmt_kernelIiLi16ELi32ELi8ELc67ELc67ELc76ELb0ELb0EffPKPKfPKPfEviT_T9_T10_S7_lS9_S7_lS8_T11_S7_li.uses_flat_scratch, 0
	.set _ZL29rocblas_internal_gemmt_kernelIiLi16ELi32ELi8ELc67ELc67ELc76ELb0ELb0EffPKPKfPKPfEviT_T9_T10_S7_lS9_S7_lS8_T11_S7_li.has_dyn_sized_stack, 0
	.set _ZL29rocblas_internal_gemmt_kernelIiLi16ELi32ELi8ELc67ELc67ELc76ELb0ELb0EffPKPKfPKPfEviT_T9_T10_S7_lS9_S7_lS8_T11_S7_li.has_recursion, 0
	.set _ZL29rocblas_internal_gemmt_kernelIiLi16ELi32ELi8ELc67ELc67ELc76ELb0ELb0EffPKPKfPKPfEviT_T9_T10_S7_lS9_S7_lS8_T11_S7_li.has_indirect_call, 0
	.section	.AMDGPU.csdata,"",@progbits
; Kernel info:
; codeLenInByte = 1252
; TotalNumSgprs: 32
; NumVgprs: 48
; NumAgprs: 0
; TotalNumVgprs: 48
; ScratchSize: 0
; MemoryBound: 0
; FloatMode: 240
; IeeeMode: 1
; LDSByteSize: 2048 bytes/workgroup (compile time only)
; SGPRBlocks: 3
; VGPRBlocks: 5
; NumSGPRsForWavesPerEU: 32
; NumVGPRsForWavesPerEU: 48
; AccumOffset: 48
; Occupancy: 8
; WaveLimiterHint : 1
; COMPUTE_PGM_RSRC2:SCRATCH_EN: 0
; COMPUTE_PGM_RSRC2:USER_SGPR: 2
; COMPUTE_PGM_RSRC2:TRAP_HANDLER: 0
; COMPUTE_PGM_RSRC2:TGID_X_EN: 1
; COMPUTE_PGM_RSRC2:TGID_Y_EN: 1
; COMPUTE_PGM_RSRC2:TGID_Z_EN: 1
; COMPUTE_PGM_RSRC2:TIDIG_COMP_CNT: 1
; COMPUTE_PGM_RSRC3_GFX90A:ACCUM_OFFSET: 11
; COMPUTE_PGM_RSRC3_GFX90A:TG_SPLIT: 0
	.section	.text._ZL29rocblas_internal_gemmt_kernelIiLi16ELi32ELi8ELc78ELc78ELc85ELb0ELb0EdPKdPKS1_PKPdEviT_T9_T10_S7_lS9_S7_lS8_T11_S7_li,"axG",@progbits,_ZL29rocblas_internal_gemmt_kernelIiLi16ELi32ELi8ELc78ELc78ELc85ELb0ELb0EdPKdPKS1_PKPdEviT_T9_T10_S7_lS9_S7_lS8_T11_S7_li,comdat
	.globl	_ZL29rocblas_internal_gemmt_kernelIiLi16ELi32ELi8ELc78ELc78ELc85ELb0ELb0EdPKdPKS1_PKPdEviT_T9_T10_S7_lS9_S7_lS8_T11_S7_li ; -- Begin function _ZL29rocblas_internal_gemmt_kernelIiLi16ELi32ELi8ELc78ELc78ELc85ELb0ELb0EdPKdPKS1_PKPdEviT_T9_T10_S7_lS9_S7_lS8_T11_S7_li
	.p2align	8
	.type	_ZL29rocblas_internal_gemmt_kernelIiLi16ELi32ELi8ELc78ELc78ELc85ELb0ELb0EdPKdPKS1_PKPdEviT_T9_T10_S7_lS9_S7_lS8_T11_S7_li,@function
_ZL29rocblas_internal_gemmt_kernelIiLi16ELi32ELi8ELc78ELc78ELc85ELb0ELb0EdPKdPKS1_PKPdEviT_T9_T10_S7_lS9_S7_lS8_T11_S7_li: ; @_ZL29rocblas_internal_gemmt_kernelIiLi16ELi32ELi8ELc78ELc78ELc85ELb0ELb0EdPKdPKS1_PKPdEviT_T9_T10_S7_lS9_S7_lS8_T11_S7_li
; %bb.0:
	s_load_dwordx4 s[8:11], s[0:1], 0x38
	s_load_dwordx4 s[12:15], s[0:1], 0x8
	s_waitcnt lgkmcnt(0)
	s_load_dwordx2 s[16:17], s[10:11], 0x0
	s_load_dwordx2 s[20:21], s[0:1], 0x0
	s_load_dwordx2 s[18:19], s[12:13], 0x0
	s_waitcnt lgkmcnt(0)
	v_cmp_neq_f64_e64 s[6:7], s[16:17], 1.0
	s_and_b64 vcc, exec, s[6:7]
	s_cbranch_vccnz .LBB324_2
; %bb.1:
	s_cmp_lg_u32 s21, 0
	s_cselect_b64 s[6:7], -1, 0
	v_cmp_neq_f64_e64 s[10:11], s[18:19], 0
	s_and_b64 s[6:7], s[6:7], s[10:11]
.LBB324_2:
	s_andn2_b64 vcc, exec, s[6:7]
	s_cbranch_vccnz .LBB324_26
; %bb.3:
	s_load_dwordx2 s[10:11], s[0:1], 0x48
	s_mov_b32 s5, 0
	s_lshl_b64 s[6:7], s[4:5], 3
	v_and_b32_e32 v12, 0x3ff, v0
	v_bfe_u32 v13, v0, 10, 10
	s_waitcnt lgkmcnt(0)
	s_add_u32 s10, s10, s6
	s_addc_u32 s11, s11, s7
	s_load_dwordx2 s[10:11], s[10:11], 0x0
	s_lshl_b32 s4, s2, 5
	s_lshl_b32 s22, s3, 5
	s_cmp_lt_i32 s21, 1
	v_cmp_eq_f64_e64 s[2:3], s[18:19], 0
	s_cselect_b64 s[12:13], -1, 0
	s_or_b64 s[2:3], s[2:3], s[12:13]
	v_mov_b64_e32 v[6:7], 0
	s_and_b64 vcc, exec, s[2:3]
	v_mov_b64_e32 v[4:5], 0
	v_mov_b64_e32 v[2:3], 0
	;; [unrolled: 1-line block ×3, first 2 shown]
	s_cbranch_vccnz .LBB324_10
; %bb.4:
	s_load_dword s12, s[0:1], 0x18
	s_load_dwordx4 s[24:27], s[0:1], 0x20
	s_load_dword s23, s[0:1], 0x30
	v_lshl_add_u32 v0, v13, 4, v12
	v_lshrrev_b32_e32 v15, 5, v0
	v_and_b32_e32 v4, 31, v0
	s_waitcnt lgkmcnt(0)
	s_ashr_i32 s13, s12, 31
	s_add_u32 s2, s26, s6
	s_addc_u32 s3, s27, s7
	s_load_dwordx2 s[26:27], s[2:3], 0x0
	s_add_u32 s2, s14, s6
	s_addc_u32 s3, s15, s7
	s_load_dwordx2 s[6:7], s[2:3], 0x0
	v_lshrrev_b32_e32 v1, 3, v0
	v_or_b32_e32 v0, s4, v4
	v_mad_i64_i32 v[2:3], s[14:15], v15, s12, 0
	v_cmp_gt_i32_e32 vcc, s20, v0
	v_lshlrev_b32_e32 v0, 3, v4
	s_lshl_b64 s[14:15], s[24:25], 3
	v_add_u32_e32 v4, s4, v4
	v_and_b32_e32 v14, 7, v12
	v_lshl_add_u64 v[2:3], v[2:3], 3, s[14:15]
	v_ashrrev_i32_e32 v5, 31, v4
	v_add_u32_e32 v6, s22, v1
	v_lshl_or_b32 v16, v15, 8, v0
	v_lshlrev_b32_e32 v0, 3, v14
	v_lshl_add_u64 v[2:3], v[4:5], 3, v[2:3]
	v_lshl_or_b32 v1, v1, 6, v0
	s_waitcnt lgkmcnt(0)
	v_lshl_add_u64 v[8:9], s[6:7], 0, v[2:3]
	v_mad_i64_i32 v[2:3], s[6:7], s23, v6, 0
	v_add_u32_e32 v17, 0x800, v1
	v_mov_b32_e32 v1, 0x800
	s_lshl_b64 s[6:7], s[8:9], 3
	v_lshl_add_u32 v19, v13, 6, v1
	v_lshl_add_u64 v[2:3], v[2:3], 3, s[6:7]
	v_mov_b32_e32 v1, 0
	v_lshl_add_u64 v[0:1], v[2:3], 0, v[0:1]
	v_cmp_gt_i32_e64 s[2:3], s20, v6
	v_lshlrev_b32_e32 v18, 3, v12
	s_lshl_b64 s[12:13], s[12:13], 6
	v_lshl_add_u64 v[10:11], s[26:27], 0, v[0:1]
	v_mov_b64_e32 v[0:1], 0
	v_mov_b64_e32 v[2:3], 0
	;; [unrolled: 1-line block ×4, first 2 shown]
	s_branch .LBB324_6
.LBB324_5:                              ;   in Loop: Header=BB324_6 Depth=1
	s_or_b64 exec, exec, s[6:7]
	s_waitcnt vmcnt(0) lgkmcnt(0)
	ds_write_b64 v17, v[20:21]
	s_waitcnt lgkmcnt(0)
	s_barrier
	ds_read2_b64 v[20:23], v18 offset1:16
	ds_read_b128 v[24:27], v19
	ds_read_b128 v[28:31], v19 offset:16
	ds_read_b128 v[32:35], v19 offset:32
	;; [unrolled: 1-line block ×4, first 2 shown]
	ds_read2_b64 v[44:47], v18 offset0:32 offset1:48
	s_waitcnt lgkmcnt(5)
	v_fmac_f64_e32 v[6:7], v[20:21], v[24:25]
	v_fmac_f64_e32 v[4:5], v[22:23], v[24:25]
	ds_read_b128 v[48:51], v19 offset:1040
	s_waitcnt lgkmcnt(2)
	v_fmac_f64_e32 v[2:3], v[20:21], v[40:41]
	v_fmac_f64_e32 v[0:1], v[22:23], v[40:41]
	ds_read2_b64 v[20:23], v18 offset0:64 offset1:80
	s_waitcnt lgkmcnt(2)
	v_fmac_f64_e32 v[6:7], v[44:45], v[26:27]
	v_fmac_f64_e32 v[4:5], v[46:47], v[26:27]
	ds_read2_b64 v[24:27], v18 offset0:96 offset1:112
	v_fmac_f64_e32 v[2:3], v[44:45], v[42:43]
	v_fmac_f64_e32 v[0:1], v[46:47], v[42:43]
	s_waitcnt lgkmcnt(1)
	v_fmac_f64_e32 v[6:7], v[20:21], v[28:29]
	v_fmac_f64_e32 v[4:5], v[22:23], v[28:29]
	ds_read_b128 v[40:43], v19 offset:1072
	v_fmac_f64_e32 v[2:3], v[20:21], v[48:49]
	v_fmac_f64_e32 v[0:1], v[22:23], v[48:49]
	s_waitcnt lgkmcnt(1)
	v_fmac_f64_e32 v[6:7], v[24:25], v[30:31]
	ds_read2_b64 v[20:23], v18 offset0:128 offset1:144
	v_fmac_f64_e32 v[4:5], v[26:27], v[30:31]
	v_fmac_f64_e32 v[2:3], v[24:25], v[50:51]
	;; [unrolled: 1-line block ×3, first 2 shown]
	ds_read_b128 v[24:27], v19 offset:1056
	ds_read2_b64 v[28:31], v18 offset0:160 offset1:176
	s_waitcnt lgkmcnt(2)
	v_fmac_f64_e32 v[6:7], v[20:21], v[32:33]
	v_fmac_f64_e32 v[4:5], v[22:23], v[32:33]
	s_add_i32 s5, s5, 8
	s_waitcnt lgkmcnt(1)
	v_fmac_f64_e32 v[2:3], v[20:21], v[24:25]
	v_fmac_f64_e32 v[0:1], v[22:23], v[24:25]
	ds_read2_b64 v[20:23], v18 offset0:192 offset1:208
	s_waitcnt lgkmcnt(1)
	v_fmac_f64_e32 v[2:3], v[28:29], v[26:27]
	v_fmac_f64_e32 v[0:1], v[30:31], v[26:27]
	ds_read2_b64 v[24:27], v18 offset0:224 offset1:240
	v_fmac_f64_e32 v[6:7], v[28:29], v[34:35]
	v_fmac_f64_e32 v[4:5], v[30:31], v[34:35]
	s_waitcnt lgkmcnt(1)
	v_fmac_f64_e32 v[6:7], v[20:21], v[36:37]
	v_fmac_f64_e32 v[4:5], v[22:23], v[36:37]
	;; [unrolled: 1-line block ×4, first 2 shown]
	s_waitcnt lgkmcnt(0)
	v_fmac_f64_e32 v[6:7], v[24:25], v[38:39]
	v_fmac_f64_e32 v[4:5], v[26:27], v[38:39]
	;; [unrolled: 1-line block ×4, first 2 shown]
	v_lshl_add_u64 v[8:9], v[8:9], 0, s[12:13]
	s_cmp_lt_i32 s5, s21
	v_lshl_add_u64 v[10:11], v[10:11], 0, 64
	s_barrier
	s_cbranch_scc0 .LBB324_10
.LBB324_6:                              ; =>This Inner Loop Header: Depth=1
	v_add_u32_e32 v20, s5, v15
	v_cmp_gt_i32_e64 s[6:7], s21, v20
	s_and_b64 s[8:9], vcc, s[6:7]
	v_mov_b64_e32 v[20:21], 0
	s_and_saveexec_b64 s[6:7], s[8:9]
	s_cbranch_execz .LBB324_8
; %bb.7:                                ;   in Loop: Header=BB324_6 Depth=1
	flat_load_dwordx2 v[20:21], v[8:9]
.LBB324_8:                              ;   in Loop: Header=BB324_6 Depth=1
	s_or_b64 exec, exec, s[6:7]
	s_waitcnt vmcnt(0) lgkmcnt(0)
	ds_write_b64 v16, v[20:21]
	v_add_u32_e32 v20, s5, v14
	v_cmp_gt_i32_e64 s[6:7], s21, v20
	s_and_b64 s[8:9], s[6:7], s[2:3]
	v_mov_b64_e32 v[20:21], 0
	s_and_saveexec_b64 s[6:7], s[8:9]
	s_cbranch_execz .LBB324_5
; %bb.9:                                ;   in Loop: Header=BB324_6 Depth=1
	flat_load_dwordx2 v[20:21], v[10:11]
	s_branch .LBB324_5
.LBB324_10:
	s_load_dwordx2 s[6:7], s[0:1], 0x58
	s_load_dword s8, s[0:1], 0x50
	v_add_u32_e32 v8, s4, v12
	v_add_u32_e32 v14, s22, v13
	v_cmp_gt_i32_e64 s[2:3], s20, v14
	s_waitcnt lgkmcnt(0)
	s_lshl_b64 s[0:1], s[6:7], 3
	s_add_u32 s4, s10, s0
	s_addc_u32 s5, s11, s1
	v_mad_i64_i32 v[10:11], s[0:1], v14, s8, 0
	v_cmp_neq_f64_e64 s[0:1], s[16:17], 0
	v_cmp_le_i32_e32 vcc, v8, v14
	v_lshl_add_u64 v[10:11], v[10:11], 3, s[4:5]
	v_cndmask_b32_e64 v12, 0, 1, s[0:1]
	s_and_b64 s[10:11], s[2:3], vcc
	v_ashrrev_i32_e32 v9, 31, v8
	v_cmp_ne_u32_e64 s[0:1], 1, v12
	s_and_saveexec_b64 s[6:7], s[10:11]
	s_cbranch_execz .LBB324_14
; %bb.11:
	v_mul_f64 v[6:7], s[18:19], v[6:7]
	s_and_b64 vcc, exec, s[0:1]
	v_lshl_add_u64 v[12:13], v[8:9], 3, v[10:11]
	s_cbranch_vccnz .LBB324_13
; %bb.12:
	flat_load_dwordx2 v[16:17], v[12:13]
	s_waitcnt vmcnt(0) lgkmcnt(0)
	v_fmac_f64_e32 v[6:7], s[16:17], v[16:17]
.LBB324_13:
	flat_store_dwordx2 v[12:13], v[6:7]
.LBB324_14:
	s_or_b64 exec, exec, s[6:7]
	v_add_u32_e32 v6, 16, v8
	v_cmp_le_i32_e32 vcc, v6, v14
	s_and_b64 s[6:7], s[2:3], vcc
	v_ashrrev_i32_e32 v7, 31, v6
	s_and_saveexec_b64 s[2:3], s[6:7]
	s_cbranch_execz .LBB324_18
; %bb.15:
	v_mul_f64 v[4:5], s[18:19], v[4:5]
	s_and_b64 vcc, exec, s[0:1]
	v_lshl_add_u64 v[10:11], v[6:7], 3, v[10:11]
	s_cbranch_vccnz .LBB324_17
; %bb.16:
	flat_load_dwordx2 v[12:13], v[10:11]
	s_waitcnt vmcnt(0) lgkmcnt(0)
	v_fmac_f64_e32 v[4:5], s[16:17], v[12:13]
.LBB324_17:
	flat_store_dwordx2 v[10:11], v[4:5]
.LBB324_18:
	s_or_b64 exec, exec, s[2:3]
	v_add_u32_e32 v10, 16, v14
	v_cmp_gt_i32_e64 s[2:3], s20, v10
	v_mad_i64_i32 v[4:5], s[6:7], v10, s8, 0
	v_cmp_le_i32_e32 vcc, v8, v10
	v_lshl_add_u64 v[4:5], v[4:5], 3, s[4:5]
	s_and_b64 s[6:7], s[2:3], vcc
	s_and_saveexec_b64 s[4:5], s[6:7]
	s_cbranch_execz .LBB324_22
; %bb.19:
	v_mul_f64 v[2:3], s[18:19], v[2:3]
	s_and_b64 vcc, exec, s[0:1]
	v_lshl_add_u64 v[8:9], v[8:9], 3, v[4:5]
	s_cbranch_vccnz .LBB324_21
; %bb.20:
	flat_load_dwordx2 v[12:13], v[8:9]
	s_waitcnt vmcnt(0) lgkmcnt(0)
	v_fmac_f64_e32 v[2:3], s[16:17], v[12:13]
.LBB324_21:
	flat_store_dwordx2 v[8:9], v[2:3]
.LBB324_22:
	s_or_b64 exec, exec, s[4:5]
	v_cmp_le_i32_e32 vcc, v6, v10
	s_and_b64 s[2:3], s[2:3], vcc
	s_and_saveexec_b64 s[4:5], s[2:3]
	s_cbranch_execz .LBB324_26
; %bb.23:
	v_mul_f64 v[0:1], s[18:19], v[0:1]
	s_and_b64 vcc, exec, s[0:1]
	v_lshl_add_u64 v[2:3], v[6:7], 3, v[4:5]
	s_cbranch_vccnz .LBB324_25
; %bb.24:
	flat_load_dwordx2 v[4:5], v[2:3]
	s_waitcnt vmcnt(0) lgkmcnt(0)
	v_fmac_f64_e32 v[0:1], s[16:17], v[4:5]
.LBB324_25:
	flat_store_dwordx2 v[2:3], v[0:1]
.LBB324_26:
	s_endpgm
	.section	.rodata,"a",@progbits
	.p2align	6, 0x0
	.amdhsa_kernel _ZL29rocblas_internal_gemmt_kernelIiLi16ELi32ELi8ELc78ELc78ELc85ELb0ELb0EdPKdPKS1_PKPdEviT_T9_T10_S7_lS9_S7_lS8_T11_S7_li
		.amdhsa_group_segment_fixed_size 4096
		.amdhsa_private_segment_fixed_size 0
		.amdhsa_kernarg_size 100
		.amdhsa_user_sgpr_count 2
		.amdhsa_user_sgpr_dispatch_ptr 0
		.amdhsa_user_sgpr_queue_ptr 0
		.amdhsa_user_sgpr_kernarg_segment_ptr 1
		.amdhsa_user_sgpr_dispatch_id 0
		.amdhsa_user_sgpr_kernarg_preload_length 0
		.amdhsa_user_sgpr_kernarg_preload_offset 0
		.amdhsa_user_sgpr_private_segment_size 0
		.amdhsa_uses_dynamic_stack 0
		.amdhsa_enable_private_segment 0
		.amdhsa_system_sgpr_workgroup_id_x 1
		.amdhsa_system_sgpr_workgroup_id_y 1
		.amdhsa_system_sgpr_workgroup_id_z 1
		.amdhsa_system_sgpr_workgroup_info 0
		.amdhsa_system_vgpr_workitem_id 1
		.amdhsa_next_free_vgpr 52
		.amdhsa_next_free_sgpr 28
		.amdhsa_accum_offset 52
		.amdhsa_reserve_vcc 1
		.amdhsa_float_round_mode_32 0
		.amdhsa_float_round_mode_16_64 0
		.amdhsa_float_denorm_mode_32 3
		.amdhsa_float_denorm_mode_16_64 3
		.amdhsa_dx10_clamp 1
		.amdhsa_ieee_mode 1
		.amdhsa_fp16_overflow 0
		.amdhsa_tg_split 0
		.amdhsa_exception_fp_ieee_invalid_op 0
		.amdhsa_exception_fp_denorm_src 0
		.amdhsa_exception_fp_ieee_div_zero 0
		.amdhsa_exception_fp_ieee_overflow 0
		.amdhsa_exception_fp_ieee_underflow 0
		.amdhsa_exception_fp_ieee_inexact 0
		.amdhsa_exception_int_div_zero 0
	.end_amdhsa_kernel
	.section	.text._ZL29rocblas_internal_gemmt_kernelIiLi16ELi32ELi8ELc78ELc78ELc85ELb0ELb0EdPKdPKS1_PKPdEviT_T9_T10_S7_lS9_S7_lS8_T11_S7_li,"axG",@progbits,_ZL29rocblas_internal_gemmt_kernelIiLi16ELi32ELi8ELc78ELc78ELc85ELb0ELb0EdPKdPKS1_PKPdEviT_T9_T10_S7_lS9_S7_lS8_T11_S7_li,comdat
.Lfunc_end324:
	.size	_ZL29rocblas_internal_gemmt_kernelIiLi16ELi32ELi8ELc78ELc78ELc85ELb0ELb0EdPKdPKS1_PKPdEviT_T9_T10_S7_lS9_S7_lS8_T11_S7_li, .Lfunc_end324-_ZL29rocblas_internal_gemmt_kernelIiLi16ELi32ELi8ELc78ELc78ELc85ELb0ELb0EdPKdPKS1_PKPdEviT_T9_T10_S7_lS9_S7_lS8_T11_S7_li
                                        ; -- End function
	.set _ZL29rocblas_internal_gemmt_kernelIiLi16ELi32ELi8ELc78ELc78ELc85ELb0ELb0EdPKdPKS1_PKPdEviT_T9_T10_S7_lS9_S7_lS8_T11_S7_li.num_vgpr, 52
	.set _ZL29rocblas_internal_gemmt_kernelIiLi16ELi32ELi8ELc78ELc78ELc85ELb0ELb0EdPKdPKS1_PKPdEviT_T9_T10_S7_lS9_S7_lS8_T11_S7_li.num_agpr, 0
	.set _ZL29rocblas_internal_gemmt_kernelIiLi16ELi32ELi8ELc78ELc78ELc85ELb0ELb0EdPKdPKS1_PKPdEviT_T9_T10_S7_lS9_S7_lS8_T11_S7_li.numbered_sgpr, 28
	.set _ZL29rocblas_internal_gemmt_kernelIiLi16ELi32ELi8ELc78ELc78ELc85ELb0ELb0EdPKdPKS1_PKPdEviT_T9_T10_S7_lS9_S7_lS8_T11_S7_li.num_named_barrier, 0
	.set _ZL29rocblas_internal_gemmt_kernelIiLi16ELi32ELi8ELc78ELc78ELc85ELb0ELb0EdPKdPKS1_PKPdEviT_T9_T10_S7_lS9_S7_lS8_T11_S7_li.private_seg_size, 0
	.set _ZL29rocblas_internal_gemmt_kernelIiLi16ELi32ELi8ELc78ELc78ELc85ELb0ELb0EdPKdPKS1_PKPdEviT_T9_T10_S7_lS9_S7_lS8_T11_S7_li.uses_vcc, 1
	.set _ZL29rocblas_internal_gemmt_kernelIiLi16ELi32ELi8ELc78ELc78ELc85ELb0ELb0EdPKdPKS1_PKPdEviT_T9_T10_S7_lS9_S7_lS8_T11_S7_li.uses_flat_scratch, 0
	.set _ZL29rocblas_internal_gemmt_kernelIiLi16ELi32ELi8ELc78ELc78ELc85ELb0ELb0EdPKdPKS1_PKPdEviT_T9_T10_S7_lS9_S7_lS8_T11_S7_li.has_dyn_sized_stack, 0
	.set _ZL29rocblas_internal_gemmt_kernelIiLi16ELi32ELi8ELc78ELc78ELc85ELb0ELb0EdPKdPKS1_PKPdEviT_T9_T10_S7_lS9_S7_lS8_T11_S7_li.has_recursion, 0
	.set _ZL29rocblas_internal_gemmt_kernelIiLi16ELi32ELi8ELc78ELc78ELc85ELb0ELb0EdPKdPKS1_PKPdEviT_T9_T10_S7_lS9_S7_lS8_T11_S7_li.has_indirect_call, 0
	.section	.AMDGPU.csdata,"",@progbits
; Kernel info:
; codeLenInByte = 1312
; TotalNumSgprs: 34
; NumVgprs: 52
; NumAgprs: 0
; TotalNumVgprs: 52
; ScratchSize: 0
; MemoryBound: 0
; FloatMode: 240
; IeeeMode: 1
; LDSByteSize: 4096 bytes/workgroup (compile time only)
; SGPRBlocks: 4
; VGPRBlocks: 6
; NumSGPRsForWavesPerEU: 34
; NumVGPRsForWavesPerEU: 52
; AccumOffset: 52
; Occupancy: 8
; WaveLimiterHint : 1
; COMPUTE_PGM_RSRC2:SCRATCH_EN: 0
; COMPUTE_PGM_RSRC2:USER_SGPR: 2
; COMPUTE_PGM_RSRC2:TRAP_HANDLER: 0
; COMPUTE_PGM_RSRC2:TGID_X_EN: 1
; COMPUTE_PGM_RSRC2:TGID_Y_EN: 1
; COMPUTE_PGM_RSRC2:TGID_Z_EN: 1
; COMPUTE_PGM_RSRC2:TIDIG_COMP_CNT: 1
; COMPUTE_PGM_RSRC3_GFX90A:ACCUM_OFFSET: 12
; COMPUTE_PGM_RSRC3_GFX90A:TG_SPLIT: 0
	.section	.text._ZL29rocblas_internal_gemmt_kernelIiLi16ELi32ELi8ELc78ELc84ELc85ELb0ELb0EdPKdPKS1_PKPdEviT_T9_T10_S7_lS9_S7_lS8_T11_S7_li,"axG",@progbits,_ZL29rocblas_internal_gemmt_kernelIiLi16ELi32ELi8ELc78ELc84ELc85ELb0ELb0EdPKdPKS1_PKPdEviT_T9_T10_S7_lS9_S7_lS8_T11_S7_li,comdat
	.globl	_ZL29rocblas_internal_gemmt_kernelIiLi16ELi32ELi8ELc78ELc84ELc85ELb0ELb0EdPKdPKS1_PKPdEviT_T9_T10_S7_lS9_S7_lS8_T11_S7_li ; -- Begin function _ZL29rocblas_internal_gemmt_kernelIiLi16ELi32ELi8ELc78ELc84ELc85ELb0ELb0EdPKdPKS1_PKPdEviT_T9_T10_S7_lS9_S7_lS8_T11_S7_li
	.p2align	8
	.type	_ZL29rocblas_internal_gemmt_kernelIiLi16ELi32ELi8ELc78ELc84ELc85ELb0ELb0EdPKdPKS1_PKPdEviT_T9_T10_S7_lS9_S7_lS8_T11_S7_li,@function
_ZL29rocblas_internal_gemmt_kernelIiLi16ELi32ELi8ELc78ELc84ELc85ELb0ELb0EdPKdPKS1_PKPdEviT_T9_T10_S7_lS9_S7_lS8_T11_S7_li: ; @_ZL29rocblas_internal_gemmt_kernelIiLi16ELi32ELi8ELc78ELc84ELc85ELb0ELb0EdPKdPKS1_PKPdEviT_T9_T10_S7_lS9_S7_lS8_T11_S7_li
; %bb.0:
	s_load_dwordx4 s[8:11], s[0:1], 0x38
	s_load_dwordx4 s[12:15], s[0:1], 0x8
	s_waitcnt lgkmcnt(0)
	s_load_dwordx2 s[16:17], s[10:11], 0x0
	s_load_dwordx2 s[20:21], s[0:1], 0x0
	;; [unrolled: 1-line block ×3, first 2 shown]
	s_waitcnt lgkmcnt(0)
	v_cmp_neq_f64_e64 s[6:7], s[16:17], 1.0
	s_and_b64 vcc, exec, s[6:7]
	s_cbranch_vccnz .LBB325_2
; %bb.1:
	s_cmp_lg_u32 s21, 0
	s_cselect_b64 s[6:7], -1, 0
	v_cmp_neq_f64_e64 s[10:11], s[18:19], 0
	s_and_b64 s[6:7], s[6:7], s[10:11]
.LBB325_2:
	s_andn2_b64 vcc, exec, s[6:7]
	s_cbranch_vccnz .LBB325_26
; %bb.3:
	s_load_dwordx2 s[10:11], s[0:1], 0x48
	s_mov_b32 s5, 0
	s_lshl_b64 s[6:7], s[4:5], 3
	v_and_b32_e32 v12, 0x3ff, v0
	v_bfe_u32 v13, v0, 10, 10
	s_waitcnt lgkmcnt(0)
	s_add_u32 s10, s10, s6
	s_addc_u32 s11, s11, s7
	s_load_dwordx2 s[10:11], s[10:11], 0x0
	s_lshl_b32 s4, s2, 5
	s_lshl_b32 s22, s3, 5
	s_cmp_lt_i32 s21, 1
	v_cmp_eq_f64_e64 s[2:3], s[18:19], 0
	s_cselect_b64 s[12:13], -1, 0
	s_or_b64 s[2:3], s[2:3], s[12:13]
	v_mov_b64_e32 v[6:7], 0
	s_and_b64 vcc, exec, s[2:3]
	v_mov_b64_e32 v[4:5], 0
	v_mov_b64_e32 v[2:3], 0
	;; [unrolled: 1-line block ×3, first 2 shown]
	s_cbranch_vccnz .LBB325_10
; %bb.4:
	s_load_dword s12, s[0:1], 0x18
	s_load_dwordx4 s[24:27], s[0:1], 0x20
	s_load_dword s28, s[0:1], 0x30
	v_lshl_add_u32 v1, v13, 4, v12
	v_and_b32_e32 v4, 31, v1
	s_waitcnt lgkmcnt(0)
	s_ashr_i32 s13, s12, 31
	v_lshrrev_b32_e32 v15, 5, v1
	s_ashr_i32 s29, s28, 31
	s_add_u32 s2, s26, s6
	v_lshrrev_b32_e32 v2, 3, v1
	v_or_b32_e32 v1, s4, v4
	s_addc_u32 s3, s27, s7
	v_and_b32_e32 v14, 7, v12
	s_load_dwordx2 s[26:27], s[2:3], 0x0
	s_add_u32 s2, s14, s6
	v_cmp_gt_i32_e32 vcc, s20, v1
	v_lshlrev_b32_e32 v1, 3, v4
	s_addc_u32 s3, s15, s7
	v_lshl_or_b32 v16, v15, 8, v1
	v_lshlrev_b32_e32 v1, 3, v14
	v_add_u32_e32 v0, s22, v2
	s_load_dwordx2 s[6:7], s[2:3], 0x0
	v_lshl_or_b32 v1, v2, 6, v1
	v_mov_b32_e32 v2, 0x800
	v_lshl_add_u32 v19, v13, 6, v2
	v_mad_i64_i32 v[2:3], s[14:15], v15, s12, 0
	s_lshl_b64 s[14:15], s[24:25], 3
	v_add_u32_e32 v4, s4, v4
	v_lshl_add_u64 v[2:3], v[2:3], 3, s[14:15]
	v_ashrrev_i32_e32 v5, 31, v4
	v_lshl_add_u64 v[2:3], v[4:5], 3, v[2:3]
	s_waitcnt lgkmcnt(0)
	v_lshl_add_u64 v[8:9], s[6:7], 0, v[2:3]
	v_mad_i64_i32 v[2:3], s[6:7], s28, v14, 0
	s_lshl_b64 s[6:7], s[8:9], 3
	v_add_u32_e32 v17, 0x800, v1
	v_ashrrev_i32_e32 v1, 31, v0
	v_lshl_add_u64 v[2:3], v[2:3], 3, s[6:7]
	v_cmp_gt_i32_e64 s[2:3], s20, v0
	v_lshl_add_u64 v[0:1], v[0:1], 3, v[2:3]
	v_lshlrev_b32_e32 v18, 3, v12
	s_lshl_b64 s[12:13], s[12:13], 6
	v_lshl_add_u64 v[10:11], s[26:27], 0, v[0:1]
	s_lshl_b64 s[8:9], s[28:29], 6
	v_mov_b64_e32 v[0:1], 0
	v_mov_b64_e32 v[2:3], 0
	v_mov_b64_e32 v[4:5], 0
	v_mov_b64_e32 v[6:7], 0
	s_branch .LBB325_6
.LBB325_5:                              ;   in Loop: Header=BB325_6 Depth=1
	s_or_b64 exec, exec, s[6:7]
	s_waitcnt vmcnt(0) lgkmcnt(0)
	ds_write_b64 v17, v[20:21]
	s_waitcnt lgkmcnt(0)
	s_barrier
	ds_read2_b64 v[20:23], v18 offset1:16
	ds_read_b128 v[24:27], v19
	ds_read_b128 v[28:31], v19 offset:16
	ds_read_b128 v[32:35], v19 offset:32
	;; [unrolled: 1-line block ×4, first 2 shown]
	ds_read2_b64 v[44:47], v18 offset0:32 offset1:48
	s_waitcnt lgkmcnt(5)
	v_fmac_f64_e32 v[6:7], v[20:21], v[24:25]
	v_fmac_f64_e32 v[4:5], v[22:23], v[24:25]
	ds_read_b128 v[48:51], v19 offset:1040
	s_waitcnt lgkmcnt(2)
	v_fmac_f64_e32 v[2:3], v[20:21], v[40:41]
	v_fmac_f64_e32 v[0:1], v[22:23], v[40:41]
	ds_read2_b64 v[20:23], v18 offset0:64 offset1:80
	s_waitcnt lgkmcnt(2)
	v_fmac_f64_e32 v[6:7], v[44:45], v[26:27]
	v_fmac_f64_e32 v[4:5], v[46:47], v[26:27]
	ds_read2_b64 v[24:27], v18 offset0:96 offset1:112
	v_fmac_f64_e32 v[2:3], v[44:45], v[42:43]
	v_fmac_f64_e32 v[0:1], v[46:47], v[42:43]
	s_waitcnt lgkmcnt(1)
	v_fmac_f64_e32 v[6:7], v[20:21], v[28:29]
	v_fmac_f64_e32 v[4:5], v[22:23], v[28:29]
	ds_read_b128 v[40:43], v19 offset:1072
	v_fmac_f64_e32 v[2:3], v[20:21], v[48:49]
	v_fmac_f64_e32 v[0:1], v[22:23], v[48:49]
	s_waitcnt lgkmcnt(1)
	v_fmac_f64_e32 v[6:7], v[24:25], v[30:31]
	ds_read2_b64 v[20:23], v18 offset0:128 offset1:144
	v_fmac_f64_e32 v[4:5], v[26:27], v[30:31]
	v_fmac_f64_e32 v[2:3], v[24:25], v[50:51]
	;; [unrolled: 1-line block ×3, first 2 shown]
	ds_read_b128 v[24:27], v19 offset:1056
	ds_read2_b64 v[28:31], v18 offset0:160 offset1:176
	s_waitcnt lgkmcnt(2)
	v_fmac_f64_e32 v[6:7], v[20:21], v[32:33]
	v_fmac_f64_e32 v[4:5], v[22:23], v[32:33]
	s_add_i32 s5, s5, 8
	s_waitcnt lgkmcnt(1)
	v_fmac_f64_e32 v[2:3], v[20:21], v[24:25]
	v_fmac_f64_e32 v[0:1], v[22:23], v[24:25]
	ds_read2_b64 v[20:23], v18 offset0:192 offset1:208
	s_waitcnt lgkmcnt(1)
	v_fmac_f64_e32 v[2:3], v[28:29], v[26:27]
	v_fmac_f64_e32 v[0:1], v[30:31], v[26:27]
	ds_read2_b64 v[24:27], v18 offset0:224 offset1:240
	v_fmac_f64_e32 v[6:7], v[28:29], v[34:35]
	v_fmac_f64_e32 v[4:5], v[30:31], v[34:35]
	s_waitcnt lgkmcnt(1)
	v_fmac_f64_e32 v[6:7], v[20:21], v[36:37]
	v_fmac_f64_e32 v[4:5], v[22:23], v[36:37]
	;; [unrolled: 1-line block ×4, first 2 shown]
	s_waitcnt lgkmcnt(0)
	v_fmac_f64_e32 v[6:7], v[24:25], v[38:39]
	v_fmac_f64_e32 v[4:5], v[26:27], v[38:39]
	;; [unrolled: 1-line block ×4, first 2 shown]
	v_lshl_add_u64 v[8:9], v[8:9], 0, s[12:13]
	s_cmp_lt_i32 s5, s21
	v_lshl_add_u64 v[10:11], v[10:11], 0, s[8:9]
	s_barrier
	s_cbranch_scc0 .LBB325_10
.LBB325_6:                              ; =>This Inner Loop Header: Depth=1
	v_add_u32_e32 v20, s5, v15
	v_cmp_gt_i32_e64 s[6:7], s21, v20
	s_and_b64 s[14:15], vcc, s[6:7]
	v_mov_b64_e32 v[20:21], 0
	s_and_saveexec_b64 s[6:7], s[14:15]
	s_cbranch_execz .LBB325_8
; %bb.7:                                ;   in Loop: Header=BB325_6 Depth=1
	flat_load_dwordx2 v[20:21], v[8:9]
.LBB325_8:                              ;   in Loop: Header=BB325_6 Depth=1
	s_or_b64 exec, exec, s[6:7]
	s_waitcnt vmcnt(0) lgkmcnt(0)
	ds_write_b64 v16, v[20:21]
	v_add_u32_e32 v20, s5, v14
	v_cmp_gt_i32_e64 s[6:7], s21, v20
	s_and_b64 s[14:15], s[6:7], s[2:3]
	v_mov_b64_e32 v[20:21], 0
	s_and_saveexec_b64 s[6:7], s[14:15]
	s_cbranch_execz .LBB325_5
; %bb.9:                                ;   in Loop: Header=BB325_6 Depth=1
	flat_load_dwordx2 v[20:21], v[10:11]
	s_branch .LBB325_5
.LBB325_10:
	s_load_dwordx2 s[6:7], s[0:1], 0x58
	s_load_dword s8, s[0:1], 0x50
	v_add_u32_e32 v8, s4, v12
	v_add_u32_e32 v14, s22, v13
	v_cmp_gt_i32_e64 s[2:3], s20, v14
	s_waitcnt lgkmcnt(0)
	s_lshl_b64 s[0:1], s[6:7], 3
	s_add_u32 s4, s10, s0
	s_addc_u32 s5, s11, s1
	v_mad_i64_i32 v[10:11], s[0:1], v14, s8, 0
	v_cmp_neq_f64_e64 s[0:1], s[16:17], 0
	v_cmp_le_i32_e32 vcc, v8, v14
	v_lshl_add_u64 v[10:11], v[10:11], 3, s[4:5]
	v_cndmask_b32_e64 v12, 0, 1, s[0:1]
	s_and_b64 s[10:11], s[2:3], vcc
	v_ashrrev_i32_e32 v9, 31, v8
	v_cmp_ne_u32_e64 s[0:1], 1, v12
	s_and_saveexec_b64 s[6:7], s[10:11]
	s_cbranch_execz .LBB325_14
; %bb.11:
	v_mul_f64 v[6:7], s[18:19], v[6:7]
	s_and_b64 vcc, exec, s[0:1]
	v_lshl_add_u64 v[12:13], v[8:9], 3, v[10:11]
	s_cbranch_vccnz .LBB325_13
; %bb.12:
	flat_load_dwordx2 v[16:17], v[12:13]
	s_waitcnt vmcnt(0) lgkmcnt(0)
	v_fmac_f64_e32 v[6:7], s[16:17], v[16:17]
.LBB325_13:
	flat_store_dwordx2 v[12:13], v[6:7]
.LBB325_14:
	s_or_b64 exec, exec, s[6:7]
	v_add_u32_e32 v6, 16, v8
	v_cmp_le_i32_e32 vcc, v6, v14
	s_and_b64 s[6:7], s[2:3], vcc
	v_ashrrev_i32_e32 v7, 31, v6
	s_and_saveexec_b64 s[2:3], s[6:7]
	s_cbranch_execz .LBB325_18
; %bb.15:
	v_mul_f64 v[4:5], s[18:19], v[4:5]
	s_and_b64 vcc, exec, s[0:1]
	v_lshl_add_u64 v[10:11], v[6:7], 3, v[10:11]
	s_cbranch_vccnz .LBB325_17
; %bb.16:
	flat_load_dwordx2 v[12:13], v[10:11]
	s_waitcnt vmcnt(0) lgkmcnt(0)
	v_fmac_f64_e32 v[4:5], s[16:17], v[12:13]
.LBB325_17:
	flat_store_dwordx2 v[10:11], v[4:5]
.LBB325_18:
	s_or_b64 exec, exec, s[2:3]
	v_add_u32_e32 v10, 16, v14
	v_cmp_gt_i32_e64 s[2:3], s20, v10
	v_mad_i64_i32 v[4:5], s[6:7], v10, s8, 0
	v_cmp_le_i32_e32 vcc, v8, v10
	v_lshl_add_u64 v[4:5], v[4:5], 3, s[4:5]
	s_and_b64 s[6:7], s[2:3], vcc
	s_and_saveexec_b64 s[4:5], s[6:7]
	s_cbranch_execz .LBB325_22
; %bb.19:
	v_mul_f64 v[2:3], s[18:19], v[2:3]
	s_and_b64 vcc, exec, s[0:1]
	v_lshl_add_u64 v[8:9], v[8:9], 3, v[4:5]
	s_cbranch_vccnz .LBB325_21
; %bb.20:
	flat_load_dwordx2 v[12:13], v[8:9]
	s_waitcnt vmcnt(0) lgkmcnt(0)
	v_fmac_f64_e32 v[2:3], s[16:17], v[12:13]
.LBB325_21:
	flat_store_dwordx2 v[8:9], v[2:3]
.LBB325_22:
	s_or_b64 exec, exec, s[4:5]
	v_cmp_le_i32_e32 vcc, v6, v10
	s_and_b64 s[2:3], s[2:3], vcc
	s_and_saveexec_b64 s[4:5], s[2:3]
	s_cbranch_execz .LBB325_26
; %bb.23:
	v_mul_f64 v[0:1], s[18:19], v[0:1]
	s_and_b64 vcc, exec, s[0:1]
	v_lshl_add_u64 v[2:3], v[6:7], 3, v[4:5]
	s_cbranch_vccnz .LBB325_25
; %bb.24:
	flat_load_dwordx2 v[4:5], v[2:3]
	s_waitcnt vmcnt(0) lgkmcnt(0)
	v_fmac_f64_e32 v[0:1], s[16:17], v[4:5]
.LBB325_25:
	flat_store_dwordx2 v[2:3], v[0:1]
.LBB325_26:
	s_endpgm
	.section	.rodata,"a",@progbits
	.p2align	6, 0x0
	.amdhsa_kernel _ZL29rocblas_internal_gemmt_kernelIiLi16ELi32ELi8ELc78ELc84ELc85ELb0ELb0EdPKdPKS1_PKPdEviT_T9_T10_S7_lS9_S7_lS8_T11_S7_li
		.amdhsa_group_segment_fixed_size 4096
		.amdhsa_private_segment_fixed_size 0
		.amdhsa_kernarg_size 100
		.amdhsa_user_sgpr_count 2
		.amdhsa_user_sgpr_dispatch_ptr 0
		.amdhsa_user_sgpr_queue_ptr 0
		.amdhsa_user_sgpr_kernarg_segment_ptr 1
		.amdhsa_user_sgpr_dispatch_id 0
		.amdhsa_user_sgpr_kernarg_preload_length 0
		.amdhsa_user_sgpr_kernarg_preload_offset 0
		.amdhsa_user_sgpr_private_segment_size 0
		.amdhsa_uses_dynamic_stack 0
		.amdhsa_enable_private_segment 0
		.amdhsa_system_sgpr_workgroup_id_x 1
		.amdhsa_system_sgpr_workgroup_id_y 1
		.amdhsa_system_sgpr_workgroup_id_z 1
		.amdhsa_system_sgpr_workgroup_info 0
		.amdhsa_system_vgpr_workitem_id 1
		.amdhsa_next_free_vgpr 52
		.amdhsa_next_free_sgpr 30
		.amdhsa_accum_offset 52
		.amdhsa_reserve_vcc 1
		.amdhsa_float_round_mode_32 0
		.amdhsa_float_round_mode_16_64 0
		.amdhsa_float_denorm_mode_32 3
		.amdhsa_float_denorm_mode_16_64 3
		.amdhsa_dx10_clamp 1
		.amdhsa_ieee_mode 1
		.amdhsa_fp16_overflow 0
		.amdhsa_tg_split 0
		.amdhsa_exception_fp_ieee_invalid_op 0
		.amdhsa_exception_fp_denorm_src 0
		.amdhsa_exception_fp_ieee_div_zero 0
		.amdhsa_exception_fp_ieee_overflow 0
		.amdhsa_exception_fp_ieee_underflow 0
		.amdhsa_exception_fp_ieee_inexact 0
		.amdhsa_exception_int_div_zero 0
	.end_amdhsa_kernel
	.section	.text._ZL29rocblas_internal_gemmt_kernelIiLi16ELi32ELi8ELc78ELc84ELc85ELb0ELb0EdPKdPKS1_PKPdEviT_T9_T10_S7_lS9_S7_lS8_T11_S7_li,"axG",@progbits,_ZL29rocblas_internal_gemmt_kernelIiLi16ELi32ELi8ELc78ELc84ELc85ELb0ELb0EdPKdPKS1_PKPdEviT_T9_T10_S7_lS9_S7_lS8_T11_S7_li,comdat
.Lfunc_end325:
	.size	_ZL29rocblas_internal_gemmt_kernelIiLi16ELi32ELi8ELc78ELc84ELc85ELb0ELb0EdPKdPKS1_PKPdEviT_T9_T10_S7_lS9_S7_lS8_T11_S7_li, .Lfunc_end325-_ZL29rocblas_internal_gemmt_kernelIiLi16ELi32ELi8ELc78ELc84ELc85ELb0ELb0EdPKdPKS1_PKPdEviT_T9_T10_S7_lS9_S7_lS8_T11_S7_li
                                        ; -- End function
	.set _ZL29rocblas_internal_gemmt_kernelIiLi16ELi32ELi8ELc78ELc84ELc85ELb0ELb0EdPKdPKS1_PKPdEviT_T9_T10_S7_lS9_S7_lS8_T11_S7_li.num_vgpr, 52
	.set _ZL29rocblas_internal_gemmt_kernelIiLi16ELi32ELi8ELc78ELc84ELc85ELb0ELb0EdPKdPKS1_PKPdEviT_T9_T10_S7_lS9_S7_lS8_T11_S7_li.num_agpr, 0
	.set _ZL29rocblas_internal_gemmt_kernelIiLi16ELi32ELi8ELc78ELc84ELc85ELb0ELb0EdPKdPKS1_PKPdEviT_T9_T10_S7_lS9_S7_lS8_T11_S7_li.numbered_sgpr, 30
	.set _ZL29rocblas_internal_gemmt_kernelIiLi16ELi32ELi8ELc78ELc84ELc85ELb0ELb0EdPKdPKS1_PKPdEviT_T9_T10_S7_lS9_S7_lS8_T11_S7_li.num_named_barrier, 0
	.set _ZL29rocblas_internal_gemmt_kernelIiLi16ELi32ELi8ELc78ELc84ELc85ELb0ELb0EdPKdPKS1_PKPdEviT_T9_T10_S7_lS9_S7_lS8_T11_S7_li.private_seg_size, 0
	.set _ZL29rocblas_internal_gemmt_kernelIiLi16ELi32ELi8ELc78ELc84ELc85ELb0ELb0EdPKdPKS1_PKPdEviT_T9_T10_S7_lS9_S7_lS8_T11_S7_li.uses_vcc, 1
	.set _ZL29rocblas_internal_gemmt_kernelIiLi16ELi32ELi8ELc78ELc84ELc85ELb0ELb0EdPKdPKS1_PKPdEviT_T9_T10_S7_lS9_S7_lS8_T11_S7_li.uses_flat_scratch, 0
	.set _ZL29rocblas_internal_gemmt_kernelIiLi16ELi32ELi8ELc78ELc84ELc85ELb0ELb0EdPKdPKS1_PKPdEviT_T9_T10_S7_lS9_S7_lS8_T11_S7_li.has_dyn_sized_stack, 0
	.set _ZL29rocblas_internal_gemmt_kernelIiLi16ELi32ELi8ELc78ELc84ELc85ELb0ELb0EdPKdPKS1_PKPdEviT_T9_T10_S7_lS9_S7_lS8_T11_S7_li.has_recursion, 0
	.set _ZL29rocblas_internal_gemmt_kernelIiLi16ELi32ELi8ELc78ELc84ELc85ELb0ELb0EdPKdPKS1_PKPdEviT_T9_T10_S7_lS9_S7_lS8_T11_S7_li.has_indirect_call, 0
	.section	.AMDGPU.csdata,"",@progbits
; Kernel info:
; codeLenInByte = 1320
; TotalNumSgprs: 36
; NumVgprs: 52
; NumAgprs: 0
; TotalNumVgprs: 52
; ScratchSize: 0
; MemoryBound: 0
; FloatMode: 240
; IeeeMode: 1
; LDSByteSize: 4096 bytes/workgroup (compile time only)
; SGPRBlocks: 4
; VGPRBlocks: 6
; NumSGPRsForWavesPerEU: 36
; NumVGPRsForWavesPerEU: 52
; AccumOffset: 52
; Occupancy: 8
; WaveLimiterHint : 1
; COMPUTE_PGM_RSRC2:SCRATCH_EN: 0
; COMPUTE_PGM_RSRC2:USER_SGPR: 2
; COMPUTE_PGM_RSRC2:TRAP_HANDLER: 0
; COMPUTE_PGM_RSRC2:TGID_X_EN: 1
; COMPUTE_PGM_RSRC2:TGID_Y_EN: 1
; COMPUTE_PGM_RSRC2:TGID_Z_EN: 1
; COMPUTE_PGM_RSRC2:TIDIG_COMP_CNT: 1
; COMPUTE_PGM_RSRC3_GFX90A:ACCUM_OFFSET: 12
; COMPUTE_PGM_RSRC3_GFX90A:TG_SPLIT: 0
	.section	.text._ZL29rocblas_internal_gemmt_kernelIiLi16ELi32ELi8ELc78ELc67ELc85ELb0ELb0EdPKdPKS1_PKPdEviT_T9_T10_S7_lS9_S7_lS8_T11_S7_li,"axG",@progbits,_ZL29rocblas_internal_gemmt_kernelIiLi16ELi32ELi8ELc78ELc67ELc85ELb0ELb0EdPKdPKS1_PKPdEviT_T9_T10_S7_lS9_S7_lS8_T11_S7_li,comdat
	.globl	_ZL29rocblas_internal_gemmt_kernelIiLi16ELi32ELi8ELc78ELc67ELc85ELb0ELb0EdPKdPKS1_PKPdEviT_T9_T10_S7_lS9_S7_lS8_T11_S7_li ; -- Begin function _ZL29rocblas_internal_gemmt_kernelIiLi16ELi32ELi8ELc78ELc67ELc85ELb0ELb0EdPKdPKS1_PKPdEviT_T9_T10_S7_lS9_S7_lS8_T11_S7_li
	.p2align	8
	.type	_ZL29rocblas_internal_gemmt_kernelIiLi16ELi32ELi8ELc78ELc67ELc85ELb0ELb0EdPKdPKS1_PKPdEviT_T9_T10_S7_lS9_S7_lS8_T11_S7_li,@function
_ZL29rocblas_internal_gemmt_kernelIiLi16ELi32ELi8ELc78ELc67ELc85ELb0ELb0EdPKdPKS1_PKPdEviT_T9_T10_S7_lS9_S7_lS8_T11_S7_li: ; @_ZL29rocblas_internal_gemmt_kernelIiLi16ELi32ELi8ELc78ELc67ELc85ELb0ELb0EdPKdPKS1_PKPdEviT_T9_T10_S7_lS9_S7_lS8_T11_S7_li
; %bb.0:
	s_load_dwordx4 s[8:11], s[0:1], 0x38
	s_load_dwordx4 s[12:15], s[0:1], 0x8
	s_waitcnt lgkmcnt(0)
	s_load_dwordx2 s[16:17], s[10:11], 0x0
	s_load_dwordx2 s[20:21], s[0:1], 0x0
	;; [unrolled: 1-line block ×3, first 2 shown]
	s_waitcnt lgkmcnt(0)
	v_cmp_neq_f64_e64 s[6:7], s[16:17], 1.0
	s_and_b64 vcc, exec, s[6:7]
	s_cbranch_vccnz .LBB326_2
; %bb.1:
	s_cmp_lg_u32 s21, 0
	s_cselect_b64 s[6:7], -1, 0
	v_cmp_neq_f64_e64 s[10:11], s[18:19], 0
	s_and_b64 s[6:7], s[6:7], s[10:11]
.LBB326_2:
	s_andn2_b64 vcc, exec, s[6:7]
	s_cbranch_vccnz .LBB326_26
; %bb.3:
	s_load_dwordx2 s[10:11], s[0:1], 0x48
	s_mov_b32 s5, 0
	s_lshl_b64 s[6:7], s[4:5], 3
	v_and_b32_e32 v12, 0x3ff, v0
	v_bfe_u32 v13, v0, 10, 10
	s_waitcnt lgkmcnt(0)
	s_add_u32 s10, s10, s6
	s_addc_u32 s11, s11, s7
	s_load_dwordx2 s[10:11], s[10:11], 0x0
	s_lshl_b32 s4, s2, 5
	s_lshl_b32 s22, s3, 5
	s_cmp_lt_i32 s21, 1
	v_cmp_eq_f64_e64 s[2:3], s[18:19], 0
	s_cselect_b64 s[12:13], -1, 0
	s_or_b64 s[2:3], s[2:3], s[12:13]
	v_mov_b64_e32 v[6:7], 0
	s_and_b64 vcc, exec, s[2:3]
	v_mov_b64_e32 v[4:5], 0
	v_mov_b64_e32 v[2:3], 0
	;; [unrolled: 1-line block ×3, first 2 shown]
	s_cbranch_vccnz .LBB326_10
; %bb.4:
	s_load_dword s12, s[0:1], 0x18
	s_load_dwordx4 s[24:27], s[0:1], 0x20
	s_load_dword s28, s[0:1], 0x30
	v_lshl_add_u32 v1, v13, 4, v12
	v_and_b32_e32 v4, 31, v1
	s_waitcnt lgkmcnt(0)
	s_ashr_i32 s13, s12, 31
	v_lshrrev_b32_e32 v15, 5, v1
	s_ashr_i32 s29, s28, 31
	s_add_u32 s2, s26, s6
	v_lshrrev_b32_e32 v2, 3, v1
	v_or_b32_e32 v1, s4, v4
	s_addc_u32 s3, s27, s7
	v_and_b32_e32 v14, 7, v12
	s_load_dwordx2 s[26:27], s[2:3], 0x0
	s_add_u32 s2, s14, s6
	v_cmp_gt_i32_e32 vcc, s20, v1
	v_lshlrev_b32_e32 v1, 3, v4
	s_addc_u32 s3, s15, s7
	v_lshl_or_b32 v16, v15, 8, v1
	v_lshlrev_b32_e32 v1, 3, v14
	v_add_u32_e32 v0, s22, v2
	s_load_dwordx2 s[6:7], s[2:3], 0x0
	v_lshl_or_b32 v1, v2, 6, v1
	v_mov_b32_e32 v2, 0x800
	v_lshl_add_u32 v19, v13, 6, v2
	v_mad_i64_i32 v[2:3], s[14:15], v15, s12, 0
	s_lshl_b64 s[14:15], s[24:25], 3
	v_add_u32_e32 v4, s4, v4
	v_lshl_add_u64 v[2:3], v[2:3], 3, s[14:15]
	v_ashrrev_i32_e32 v5, 31, v4
	v_lshl_add_u64 v[2:3], v[4:5], 3, v[2:3]
	s_waitcnt lgkmcnt(0)
	v_lshl_add_u64 v[8:9], s[6:7], 0, v[2:3]
	v_mad_i64_i32 v[2:3], s[6:7], s28, v14, 0
	s_lshl_b64 s[6:7], s[8:9], 3
	v_add_u32_e32 v17, 0x800, v1
	v_ashrrev_i32_e32 v1, 31, v0
	v_lshl_add_u64 v[2:3], v[2:3], 3, s[6:7]
	v_cmp_gt_i32_e64 s[2:3], s20, v0
	v_lshl_add_u64 v[0:1], v[0:1], 3, v[2:3]
	v_lshlrev_b32_e32 v18, 3, v12
	s_lshl_b64 s[12:13], s[12:13], 6
	v_lshl_add_u64 v[10:11], s[26:27], 0, v[0:1]
	s_lshl_b64 s[8:9], s[28:29], 6
	v_mov_b64_e32 v[0:1], 0
	v_mov_b64_e32 v[2:3], 0
	;; [unrolled: 1-line block ×4, first 2 shown]
	s_branch .LBB326_6
.LBB326_5:                              ;   in Loop: Header=BB326_6 Depth=1
	s_or_b64 exec, exec, s[6:7]
	s_waitcnt vmcnt(0) lgkmcnt(0)
	ds_write_b64 v17, v[20:21]
	s_waitcnt lgkmcnt(0)
	s_barrier
	ds_read2_b64 v[20:23], v18 offset1:16
	ds_read_b128 v[24:27], v19
	ds_read_b128 v[28:31], v19 offset:16
	ds_read_b128 v[32:35], v19 offset:32
	;; [unrolled: 1-line block ×4, first 2 shown]
	ds_read2_b64 v[44:47], v18 offset0:32 offset1:48
	s_waitcnt lgkmcnt(5)
	v_fmac_f64_e32 v[6:7], v[20:21], v[24:25]
	v_fmac_f64_e32 v[4:5], v[22:23], v[24:25]
	ds_read_b128 v[48:51], v19 offset:1040
	s_waitcnt lgkmcnt(2)
	v_fmac_f64_e32 v[2:3], v[20:21], v[40:41]
	v_fmac_f64_e32 v[0:1], v[22:23], v[40:41]
	ds_read2_b64 v[20:23], v18 offset0:64 offset1:80
	s_waitcnt lgkmcnt(2)
	v_fmac_f64_e32 v[6:7], v[44:45], v[26:27]
	v_fmac_f64_e32 v[4:5], v[46:47], v[26:27]
	ds_read2_b64 v[24:27], v18 offset0:96 offset1:112
	v_fmac_f64_e32 v[2:3], v[44:45], v[42:43]
	v_fmac_f64_e32 v[0:1], v[46:47], v[42:43]
	s_waitcnt lgkmcnt(1)
	v_fmac_f64_e32 v[6:7], v[20:21], v[28:29]
	v_fmac_f64_e32 v[4:5], v[22:23], v[28:29]
	ds_read_b128 v[40:43], v19 offset:1072
	v_fmac_f64_e32 v[2:3], v[20:21], v[48:49]
	v_fmac_f64_e32 v[0:1], v[22:23], v[48:49]
	s_waitcnt lgkmcnt(1)
	v_fmac_f64_e32 v[6:7], v[24:25], v[30:31]
	ds_read2_b64 v[20:23], v18 offset0:128 offset1:144
	v_fmac_f64_e32 v[4:5], v[26:27], v[30:31]
	v_fmac_f64_e32 v[2:3], v[24:25], v[50:51]
	;; [unrolled: 1-line block ×3, first 2 shown]
	ds_read_b128 v[24:27], v19 offset:1056
	ds_read2_b64 v[28:31], v18 offset0:160 offset1:176
	s_waitcnt lgkmcnt(2)
	v_fmac_f64_e32 v[6:7], v[20:21], v[32:33]
	v_fmac_f64_e32 v[4:5], v[22:23], v[32:33]
	s_add_i32 s5, s5, 8
	s_waitcnt lgkmcnt(1)
	v_fmac_f64_e32 v[2:3], v[20:21], v[24:25]
	v_fmac_f64_e32 v[0:1], v[22:23], v[24:25]
	ds_read2_b64 v[20:23], v18 offset0:192 offset1:208
	s_waitcnt lgkmcnt(1)
	v_fmac_f64_e32 v[2:3], v[28:29], v[26:27]
	v_fmac_f64_e32 v[0:1], v[30:31], v[26:27]
	ds_read2_b64 v[24:27], v18 offset0:224 offset1:240
	v_fmac_f64_e32 v[6:7], v[28:29], v[34:35]
	v_fmac_f64_e32 v[4:5], v[30:31], v[34:35]
	s_waitcnt lgkmcnt(1)
	v_fmac_f64_e32 v[6:7], v[20:21], v[36:37]
	v_fmac_f64_e32 v[4:5], v[22:23], v[36:37]
	v_fmac_f64_e32 v[2:3], v[20:21], v[40:41]
	v_fmac_f64_e32 v[0:1], v[22:23], v[40:41]
	s_waitcnt lgkmcnt(0)
	v_fmac_f64_e32 v[6:7], v[24:25], v[38:39]
	v_fmac_f64_e32 v[4:5], v[26:27], v[38:39]
	v_fmac_f64_e32 v[2:3], v[24:25], v[42:43]
	v_fmac_f64_e32 v[0:1], v[26:27], v[42:43]
	v_lshl_add_u64 v[8:9], v[8:9], 0, s[12:13]
	s_cmp_lt_i32 s5, s21
	v_lshl_add_u64 v[10:11], v[10:11], 0, s[8:9]
	s_barrier
	s_cbranch_scc0 .LBB326_10
.LBB326_6:                              ; =>This Inner Loop Header: Depth=1
	v_add_u32_e32 v20, s5, v15
	v_cmp_gt_i32_e64 s[6:7], s21, v20
	s_and_b64 s[14:15], vcc, s[6:7]
	v_mov_b64_e32 v[20:21], 0
	s_and_saveexec_b64 s[6:7], s[14:15]
	s_cbranch_execz .LBB326_8
; %bb.7:                                ;   in Loop: Header=BB326_6 Depth=1
	flat_load_dwordx2 v[20:21], v[8:9]
.LBB326_8:                              ;   in Loop: Header=BB326_6 Depth=1
	s_or_b64 exec, exec, s[6:7]
	s_waitcnt vmcnt(0) lgkmcnt(0)
	ds_write_b64 v16, v[20:21]
	v_add_u32_e32 v20, s5, v14
	v_cmp_gt_i32_e64 s[6:7], s21, v20
	s_and_b64 s[14:15], s[6:7], s[2:3]
	v_mov_b64_e32 v[20:21], 0
	s_and_saveexec_b64 s[6:7], s[14:15]
	s_cbranch_execz .LBB326_5
; %bb.9:                                ;   in Loop: Header=BB326_6 Depth=1
	flat_load_dwordx2 v[20:21], v[10:11]
	s_branch .LBB326_5
.LBB326_10:
	s_load_dwordx2 s[6:7], s[0:1], 0x58
	s_load_dword s8, s[0:1], 0x50
	v_add_u32_e32 v8, s4, v12
	v_add_u32_e32 v14, s22, v13
	v_cmp_gt_i32_e64 s[2:3], s20, v14
	s_waitcnt lgkmcnt(0)
	s_lshl_b64 s[0:1], s[6:7], 3
	s_add_u32 s4, s10, s0
	s_addc_u32 s5, s11, s1
	v_mad_i64_i32 v[10:11], s[0:1], v14, s8, 0
	v_cmp_neq_f64_e64 s[0:1], s[16:17], 0
	v_cmp_le_i32_e32 vcc, v8, v14
	v_lshl_add_u64 v[10:11], v[10:11], 3, s[4:5]
	v_cndmask_b32_e64 v12, 0, 1, s[0:1]
	s_and_b64 s[10:11], s[2:3], vcc
	v_ashrrev_i32_e32 v9, 31, v8
	v_cmp_ne_u32_e64 s[0:1], 1, v12
	s_and_saveexec_b64 s[6:7], s[10:11]
	s_cbranch_execz .LBB326_14
; %bb.11:
	v_mul_f64 v[6:7], s[18:19], v[6:7]
	s_and_b64 vcc, exec, s[0:1]
	v_lshl_add_u64 v[12:13], v[8:9], 3, v[10:11]
	s_cbranch_vccnz .LBB326_13
; %bb.12:
	flat_load_dwordx2 v[16:17], v[12:13]
	s_waitcnt vmcnt(0) lgkmcnt(0)
	v_fmac_f64_e32 v[6:7], s[16:17], v[16:17]
.LBB326_13:
	flat_store_dwordx2 v[12:13], v[6:7]
.LBB326_14:
	s_or_b64 exec, exec, s[6:7]
	v_add_u32_e32 v6, 16, v8
	v_cmp_le_i32_e32 vcc, v6, v14
	s_and_b64 s[6:7], s[2:3], vcc
	v_ashrrev_i32_e32 v7, 31, v6
	s_and_saveexec_b64 s[2:3], s[6:7]
	s_cbranch_execz .LBB326_18
; %bb.15:
	v_mul_f64 v[4:5], s[18:19], v[4:5]
	s_and_b64 vcc, exec, s[0:1]
	v_lshl_add_u64 v[10:11], v[6:7], 3, v[10:11]
	s_cbranch_vccnz .LBB326_17
; %bb.16:
	flat_load_dwordx2 v[12:13], v[10:11]
	s_waitcnt vmcnt(0) lgkmcnt(0)
	v_fmac_f64_e32 v[4:5], s[16:17], v[12:13]
.LBB326_17:
	flat_store_dwordx2 v[10:11], v[4:5]
.LBB326_18:
	s_or_b64 exec, exec, s[2:3]
	v_add_u32_e32 v10, 16, v14
	v_cmp_gt_i32_e64 s[2:3], s20, v10
	v_mad_i64_i32 v[4:5], s[6:7], v10, s8, 0
	v_cmp_le_i32_e32 vcc, v8, v10
	v_lshl_add_u64 v[4:5], v[4:5], 3, s[4:5]
	s_and_b64 s[6:7], s[2:3], vcc
	s_and_saveexec_b64 s[4:5], s[6:7]
	s_cbranch_execz .LBB326_22
; %bb.19:
	v_mul_f64 v[2:3], s[18:19], v[2:3]
	s_and_b64 vcc, exec, s[0:1]
	v_lshl_add_u64 v[8:9], v[8:9], 3, v[4:5]
	s_cbranch_vccnz .LBB326_21
; %bb.20:
	flat_load_dwordx2 v[12:13], v[8:9]
	s_waitcnt vmcnt(0) lgkmcnt(0)
	v_fmac_f64_e32 v[2:3], s[16:17], v[12:13]
.LBB326_21:
	flat_store_dwordx2 v[8:9], v[2:3]
.LBB326_22:
	s_or_b64 exec, exec, s[4:5]
	v_cmp_le_i32_e32 vcc, v6, v10
	s_and_b64 s[2:3], s[2:3], vcc
	s_and_saveexec_b64 s[4:5], s[2:3]
	s_cbranch_execz .LBB326_26
; %bb.23:
	v_mul_f64 v[0:1], s[18:19], v[0:1]
	s_and_b64 vcc, exec, s[0:1]
	v_lshl_add_u64 v[2:3], v[6:7], 3, v[4:5]
	s_cbranch_vccnz .LBB326_25
; %bb.24:
	flat_load_dwordx2 v[4:5], v[2:3]
	s_waitcnt vmcnt(0) lgkmcnt(0)
	v_fmac_f64_e32 v[0:1], s[16:17], v[4:5]
.LBB326_25:
	flat_store_dwordx2 v[2:3], v[0:1]
.LBB326_26:
	s_endpgm
	.section	.rodata,"a",@progbits
	.p2align	6, 0x0
	.amdhsa_kernel _ZL29rocblas_internal_gemmt_kernelIiLi16ELi32ELi8ELc78ELc67ELc85ELb0ELb0EdPKdPKS1_PKPdEviT_T9_T10_S7_lS9_S7_lS8_T11_S7_li
		.amdhsa_group_segment_fixed_size 4096
		.amdhsa_private_segment_fixed_size 0
		.amdhsa_kernarg_size 100
		.amdhsa_user_sgpr_count 2
		.amdhsa_user_sgpr_dispatch_ptr 0
		.amdhsa_user_sgpr_queue_ptr 0
		.amdhsa_user_sgpr_kernarg_segment_ptr 1
		.amdhsa_user_sgpr_dispatch_id 0
		.amdhsa_user_sgpr_kernarg_preload_length 0
		.amdhsa_user_sgpr_kernarg_preload_offset 0
		.amdhsa_user_sgpr_private_segment_size 0
		.amdhsa_uses_dynamic_stack 0
		.amdhsa_enable_private_segment 0
		.amdhsa_system_sgpr_workgroup_id_x 1
		.amdhsa_system_sgpr_workgroup_id_y 1
		.amdhsa_system_sgpr_workgroup_id_z 1
		.amdhsa_system_sgpr_workgroup_info 0
		.amdhsa_system_vgpr_workitem_id 1
		.amdhsa_next_free_vgpr 52
		.amdhsa_next_free_sgpr 30
		.amdhsa_accum_offset 52
		.amdhsa_reserve_vcc 1
		.amdhsa_float_round_mode_32 0
		.amdhsa_float_round_mode_16_64 0
		.amdhsa_float_denorm_mode_32 3
		.amdhsa_float_denorm_mode_16_64 3
		.amdhsa_dx10_clamp 1
		.amdhsa_ieee_mode 1
		.amdhsa_fp16_overflow 0
		.amdhsa_tg_split 0
		.amdhsa_exception_fp_ieee_invalid_op 0
		.amdhsa_exception_fp_denorm_src 0
		.amdhsa_exception_fp_ieee_div_zero 0
		.amdhsa_exception_fp_ieee_overflow 0
		.amdhsa_exception_fp_ieee_underflow 0
		.amdhsa_exception_fp_ieee_inexact 0
		.amdhsa_exception_int_div_zero 0
	.end_amdhsa_kernel
	.section	.text._ZL29rocblas_internal_gemmt_kernelIiLi16ELi32ELi8ELc78ELc67ELc85ELb0ELb0EdPKdPKS1_PKPdEviT_T9_T10_S7_lS9_S7_lS8_T11_S7_li,"axG",@progbits,_ZL29rocblas_internal_gemmt_kernelIiLi16ELi32ELi8ELc78ELc67ELc85ELb0ELb0EdPKdPKS1_PKPdEviT_T9_T10_S7_lS9_S7_lS8_T11_S7_li,comdat
.Lfunc_end326:
	.size	_ZL29rocblas_internal_gemmt_kernelIiLi16ELi32ELi8ELc78ELc67ELc85ELb0ELb0EdPKdPKS1_PKPdEviT_T9_T10_S7_lS9_S7_lS8_T11_S7_li, .Lfunc_end326-_ZL29rocblas_internal_gemmt_kernelIiLi16ELi32ELi8ELc78ELc67ELc85ELb0ELb0EdPKdPKS1_PKPdEviT_T9_T10_S7_lS9_S7_lS8_T11_S7_li
                                        ; -- End function
	.set _ZL29rocblas_internal_gemmt_kernelIiLi16ELi32ELi8ELc78ELc67ELc85ELb0ELb0EdPKdPKS1_PKPdEviT_T9_T10_S7_lS9_S7_lS8_T11_S7_li.num_vgpr, 52
	.set _ZL29rocblas_internal_gemmt_kernelIiLi16ELi32ELi8ELc78ELc67ELc85ELb0ELb0EdPKdPKS1_PKPdEviT_T9_T10_S7_lS9_S7_lS8_T11_S7_li.num_agpr, 0
	.set _ZL29rocblas_internal_gemmt_kernelIiLi16ELi32ELi8ELc78ELc67ELc85ELb0ELb0EdPKdPKS1_PKPdEviT_T9_T10_S7_lS9_S7_lS8_T11_S7_li.numbered_sgpr, 30
	.set _ZL29rocblas_internal_gemmt_kernelIiLi16ELi32ELi8ELc78ELc67ELc85ELb0ELb0EdPKdPKS1_PKPdEviT_T9_T10_S7_lS9_S7_lS8_T11_S7_li.num_named_barrier, 0
	.set _ZL29rocblas_internal_gemmt_kernelIiLi16ELi32ELi8ELc78ELc67ELc85ELb0ELb0EdPKdPKS1_PKPdEviT_T9_T10_S7_lS9_S7_lS8_T11_S7_li.private_seg_size, 0
	.set _ZL29rocblas_internal_gemmt_kernelIiLi16ELi32ELi8ELc78ELc67ELc85ELb0ELb0EdPKdPKS1_PKPdEviT_T9_T10_S7_lS9_S7_lS8_T11_S7_li.uses_vcc, 1
	.set _ZL29rocblas_internal_gemmt_kernelIiLi16ELi32ELi8ELc78ELc67ELc85ELb0ELb0EdPKdPKS1_PKPdEviT_T9_T10_S7_lS9_S7_lS8_T11_S7_li.uses_flat_scratch, 0
	.set _ZL29rocblas_internal_gemmt_kernelIiLi16ELi32ELi8ELc78ELc67ELc85ELb0ELb0EdPKdPKS1_PKPdEviT_T9_T10_S7_lS9_S7_lS8_T11_S7_li.has_dyn_sized_stack, 0
	.set _ZL29rocblas_internal_gemmt_kernelIiLi16ELi32ELi8ELc78ELc67ELc85ELb0ELb0EdPKdPKS1_PKPdEviT_T9_T10_S7_lS9_S7_lS8_T11_S7_li.has_recursion, 0
	.set _ZL29rocblas_internal_gemmt_kernelIiLi16ELi32ELi8ELc78ELc67ELc85ELb0ELb0EdPKdPKS1_PKPdEviT_T9_T10_S7_lS9_S7_lS8_T11_S7_li.has_indirect_call, 0
	.section	.AMDGPU.csdata,"",@progbits
; Kernel info:
; codeLenInByte = 1320
; TotalNumSgprs: 36
; NumVgprs: 52
; NumAgprs: 0
; TotalNumVgprs: 52
; ScratchSize: 0
; MemoryBound: 0
; FloatMode: 240
; IeeeMode: 1
; LDSByteSize: 4096 bytes/workgroup (compile time only)
; SGPRBlocks: 4
; VGPRBlocks: 6
; NumSGPRsForWavesPerEU: 36
; NumVGPRsForWavesPerEU: 52
; AccumOffset: 52
; Occupancy: 8
; WaveLimiterHint : 1
; COMPUTE_PGM_RSRC2:SCRATCH_EN: 0
; COMPUTE_PGM_RSRC2:USER_SGPR: 2
; COMPUTE_PGM_RSRC2:TRAP_HANDLER: 0
; COMPUTE_PGM_RSRC2:TGID_X_EN: 1
; COMPUTE_PGM_RSRC2:TGID_Y_EN: 1
; COMPUTE_PGM_RSRC2:TGID_Z_EN: 1
; COMPUTE_PGM_RSRC2:TIDIG_COMP_CNT: 1
; COMPUTE_PGM_RSRC3_GFX90A:ACCUM_OFFSET: 12
; COMPUTE_PGM_RSRC3_GFX90A:TG_SPLIT: 0
	.section	.text._ZL29rocblas_internal_gemmt_kernelIiLi16ELi32ELi8ELc84ELc78ELc85ELb0ELb0EdPKdPKS1_PKPdEviT_T9_T10_S7_lS9_S7_lS8_T11_S7_li,"axG",@progbits,_ZL29rocblas_internal_gemmt_kernelIiLi16ELi32ELi8ELc84ELc78ELc85ELb0ELb0EdPKdPKS1_PKPdEviT_T9_T10_S7_lS9_S7_lS8_T11_S7_li,comdat
	.globl	_ZL29rocblas_internal_gemmt_kernelIiLi16ELi32ELi8ELc84ELc78ELc85ELb0ELb0EdPKdPKS1_PKPdEviT_T9_T10_S7_lS9_S7_lS8_T11_S7_li ; -- Begin function _ZL29rocblas_internal_gemmt_kernelIiLi16ELi32ELi8ELc84ELc78ELc85ELb0ELb0EdPKdPKS1_PKPdEviT_T9_T10_S7_lS9_S7_lS8_T11_S7_li
	.p2align	8
	.type	_ZL29rocblas_internal_gemmt_kernelIiLi16ELi32ELi8ELc84ELc78ELc85ELb0ELb0EdPKdPKS1_PKPdEviT_T9_T10_S7_lS9_S7_lS8_T11_S7_li,@function
_ZL29rocblas_internal_gemmt_kernelIiLi16ELi32ELi8ELc84ELc78ELc85ELb0ELb0EdPKdPKS1_PKPdEviT_T9_T10_S7_lS9_S7_lS8_T11_S7_li: ; @_ZL29rocblas_internal_gemmt_kernelIiLi16ELi32ELi8ELc84ELc78ELc85ELb0ELb0EdPKdPKS1_PKPdEviT_T9_T10_S7_lS9_S7_lS8_T11_S7_li
; %bb.0:
	s_load_dwordx4 s[8:11], s[0:1], 0x38
	s_load_dwordx4 s[12:15], s[0:1], 0x8
	s_waitcnt lgkmcnt(0)
	s_load_dwordx2 s[16:17], s[10:11], 0x0
	s_load_dwordx2 s[20:21], s[0:1], 0x0
	;; [unrolled: 1-line block ×3, first 2 shown]
	s_waitcnt lgkmcnt(0)
	v_cmp_neq_f64_e64 s[6:7], s[16:17], 1.0
	s_and_b64 vcc, exec, s[6:7]
	s_cbranch_vccnz .LBB327_2
; %bb.1:
	s_cmp_lg_u32 s21, 0
	s_cselect_b64 s[6:7], -1, 0
	v_cmp_neq_f64_e64 s[10:11], s[18:19], 0
	s_and_b64 s[6:7], s[6:7], s[10:11]
.LBB327_2:
	s_andn2_b64 vcc, exec, s[6:7]
	s_cbranch_vccnz .LBB327_26
; %bb.3:
	s_load_dwordx2 s[10:11], s[0:1], 0x48
	s_mov_b32 s5, 0
	s_lshl_b64 s[6:7], s[4:5], 3
	v_and_b32_e32 v12, 0x3ff, v0
	v_bfe_u32 v13, v0, 10, 10
	s_waitcnt lgkmcnt(0)
	s_add_u32 s10, s10, s6
	s_addc_u32 s11, s11, s7
	s_load_dwordx2 s[10:11], s[10:11], 0x0
	s_lshl_b32 s4, s2, 5
	s_lshl_b32 s12, s3, 5
	s_cmp_lt_i32 s21, 1
	v_cmp_eq_f64_e64 s[2:3], s[18:19], 0
	s_cselect_b64 s[22:23], -1, 0
	s_or_b64 s[2:3], s[2:3], s[22:23]
	v_mov_b64_e32 v[6:7], 0
	s_and_b64 vcc, exec, s[2:3]
	v_mov_b64_e32 v[4:5], 0
	v_mov_b64_e32 v[2:3], 0
	;; [unrolled: 1-line block ×3, first 2 shown]
	s_cbranch_vccnz .LBB327_10
; %bb.4:
	s_load_dword s13, s[0:1], 0x18
	s_load_dwordx4 s[24:27], s[0:1], 0x20
	s_load_dword s28, s[0:1], 0x30
	v_lshl_add_u32 v0, v13, 4, v12
	v_and_b32_e32 v2, 31, v0
	v_lshrrev_b32_e32 v15, 5, v0
	v_lshrrev_b32_e32 v1, 3, v0
	v_or_b32_e32 v0, s4, v2
	v_and_b32_e32 v14, 7, v12
	s_waitcnt lgkmcnt(0)
	s_add_u32 s2, s26, s6
	v_cmp_gt_i32_e32 vcc, s20, v0
	v_lshlrev_b32_e32 v0, 3, v2
	s_addc_u32 s3, s27, s7
	v_lshl_or_b32 v16, v15, 8, v0
	v_lshlrev_b32_e32 v0, 3, v14
	v_add_u32_e32 v6, s12, v1
	s_load_dwordx2 s[22:23], s[2:3], 0x0
	s_add_u32 s2, s14, s6
	v_lshl_or_b32 v1, v1, 6, v0
	s_addc_u32 s3, s15, s7
	v_add_u32_e32 v17, 0x800, v1
	v_mov_b32_e32 v1, 0x800
	s_load_dwordx2 s[6:7], s[2:3], 0x0
	v_lshl_add_u32 v19, v13, 6, v1
	v_add_u32_e32 v1, s4, v2
	v_mad_i64_i32 v[2:3], s[14:15], s13, v1, 0
	s_lshl_b64 s[14:15], s[24:25], 3
	s_nop 0
	v_lshl_add_u64 v[2:3], v[2:3], 3, s[14:15]
	v_lshlrev_b32_e32 v4, 3, v15
	v_mov_b32_e32 v5, 0
	v_lshl_add_u64 v[2:3], v[2:3], 0, v[4:5]
	s_waitcnt lgkmcnt(0)
	v_lshl_add_u64 v[8:9], s[6:7], 0, v[2:3]
	v_mad_i64_i32 v[2:3], s[6:7], s28, v6, 0
	s_lshl_b64 s[6:7], s[8:9], 3
	s_nop 0
	v_lshl_add_u64 v[2:3], v[2:3], 3, s[6:7]
	v_mov_b32_e32 v1, v5
	v_lshl_add_u64 v[0:1], v[2:3], 0, v[0:1]
	v_cmp_gt_i32_e64 s[2:3], s20, v6
	v_lshlrev_b32_e32 v18, 3, v12
	v_lshl_add_u64 v[10:11], s[22:23], 0, v[0:1]
	v_mov_b64_e32 v[0:1], 0
	v_mov_b64_e32 v[2:3], 0
	;; [unrolled: 1-line block ×4, first 2 shown]
	s_branch .LBB327_6
.LBB327_5:                              ;   in Loop: Header=BB327_6 Depth=1
	s_or_b64 exec, exec, s[6:7]
	s_waitcnt vmcnt(0) lgkmcnt(0)
	ds_write_b64 v17, v[20:21]
	s_waitcnt lgkmcnt(0)
	s_barrier
	ds_read2_b64 v[20:23], v18 offset1:16
	ds_read_b128 v[24:27], v19
	ds_read_b128 v[28:31], v19 offset:16
	ds_read_b128 v[32:35], v19 offset:32
	;; [unrolled: 1-line block ×4, first 2 shown]
	ds_read2_b64 v[44:47], v18 offset0:32 offset1:48
	s_waitcnt lgkmcnt(5)
	v_fmac_f64_e32 v[6:7], v[20:21], v[24:25]
	v_fmac_f64_e32 v[4:5], v[22:23], v[24:25]
	ds_read_b128 v[48:51], v19 offset:1040
	s_waitcnt lgkmcnt(2)
	v_fmac_f64_e32 v[2:3], v[20:21], v[40:41]
	v_fmac_f64_e32 v[0:1], v[22:23], v[40:41]
	ds_read2_b64 v[20:23], v18 offset0:64 offset1:80
	s_waitcnt lgkmcnt(2)
	v_fmac_f64_e32 v[6:7], v[44:45], v[26:27]
	v_fmac_f64_e32 v[4:5], v[46:47], v[26:27]
	ds_read2_b64 v[24:27], v18 offset0:96 offset1:112
	v_fmac_f64_e32 v[2:3], v[44:45], v[42:43]
	v_fmac_f64_e32 v[0:1], v[46:47], v[42:43]
	s_waitcnt lgkmcnt(1)
	v_fmac_f64_e32 v[6:7], v[20:21], v[28:29]
	v_fmac_f64_e32 v[4:5], v[22:23], v[28:29]
	ds_read_b128 v[40:43], v19 offset:1072
	v_fmac_f64_e32 v[2:3], v[20:21], v[48:49]
	v_fmac_f64_e32 v[0:1], v[22:23], v[48:49]
	s_waitcnt lgkmcnt(1)
	v_fmac_f64_e32 v[6:7], v[24:25], v[30:31]
	ds_read2_b64 v[20:23], v18 offset0:128 offset1:144
	v_fmac_f64_e32 v[4:5], v[26:27], v[30:31]
	v_fmac_f64_e32 v[2:3], v[24:25], v[50:51]
	;; [unrolled: 1-line block ×3, first 2 shown]
	ds_read_b128 v[24:27], v19 offset:1056
	ds_read2_b64 v[28:31], v18 offset0:160 offset1:176
	s_waitcnt lgkmcnt(2)
	v_fmac_f64_e32 v[6:7], v[20:21], v[32:33]
	v_fmac_f64_e32 v[4:5], v[22:23], v[32:33]
	s_add_i32 s5, s5, 8
	s_waitcnt lgkmcnt(1)
	v_fmac_f64_e32 v[2:3], v[20:21], v[24:25]
	v_fmac_f64_e32 v[0:1], v[22:23], v[24:25]
	ds_read2_b64 v[20:23], v18 offset0:192 offset1:208
	s_waitcnt lgkmcnt(1)
	v_fmac_f64_e32 v[2:3], v[28:29], v[26:27]
	v_fmac_f64_e32 v[0:1], v[30:31], v[26:27]
	ds_read2_b64 v[24:27], v18 offset0:224 offset1:240
	v_fmac_f64_e32 v[6:7], v[28:29], v[34:35]
	v_fmac_f64_e32 v[4:5], v[30:31], v[34:35]
	s_waitcnt lgkmcnt(1)
	v_fmac_f64_e32 v[6:7], v[20:21], v[36:37]
	v_fmac_f64_e32 v[4:5], v[22:23], v[36:37]
	;; [unrolled: 1-line block ×4, first 2 shown]
	s_waitcnt lgkmcnt(0)
	v_fmac_f64_e32 v[6:7], v[24:25], v[38:39]
	v_fmac_f64_e32 v[4:5], v[26:27], v[38:39]
	;; [unrolled: 1-line block ×4, first 2 shown]
	v_lshl_add_u64 v[8:9], v[8:9], 0, 64
	s_cmp_lt_i32 s5, s21
	v_lshl_add_u64 v[10:11], v[10:11], 0, 64
	s_barrier
	s_cbranch_scc0 .LBB327_10
.LBB327_6:                              ; =>This Inner Loop Header: Depth=1
	v_add_u32_e32 v20, s5, v15
	v_cmp_gt_i32_e64 s[6:7], s21, v20
	s_and_b64 s[8:9], vcc, s[6:7]
	v_mov_b64_e32 v[20:21], 0
	s_and_saveexec_b64 s[6:7], s[8:9]
	s_cbranch_execz .LBB327_8
; %bb.7:                                ;   in Loop: Header=BB327_6 Depth=1
	flat_load_dwordx2 v[20:21], v[8:9]
.LBB327_8:                              ;   in Loop: Header=BB327_6 Depth=1
	s_or_b64 exec, exec, s[6:7]
	s_waitcnt vmcnt(0) lgkmcnt(0)
	ds_write_b64 v16, v[20:21]
	v_add_u32_e32 v20, s5, v14
	v_cmp_gt_i32_e64 s[6:7], s21, v20
	s_and_b64 s[8:9], s[6:7], s[2:3]
	v_mov_b64_e32 v[20:21], 0
	s_and_saveexec_b64 s[6:7], s[8:9]
	s_cbranch_execz .LBB327_5
; %bb.9:                                ;   in Loop: Header=BB327_6 Depth=1
	flat_load_dwordx2 v[20:21], v[10:11]
	s_branch .LBB327_5
.LBB327_10:
	s_load_dwordx2 s[6:7], s[0:1], 0x58
	s_load_dword s8, s[0:1], 0x50
	v_add_u32_e32 v8, s4, v12
	v_add_u32_e32 v14, s12, v13
	v_cmp_gt_i32_e64 s[2:3], s20, v14
	s_waitcnt lgkmcnt(0)
	s_lshl_b64 s[0:1], s[6:7], 3
	s_add_u32 s4, s10, s0
	s_addc_u32 s5, s11, s1
	v_mad_i64_i32 v[10:11], s[0:1], v14, s8, 0
	v_cmp_neq_f64_e64 s[0:1], s[16:17], 0
	v_cmp_le_i32_e32 vcc, v8, v14
	v_lshl_add_u64 v[10:11], v[10:11], 3, s[4:5]
	v_cndmask_b32_e64 v12, 0, 1, s[0:1]
	s_and_b64 s[10:11], s[2:3], vcc
	v_ashrrev_i32_e32 v9, 31, v8
	v_cmp_ne_u32_e64 s[0:1], 1, v12
	s_and_saveexec_b64 s[6:7], s[10:11]
	s_cbranch_execz .LBB327_14
; %bb.11:
	v_mul_f64 v[6:7], s[18:19], v[6:7]
	s_and_b64 vcc, exec, s[0:1]
	v_lshl_add_u64 v[12:13], v[8:9], 3, v[10:11]
	s_cbranch_vccnz .LBB327_13
; %bb.12:
	flat_load_dwordx2 v[16:17], v[12:13]
	s_waitcnt vmcnt(0) lgkmcnt(0)
	v_fmac_f64_e32 v[6:7], s[16:17], v[16:17]
.LBB327_13:
	flat_store_dwordx2 v[12:13], v[6:7]
.LBB327_14:
	s_or_b64 exec, exec, s[6:7]
	v_add_u32_e32 v6, 16, v8
	v_cmp_le_i32_e32 vcc, v6, v14
	s_and_b64 s[6:7], s[2:3], vcc
	v_ashrrev_i32_e32 v7, 31, v6
	s_and_saveexec_b64 s[2:3], s[6:7]
	s_cbranch_execz .LBB327_18
; %bb.15:
	v_mul_f64 v[4:5], s[18:19], v[4:5]
	s_and_b64 vcc, exec, s[0:1]
	v_lshl_add_u64 v[10:11], v[6:7], 3, v[10:11]
	s_cbranch_vccnz .LBB327_17
; %bb.16:
	flat_load_dwordx2 v[12:13], v[10:11]
	s_waitcnt vmcnt(0) lgkmcnt(0)
	v_fmac_f64_e32 v[4:5], s[16:17], v[12:13]
.LBB327_17:
	flat_store_dwordx2 v[10:11], v[4:5]
.LBB327_18:
	s_or_b64 exec, exec, s[2:3]
	v_add_u32_e32 v10, 16, v14
	v_cmp_gt_i32_e64 s[2:3], s20, v10
	v_mad_i64_i32 v[4:5], s[6:7], v10, s8, 0
	v_cmp_le_i32_e32 vcc, v8, v10
	v_lshl_add_u64 v[4:5], v[4:5], 3, s[4:5]
	s_and_b64 s[6:7], s[2:3], vcc
	s_and_saveexec_b64 s[4:5], s[6:7]
	s_cbranch_execz .LBB327_22
; %bb.19:
	v_mul_f64 v[2:3], s[18:19], v[2:3]
	s_and_b64 vcc, exec, s[0:1]
	v_lshl_add_u64 v[8:9], v[8:9], 3, v[4:5]
	s_cbranch_vccnz .LBB327_21
; %bb.20:
	flat_load_dwordx2 v[12:13], v[8:9]
	s_waitcnt vmcnt(0) lgkmcnt(0)
	v_fmac_f64_e32 v[2:3], s[16:17], v[12:13]
.LBB327_21:
	flat_store_dwordx2 v[8:9], v[2:3]
.LBB327_22:
	s_or_b64 exec, exec, s[4:5]
	v_cmp_le_i32_e32 vcc, v6, v10
	s_and_b64 s[2:3], s[2:3], vcc
	s_and_saveexec_b64 s[4:5], s[2:3]
	s_cbranch_execz .LBB327_26
; %bb.23:
	v_mul_f64 v[0:1], s[18:19], v[0:1]
	s_and_b64 vcc, exec, s[0:1]
	v_lshl_add_u64 v[2:3], v[6:7], 3, v[4:5]
	s_cbranch_vccnz .LBB327_25
; %bb.24:
	flat_load_dwordx2 v[4:5], v[2:3]
	s_waitcnt vmcnt(0) lgkmcnt(0)
	v_fmac_f64_e32 v[0:1], s[16:17], v[4:5]
.LBB327_25:
	flat_store_dwordx2 v[2:3], v[0:1]
.LBB327_26:
	s_endpgm
	.section	.rodata,"a",@progbits
	.p2align	6, 0x0
	.amdhsa_kernel _ZL29rocblas_internal_gemmt_kernelIiLi16ELi32ELi8ELc84ELc78ELc85ELb0ELb0EdPKdPKS1_PKPdEviT_T9_T10_S7_lS9_S7_lS8_T11_S7_li
		.amdhsa_group_segment_fixed_size 4096
		.amdhsa_private_segment_fixed_size 0
		.amdhsa_kernarg_size 100
		.amdhsa_user_sgpr_count 2
		.amdhsa_user_sgpr_dispatch_ptr 0
		.amdhsa_user_sgpr_queue_ptr 0
		.amdhsa_user_sgpr_kernarg_segment_ptr 1
		.amdhsa_user_sgpr_dispatch_id 0
		.amdhsa_user_sgpr_kernarg_preload_length 0
		.amdhsa_user_sgpr_kernarg_preload_offset 0
		.amdhsa_user_sgpr_private_segment_size 0
		.amdhsa_uses_dynamic_stack 0
		.amdhsa_enable_private_segment 0
		.amdhsa_system_sgpr_workgroup_id_x 1
		.amdhsa_system_sgpr_workgroup_id_y 1
		.amdhsa_system_sgpr_workgroup_id_z 1
		.amdhsa_system_sgpr_workgroup_info 0
		.amdhsa_system_vgpr_workitem_id 1
		.amdhsa_next_free_vgpr 52
		.amdhsa_next_free_sgpr 29
		.amdhsa_accum_offset 52
		.amdhsa_reserve_vcc 1
		.amdhsa_float_round_mode_32 0
		.amdhsa_float_round_mode_16_64 0
		.amdhsa_float_denorm_mode_32 3
		.amdhsa_float_denorm_mode_16_64 3
		.amdhsa_dx10_clamp 1
		.amdhsa_ieee_mode 1
		.amdhsa_fp16_overflow 0
		.amdhsa_tg_split 0
		.amdhsa_exception_fp_ieee_invalid_op 0
		.amdhsa_exception_fp_denorm_src 0
		.amdhsa_exception_fp_ieee_div_zero 0
		.amdhsa_exception_fp_ieee_overflow 0
		.amdhsa_exception_fp_ieee_underflow 0
		.amdhsa_exception_fp_ieee_inexact 0
		.amdhsa_exception_int_div_zero 0
	.end_amdhsa_kernel
	.section	.text._ZL29rocblas_internal_gemmt_kernelIiLi16ELi32ELi8ELc84ELc78ELc85ELb0ELb0EdPKdPKS1_PKPdEviT_T9_T10_S7_lS9_S7_lS8_T11_S7_li,"axG",@progbits,_ZL29rocblas_internal_gemmt_kernelIiLi16ELi32ELi8ELc84ELc78ELc85ELb0ELb0EdPKdPKS1_PKPdEviT_T9_T10_S7_lS9_S7_lS8_T11_S7_li,comdat
.Lfunc_end327:
	.size	_ZL29rocblas_internal_gemmt_kernelIiLi16ELi32ELi8ELc84ELc78ELc85ELb0ELb0EdPKdPKS1_PKPdEviT_T9_T10_S7_lS9_S7_lS8_T11_S7_li, .Lfunc_end327-_ZL29rocblas_internal_gemmt_kernelIiLi16ELi32ELi8ELc84ELc78ELc85ELb0ELb0EdPKdPKS1_PKPdEviT_T9_T10_S7_lS9_S7_lS8_T11_S7_li
                                        ; -- End function
	.set _ZL29rocblas_internal_gemmt_kernelIiLi16ELi32ELi8ELc84ELc78ELc85ELb0ELb0EdPKdPKS1_PKPdEviT_T9_T10_S7_lS9_S7_lS8_T11_S7_li.num_vgpr, 52
	.set _ZL29rocblas_internal_gemmt_kernelIiLi16ELi32ELi8ELc84ELc78ELc85ELb0ELb0EdPKdPKS1_PKPdEviT_T9_T10_S7_lS9_S7_lS8_T11_S7_li.num_agpr, 0
	.set _ZL29rocblas_internal_gemmt_kernelIiLi16ELi32ELi8ELc84ELc78ELc85ELb0ELb0EdPKdPKS1_PKPdEviT_T9_T10_S7_lS9_S7_lS8_T11_S7_li.numbered_sgpr, 29
	.set _ZL29rocblas_internal_gemmt_kernelIiLi16ELi32ELi8ELc84ELc78ELc85ELb0ELb0EdPKdPKS1_PKPdEviT_T9_T10_S7_lS9_S7_lS8_T11_S7_li.num_named_barrier, 0
	.set _ZL29rocblas_internal_gemmt_kernelIiLi16ELi32ELi8ELc84ELc78ELc85ELb0ELb0EdPKdPKS1_PKPdEviT_T9_T10_S7_lS9_S7_lS8_T11_S7_li.private_seg_size, 0
	.set _ZL29rocblas_internal_gemmt_kernelIiLi16ELi32ELi8ELc84ELc78ELc85ELb0ELb0EdPKdPKS1_PKPdEviT_T9_T10_S7_lS9_S7_lS8_T11_S7_li.uses_vcc, 1
	.set _ZL29rocblas_internal_gemmt_kernelIiLi16ELi32ELi8ELc84ELc78ELc85ELb0ELb0EdPKdPKS1_PKPdEviT_T9_T10_S7_lS9_S7_lS8_T11_S7_li.uses_flat_scratch, 0
	.set _ZL29rocblas_internal_gemmt_kernelIiLi16ELi32ELi8ELc84ELc78ELc85ELb0ELb0EdPKdPKS1_PKPdEviT_T9_T10_S7_lS9_S7_lS8_T11_S7_li.has_dyn_sized_stack, 0
	.set _ZL29rocblas_internal_gemmt_kernelIiLi16ELi32ELi8ELc84ELc78ELc85ELb0ELb0EdPKdPKS1_PKPdEviT_T9_T10_S7_lS9_S7_lS8_T11_S7_li.has_recursion, 0
	.set _ZL29rocblas_internal_gemmt_kernelIiLi16ELi32ELi8ELc84ELc78ELc85ELb0ELb0EdPKdPKS1_PKPdEviT_T9_T10_S7_lS9_S7_lS8_T11_S7_li.has_indirect_call, 0
	.section	.AMDGPU.csdata,"",@progbits
; Kernel info:
; codeLenInByte = 1316
; TotalNumSgprs: 35
; NumVgprs: 52
; NumAgprs: 0
; TotalNumVgprs: 52
; ScratchSize: 0
; MemoryBound: 0
; FloatMode: 240
; IeeeMode: 1
; LDSByteSize: 4096 bytes/workgroup (compile time only)
; SGPRBlocks: 4
; VGPRBlocks: 6
; NumSGPRsForWavesPerEU: 35
; NumVGPRsForWavesPerEU: 52
; AccumOffset: 52
; Occupancy: 8
; WaveLimiterHint : 1
; COMPUTE_PGM_RSRC2:SCRATCH_EN: 0
; COMPUTE_PGM_RSRC2:USER_SGPR: 2
; COMPUTE_PGM_RSRC2:TRAP_HANDLER: 0
; COMPUTE_PGM_RSRC2:TGID_X_EN: 1
; COMPUTE_PGM_RSRC2:TGID_Y_EN: 1
; COMPUTE_PGM_RSRC2:TGID_Z_EN: 1
; COMPUTE_PGM_RSRC2:TIDIG_COMP_CNT: 1
; COMPUTE_PGM_RSRC3_GFX90A:ACCUM_OFFSET: 12
; COMPUTE_PGM_RSRC3_GFX90A:TG_SPLIT: 0
	.section	.text._ZL29rocblas_internal_gemmt_kernelIiLi16ELi32ELi8ELc84ELc84ELc85ELb0ELb0EdPKdPKS1_PKPdEviT_T9_T10_S7_lS9_S7_lS8_T11_S7_li,"axG",@progbits,_ZL29rocblas_internal_gemmt_kernelIiLi16ELi32ELi8ELc84ELc84ELc85ELb0ELb0EdPKdPKS1_PKPdEviT_T9_T10_S7_lS9_S7_lS8_T11_S7_li,comdat
	.globl	_ZL29rocblas_internal_gemmt_kernelIiLi16ELi32ELi8ELc84ELc84ELc85ELb0ELb0EdPKdPKS1_PKPdEviT_T9_T10_S7_lS9_S7_lS8_T11_S7_li ; -- Begin function _ZL29rocblas_internal_gemmt_kernelIiLi16ELi32ELi8ELc84ELc84ELc85ELb0ELb0EdPKdPKS1_PKPdEviT_T9_T10_S7_lS9_S7_lS8_T11_S7_li
	.p2align	8
	.type	_ZL29rocblas_internal_gemmt_kernelIiLi16ELi32ELi8ELc84ELc84ELc85ELb0ELb0EdPKdPKS1_PKPdEviT_T9_T10_S7_lS9_S7_lS8_T11_S7_li,@function
_ZL29rocblas_internal_gemmt_kernelIiLi16ELi32ELi8ELc84ELc84ELc85ELb0ELb0EdPKdPKS1_PKPdEviT_T9_T10_S7_lS9_S7_lS8_T11_S7_li: ; @_ZL29rocblas_internal_gemmt_kernelIiLi16ELi32ELi8ELc84ELc84ELc85ELb0ELb0EdPKdPKS1_PKPdEviT_T9_T10_S7_lS9_S7_lS8_T11_S7_li
; %bb.0:
	s_load_dwordx4 s[8:11], s[0:1], 0x38
	s_load_dwordx4 s[12:15], s[0:1], 0x8
	s_waitcnt lgkmcnt(0)
	s_load_dwordx2 s[16:17], s[10:11], 0x0
	s_load_dwordx2 s[20:21], s[0:1], 0x0
	s_load_dwordx2 s[18:19], s[12:13], 0x0
	s_waitcnt lgkmcnt(0)
	v_cmp_neq_f64_e64 s[6:7], s[16:17], 1.0
	s_and_b64 vcc, exec, s[6:7]
	s_cbranch_vccnz .LBB328_2
; %bb.1:
	s_cmp_lg_u32 s21, 0
	s_cselect_b64 s[6:7], -1, 0
	v_cmp_neq_f64_e64 s[10:11], s[18:19], 0
	s_and_b64 s[6:7], s[6:7], s[10:11]
.LBB328_2:
	s_andn2_b64 vcc, exec, s[6:7]
	s_cbranch_vccnz .LBB328_26
; %bb.3:
	s_load_dwordx2 s[10:11], s[0:1], 0x48
	s_mov_b32 s5, 0
	s_lshl_b64 s[6:7], s[4:5], 3
	v_and_b32_e32 v12, 0x3ff, v0
	v_bfe_u32 v13, v0, 10, 10
	s_waitcnt lgkmcnt(0)
	s_add_u32 s10, s10, s6
	s_addc_u32 s11, s11, s7
	s_load_dwordx2 s[10:11], s[10:11], 0x0
	s_lshl_b32 s4, s2, 5
	s_lshl_b32 s12, s3, 5
	s_cmp_lt_i32 s21, 1
	v_cmp_eq_f64_e64 s[2:3], s[18:19], 0
	s_cselect_b64 s[22:23], -1, 0
	s_or_b64 s[2:3], s[2:3], s[22:23]
	v_mov_b64_e32 v[6:7], 0
	s_and_b64 vcc, exec, s[2:3]
	v_mov_b64_e32 v[4:5], 0
	v_mov_b64_e32 v[2:3], 0
	;; [unrolled: 1-line block ×3, first 2 shown]
	s_cbranch_vccnz .LBB328_10
; %bb.4:
	s_load_dword s13, s[0:1], 0x18
	s_load_dword s22, s[0:1], 0x30
	s_load_dwordx4 s[24:27], s[0:1], 0x20
	v_lshl_add_u32 v1, v13, 4, v12
	v_and_b32_e32 v3, 31, v1
	v_lshrrev_b32_e32 v15, 5, v1
	s_waitcnt lgkmcnt(0)
	s_ashr_i32 s23, s22, 31
	v_lshrrev_b32_e32 v2, 3, v1
	v_or_b32_e32 v1, s4, v3
	s_add_u32 s2, s26, s6
	v_and_b32_e32 v14, 7, v12
	s_addc_u32 s3, s27, s7
	v_cmp_gt_i32_e32 vcc, s20, v1
	v_lshlrev_b32_e32 v1, 3, v3
	s_load_dwordx2 s[26:27], s[2:3], 0x0
	s_add_u32 s2, s14, s6
	v_lshl_or_b32 v16, v15, 8, v1
	v_lshlrev_b32_e32 v1, 3, v14
	v_add_u32_e32 v0, s12, v2
	s_addc_u32 s3, s15, s7
	v_lshl_or_b32 v1, v2, 6, v1
	v_mov_b32_e32 v2, 0x800
	s_load_dwordx2 s[6:7], s[2:3], 0x0
	v_lshl_add_u32 v19, v13, 6, v2
	v_add_u32_e32 v2, s4, v3
	v_mad_i64_i32 v[2:3], s[14:15], s13, v2, 0
	s_lshl_b64 s[14:15], s[24:25], 3
	s_nop 0
	v_lshl_add_u64 v[2:3], v[2:3], 3, s[14:15]
	v_lshlrev_b32_e32 v4, 3, v15
	v_mov_b32_e32 v5, 0
	v_lshl_add_u64 v[2:3], v[2:3], 0, v[4:5]
	s_waitcnt lgkmcnt(0)
	v_lshl_add_u64 v[8:9], s[6:7], 0, v[2:3]
	v_mad_i64_i32 v[2:3], s[6:7], s22, v14, 0
	s_lshl_b64 s[6:7], s[8:9], 3
	v_add_u32_e32 v17, 0x800, v1
	v_ashrrev_i32_e32 v1, 31, v0
	v_lshl_add_u64 v[2:3], v[2:3], 3, s[6:7]
	v_cmp_gt_i32_e64 s[2:3], s20, v0
	v_lshl_add_u64 v[0:1], v[0:1], 3, v[2:3]
	v_lshlrev_b32_e32 v18, 3, v12
	v_lshl_add_u64 v[10:11], s[26:27], 0, v[0:1]
	s_lshl_b64 s[8:9], s[22:23], 6
	v_mov_b64_e32 v[0:1], 0
	v_mov_b64_e32 v[2:3], 0
	;; [unrolled: 1-line block ×4, first 2 shown]
	s_branch .LBB328_6
.LBB328_5:                              ;   in Loop: Header=BB328_6 Depth=1
	s_or_b64 exec, exec, s[6:7]
	s_waitcnt vmcnt(0) lgkmcnt(0)
	ds_write_b64 v17, v[20:21]
	s_waitcnt lgkmcnt(0)
	s_barrier
	ds_read2_b64 v[20:23], v18 offset1:16
	ds_read_b128 v[24:27], v19
	ds_read_b128 v[28:31], v19 offset:16
	ds_read_b128 v[32:35], v19 offset:32
	;; [unrolled: 1-line block ×4, first 2 shown]
	ds_read2_b64 v[44:47], v18 offset0:32 offset1:48
	s_waitcnt lgkmcnt(5)
	v_fmac_f64_e32 v[6:7], v[20:21], v[24:25]
	v_fmac_f64_e32 v[4:5], v[22:23], v[24:25]
	ds_read_b128 v[48:51], v19 offset:1040
	s_waitcnt lgkmcnt(2)
	v_fmac_f64_e32 v[2:3], v[20:21], v[40:41]
	v_fmac_f64_e32 v[0:1], v[22:23], v[40:41]
	ds_read2_b64 v[20:23], v18 offset0:64 offset1:80
	s_waitcnt lgkmcnt(2)
	v_fmac_f64_e32 v[6:7], v[44:45], v[26:27]
	v_fmac_f64_e32 v[4:5], v[46:47], v[26:27]
	ds_read2_b64 v[24:27], v18 offset0:96 offset1:112
	v_fmac_f64_e32 v[2:3], v[44:45], v[42:43]
	v_fmac_f64_e32 v[0:1], v[46:47], v[42:43]
	s_waitcnt lgkmcnt(1)
	v_fmac_f64_e32 v[6:7], v[20:21], v[28:29]
	v_fmac_f64_e32 v[4:5], v[22:23], v[28:29]
	ds_read_b128 v[40:43], v19 offset:1072
	v_fmac_f64_e32 v[2:3], v[20:21], v[48:49]
	v_fmac_f64_e32 v[0:1], v[22:23], v[48:49]
	s_waitcnt lgkmcnt(1)
	v_fmac_f64_e32 v[6:7], v[24:25], v[30:31]
	ds_read2_b64 v[20:23], v18 offset0:128 offset1:144
	v_fmac_f64_e32 v[4:5], v[26:27], v[30:31]
	v_fmac_f64_e32 v[2:3], v[24:25], v[50:51]
	;; [unrolled: 1-line block ×3, first 2 shown]
	ds_read_b128 v[24:27], v19 offset:1056
	ds_read2_b64 v[28:31], v18 offset0:160 offset1:176
	s_waitcnt lgkmcnt(2)
	v_fmac_f64_e32 v[6:7], v[20:21], v[32:33]
	v_fmac_f64_e32 v[4:5], v[22:23], v[32:33]
	s_add_i32 s5, s5, 8
	s_waitcnt lgkmcnt(1)
	v_fmac_f64_e32 v[2:3], v[20:21], v[24:25]
	v_fmac_f64_e32 v[0:1], v[22:23], v[24:25]
	ds_read2_b64 v[20:23], v18 offset0:192 offset1:208
	s_waitcnt lgkmcnt(1)
	v_fmac_f64_e32 v[2:3], v[28:29], v[26:27]
	v_fmac_f64_e32 v[0:1], v[30:31], v[26:27]
	ds_read2_b64 v[24:27], v18 offset0:224 offset1:240
	v_fmac_f64_e32 v[6:7], v[28:29], v[34:35]
	v_fmac_f64_e32 v[4:5], v[30:31], v[34:35]
	s_waitcnt lgkmcnt(1)
	v_fmac_f64_e32 v[6:7], v[20:21], v[36:37]
	v_fmac_f64_e32 v[4:5], v[22:23], v[36:37]
	;; [unrolled: 1-line block ×4, first 2 shown]
	s_waitcnt lgkmcnt(0)
	v_fmac_f64_e32 v[6:7], v[24:25], v[38:39]
	v_fmac_f64_e32 v[4:5], v[26:27], v[38:39]
	;; [unrolled: 1-line block ×4, first 2 shown]
	v_lshl_add_u64 v[8:9], v[8:9], 0, 64
	s_cmp_lt_i32 s5, s21
	v_lshl_add_u64 v[10:11], v[10:11], 0, s[8:9]
	s_barrier
	s_cbranch_scc0 .LBB328_10
.LBB328_6:                              ; =>This Inner Loop Header: Depth=1
	v_add_u32_e32 v20, s5, v15
	v_cmp_gt_i32_e64 s[6:7], s21, v20
	s_and_b64 s[14:15], vcc, s[6:7]
	v_mov_b64_e32 v[20:21], 0
	s_and_saveexec_b64 s[6:7], s[14:15]
	s_cbranch_execz .LBB328_8
; %bb.7:                                ;   in Loop: Header=BB328_6 Depth=1
	flat_load_dwordx2 v[20:21], v[8:9]
.LBB328_8:                              ;   in Loop: Header=BB328_6 Depth=1
	s_or_b64 exec, exec, s[6:7]
	s_waitcnt vmcnt(0) lgkmcnt(0)
	ds_write_b64 v16, v[20:21]
	v_add_u32_e32 v20, s5, v14
	v_cmp_gt_i32_e64 s[6:7], s21, v20
	s_and_b64 s[14:15], s[6:7], s[2:3]
	v_mov_b64_e32 v[20:21], 0
	s_and_saveexec_b64 s[6:7], s[14:15]
	s_cbranch_execz .LBB328_5
; %bb.9:                                ;   in Loop: Header=BB328_6 Depth=1
	flat_load_dwordx2 v[20:21], v[10:11]
	s_branch .LBB328_5
.LBB328_10:
	s_load_dwordx2 s[6:7], s[0:1], 0x58
	s_load_dword s8, s[0:1], 0x50
	v_add_u32_e32 v8, s4, v12
	v_add_u32_e32 v14, s12, v13
	v_cmp_gt_i32_e64 s[2:3], s20, v14
	s_waitcnt lgkmcnt(0)
	s_lshl_b64 s[0:1], s[6:7], 3
	s_add_u32 s4, s10, s0
	s_addc_u32 s5, s11, s1
	v_mad_i64_i32 v[10:11], s[0:1], v14, s8, 0
	v_cmp_neq_f64_e64 s[0:1], s[16:17], 0
	v_cmp_le_i32_e32 vcc, v8, v14
	v_lshl_add_u64 v[10:11], v[10:11], 3, s[4:5]
	v_cndmask_b32_e64 v12, 0, 1, s[0:1]
	s_and_b64 s[10:11], s[2:3], vcc
	v_ashrrev_i32_e32 v9, 31, v8
	v_cmp_ne_u32_e64 s[0:1], 1, v12
	s_and_saveexec_b64 s[6:7], s[10:11]
	s_cbranch_execz .LBB328_14
; %bb.11:
	v_mul_f64 v[6:7], s[18:19], v[6:7]
	s_and_b64 vcc, exec, s[0:1]
	v_lshl_add_u64 v[12:13], v[8:9], 3, v[10:11]
	s_cbranch_vccnz .LBB328_13
; %bb.12:
	flat_load_dwordx2 v[16:17], v[12:13]
	s_waitcnt vmcnt(0) lgkmcnt(0)
	v_fmac_f64_e32 v[6:7], s[16:17], v[16:17]
.LBB328_13:
	flat_store_dwordx2 v[12:13], v[6:7]
.LBB328_14:
	s_or_b64 exec, exec, s[6:7]
	v_add_u32_e32 v6, 16, v8
	v_cmp_le_i32_e32 vcc, v6, v14
	s_and_b64 s[6:7], s[2:3], vcc
	v_ashrrev_i32_e32 v7, 31, v6
	s_and_saveexec_b64 s[2:3], s[6:7]
	s_cbranch_execz .LBB328_18
; %bb.15:
	v_mul_f64 v[4:5], s[18:19], v[4:5]
	s_and_b64 vcc, exec, s[0:1]
	v_lshl_add_u64 v[10:11], v[6:7], 3, v[10:11]
	s_cbranch_vccnz .LBB328_17
; %bb.16:
	flat_load_dwordx2 v[12:13], v[10:11]
	s_waitcnt vmcnt(0) lgkmcnt(0)
	v_fmac_f64_e32 v[4:5], s[16:17], v[12:13]
.LBB328_17:
	flat_store_dwordx2 v[10:11], v[4:5]
.LBB328_18:
	s_or_b64 exec, exec, s[2:3]
	v_add_u32_e32 v10, 16, v14
	v_cmp_gt_i32_e64 s[2:3], s20, v10
	v_mad_i64_i32 v[4:5], s[6:7], v10, s8, 0
	v_cmp_le_i32_e32 vcc, v8, v10
	v_lshl_add_u64 v[4:5], v[4:5], 3, s[4:5]
	s_and_b64 s[6:7], s[2:3], vcc
	s_and_saveexec_b64 s[4:5], s[6:7]
	s_cbranch_execz .LBB328_22
; %bb.19:
	v_mul_f64 v[2:3], s[18:19], v[2:3]
	s_and_b64 vcc, exec, s[0:1]
	v_lshl_add_u64 v[8:9], v[8:9], 3, v[4:5]
	s_cbranch_vccnz .LBB328_21
; %bb.20:
	flat_load_dwordx2 v[12:13], v[8:9]
	s_waitcnt vmcnt(0) lgkmcnt(0)
	v_fmac_f64_e32 v[2:3], s[16:17], v[12:13]
.LBB328_21:
	flat_store_dwordx2 v[8:9], v[2:3]
.LBB328_22:
	s_or_b64 exec, exec, s[4:5]
	v_cmp_le_i32_e32 vcc, v6, v10
	s_and_b64 s[2:3], s[2:3], vcc
	s_and_saveexec_b64 s[4:5], s[2:3]
	s_cbranch_execz .LBB328_26
; %bb.23:
	v_mul_f64 v[0:1], s[18:19], v[0:1]
	s_and_b64 vcc, exec, s[0:1]
	v_lshl_add_u64 v[2:3], v[6:7], 3, v[4:5]
	s_cbranch_vccnz .LBB328_25
; %bb.24:
	flat_load_dwordx2 v[4:5], v[2:3]
	s_waitcnt vmcnt(0) lgkmcnt(0)
	v_fmac_f64_e32 v[0:1], s[16:17], v[4:5]
.LBB328_25:
	flat_store_dwordx2 v[2:3], v[0:1]
.LBB328_26:
	s_endpgm
	.section	.rodata,"a",@progbits
	.p2align	6, 0x0
	.amdhsa_kernel _ZL29rocblas_internal_gemmt_kernelIiLi16ELi32ELi8ELc84ELc84ELc85ELb0ELb0EdPKdPKS1_PKPdEviT_T9_T10_S7_lS9_S7_lS8_T11_S7_li
		.amdhsa_group_segment_fixed_size 4096
		.amdhsa_private_segment_fixed_size 0
		.amdhsa_kernarg_size 100
		.amdhsa_user_sgpr_count 2
		.amdhsa_user_sgpr_dispatch_ptr 0
		.amdhsa_user_sgpr_queue_ptr 0
		.amdhsa_user_sgpr_kernarg_segment_ptr 1
		.amdhsa_user_sgpr_dispatch_id 0
		.amdhsa_user_sgpr_kernarg_preload_length 0
		.amdhsa_user_sgpr_kernarg_preload_offset 0
		.amdhsa_user_sgpr_private_segment_size 0
		.amdhsa_uses_dynamic_stack 0
		.amdhsa_enable_private_segment 0
		.amdhsa_system_sgpr_workgroup_id_x 1
		.amdhsa_system_sgpr_workgroup_id_y 1
		.amdhsa_system_sgpr_workgroup_id_z 1
		.amdhsa_system_sgpr_workgroup_info 0
		.amdhsa_system_vgpr_workitem_id 1
		.amdhsa_next_free_vgpr 52
		.amdhsa_next_free_sgpr 28
		.amdhsa_accum_offset 52
		.amdhsa_reserve_vcc 1
		.amdhsa_float_round_mode_32 0
		.amdhsa_float_round_mode_16_64 0
		.amdhsa_float_denorm_mode_32 3
		.amdhsa_float_denorm_mode_16_64 3
		.amdhsa_dx10_clamp 1
		.amdhsa_ieee_mode 1
		.amdhsa_fp16_overflow 0
		.amdhsa_tg_split 0
		.amdhsa_exception_fp_ieee_invalid_op 0
		.amdhsa_exception_fp_denorm_src 0
		.amdhsa_exception_fp_ieee_div_zero 0
		.amdhsa_exception_fp_ieee_overflow 0
		.amdhsa_exception_fp_ieee_underflow 0
		.amdhsa_exception_fp_ieee_inexact 0
		.amdhsa_exception_int_div_zero 0
	.end_amdhsa_kernel
	.section	.text._ZL29rocblas_internal_gemmt_kernelIiLi16ELi32ELi8ELc84ELc84ELc85ELb0ELb0EdPKdPKS1_PKPdEviT_T9_T10_S7_lS9_S7_lS8_T11_S7_li,"axG",@progbits,_ZL29rocblas_internal_gemmt_kernelIiLi16ELi32ELi8ELc84ELc84ELc85ELb0ELb0EdPKdPKS1_PKPdEviT_T9_T10_S7_lS9_S7_lS8_T11_S7_li,comdat
.Lfunc_end328:
	.size	_ZL29rocblas_internal_gemmt_kernelIiLi16ELi32ELi8ELc84ELc84ELc85ELb0ELb0EdPKdPKS1_PKPdEviT_T9_T10_S7_lS9_S7_lS8_T11_S7_li, .Lfunc_end328-_ZL29rocblas_internal_gemmt_kernelIiLi16ELi32ELi8ELc84ELc84ELc85ELb0ELb0EdPKdPKS1_PKPdEviT_T9_T10_S7_lS9_S7_lS8_T11_S7_li
                                        ; -- End function
	.set _ZL29rocblas_internal_gemmt_kernelIiLi16ELi32ELi8ELc84ELc84ELc85ELb0ELb0EdPKdPKS1_PKPdEviT_T9_T10_S7_lS9_S7_lS8_T11_S7_li.num_vgpr, 52
	.set _ZL29rocblas_internal_gemmt_kernelIiLi16ELi32ELi8ELc84ELc84ELc85ELb0ELb0EdPKdPKS1_PKPdEviT_T9_T10_S7_lS9_S7_lS8_T11_S7_li.num_agpr, 0
	.set _ZL29rocblas_internal_gemmt_kernelIiLi16ELi32ELi8ELc84ELc84ELc85ELb0ELb0EdPKdPKS1_PKPdEviT_T9_T10_S7_lS9_S7_lS8_T11_S7_li.numbered_sgpr, 28
	.set _ZL29rocblas_internal_gemmt_kernelIiLi16ELi32ELi8ELc84ELc84ELc85ELb0ELb0EdPKdPKS1_PKPdEviT_T9_T10_S7_lS9_S7_lS8_T11_S7_li.num_named_barrier, 0
	.set _ZL29rocblas_internal_gemmt_kernelIiLi16ELi32ELi8ELc84ELc84ELc85ELb0ELb0EdPKdPKS1_PKPdEviT_T9_T10_S7_lS9_S7_lS8_T11_S7_li.private_seg_size, 0
	.set _ZL29rocblas_internal_gemmt_kernelIiLi16ELi32ELi8ELc84ELc84ELc85ELb0ELb0EdPKdPKS1_PKPdEviT_T9_T10_S7_lS9_S7_lS8_T11_S7_li.uses_vcc, 1
	.set _ZL29rocblas_internal_gemmt_kernelIiLi16ELi32ELi8ELc84ELc84ELc85ELb0ELb0EdPKdPKS1_PKPdEviT_T9_T10_S7_lS9_S7_lS8_T11_S7_li.uses_flat_scratch, 0
	.set _ZL29rocblas_internal_gemmt_kernelIiLi16ELi32ELi8ELc84ELc84ELc85ELb0ELb0EdPKdPKS1_PKPdEviT_T9_T10_S7_lS9_S7_lS8_T11_S7_li.has_dyn_sized_stack, 0
	.set _ZL29rocblas_internal_gemmt_kernelIiLi16ELi32ELi8ELc84ELc84ELc85ELb0ELb0EdPKdPKS1_PKPdEviT_T9_T10_S7_lS9_S7_lS8_T11_S7_li.has_recursion, 0
	.set _ZL29rocblas_internal_gemmt_kernelIiLi16ELi32ELi8ELc84ELc84ELc85ELb0ELb0EdPKdPKS1_PKPdEviT_T9_T10_S7_lS9_S7_lS8_T11_S7_li.has_indirect_call, 0
	.section	.AMDGPU.csdata,"",@progbits
; Kernel info:
; codeLenInByte = 1320
; TotalNumSgprs: 34
; NumVgprs: 52
; NumAgprs: 0
; TotalNumVgprs: 52
; ScratchSize: 0
; MemoryBound: 0
; FloatMode: 240
; IeeeMode: 1
; LDSByteSize: 4096 bytes/workgroup (compile time only)
; SGPRBlocks: 4
; VGPRBlocks: 6
; NumSGPRsForWavesPerEU: 34
; NumVGPRsForWavesPerEU: 52
; AccumOffset: 52
; Occupancy: 8
; WaveLimiterHint : 1
; COMPUTE_PGM_RSRC2:SCRATCH_EN: 0
; COMPUTE_PGM_RSRC2:USER_SGPR: 2
; COMPUTE_PGM_RSRC2:TRAP_HANDLER: 0
; COMPUTE_PGM_RSRC2:TGID_X_EN: 1
; COMPUTE_PGM_RSRC2:TGID_Y_EN: 1
; COMPUTE_PGM_RSRC2:TGID_Z_EN: 1
; COMPUTE_PGM_RSRC2:TIDIG_COMP_CNT: 1
; COMPUTE_PGM_RSRC3_GFX90A:ACCUM_OFFSET: 12
; COMPUTE_PGM_RSRC3_GFX90A:TG_SPLIT: 0
	.section	.text._ZL29rocblas_internal_gemmt_kernelIiLi16ELi32ELi8ELc84ELc67ELc85ELb0ELb0EdPKdPKS1_PKPdEviT_T9_T10_S7_lS9_S7_lS8_T11_S7_li,"axG",@progbits,_ZL29rocblas_internal_gemmt_kernelIiLi16ELi32ELi8ELc84ELc67ELc85ELb0ELb0EdPKdPKS1_PKPdEviT_T9_T10_S7_lS9_S7_lS8_T11_S7_li,comdat
	.globl	_ZL29rocblas_internal_gemmt_kernelIiLi16ELi32ELi8ELc84ELc67ELc85ELb0ELb0EdPKdPKS1_PKPdEviT_T9_T10_S7_lS9_S7_lS8_T11_S7_li ; -- Begin function _ZL29rocblas_internal_gemmt_kernelIiLi16ELi32ELi8ELc84ELc67ELc85ELb0ELb0EdPKdPKS1_PKPdEviT_T9_T10_S7_lS9_S7_lS8_T11_S7_li
	.p2align	8
	.type	_ZL29rocblas_internal_gemmt_kernelIiLi16ELi32ELi8ELc84ELc67ELc85ELb0ELb0EdPKdPKS1_PKPdEviT_T9_T10_S7_lS9_S7_lS8_T11_S7_li,@function
_ZL29rocblas_internal_gemmt_kernelIiLi16ELi32ELi8ELc84ELc67ELc85ELb0ELb0EdPKdPKS1_PKPdEviT_T9_T10_S7_lS9_S7_lS8_T11_S7_li: ; @_ZL29rocblas_internal_gemmt_kernelIiLi16ELi32ELi8ELc84ELc67ELc85ELb0ELb0EdPKdPKS1_PKPdEviT_T9_T10_S7_lS9_S7_lS8_T11_S7_li
; %bb.0:
	s_load_dwordx4 s[8:11], s[0:1], 0x38
	s_load_dwordx4 s[12:15], s[0:1], 0x8
	s_waitcnt lgkmcnt(0)
	s_load_dwordx2 s[16:17], s[10:11], 0x0
	s_load_dwordx2 s[20:21], s[0:1], 0x0
	;; [unrolled: 1-line block ×3, first 2 shown]
	s_waitcnt lgkmcnt(0)
	v_cmp_neq_f64_e64 s[6:7], s[16:17], 1.0
	s_and_b64 vcc, exec, s[6:7]
	s_cbranch_vccnz .LBB329_2
; %bb.1:
	s_cmp_lg_u32 s21, 0
	s_cselect_b64 s[6:7], -1, 0
	v_cmp_neq_f64_e64 s[10:11], s[18:19], 0
	s_and_b64 s[6:7], s[6:7], s[10:11]
.LBB329_2:
	s_andn2_b64 vcc, exec, s[6:7]
	s_cbranch_vccnz .LBB329_26
; %bb.3:
	s_load_dwordx2 s[10:11], s[0:1], 0x48
	s_mov_b32 s5, 0
	s_lshl_b64 s[6:7], s[4:5], 3
	v_and_b32_e32 v12, 0x3ff, v0
	v_bfe_u32 v13, v0, 10, 10
	s_waitcnt lgkmcnt(0)
	s_add_u32 s10, s10, s6
	s_addc_u32 s11, s11, s7
	s_load_dwordx2 s[10:11], s[10:11], 0x0
	s_lshl_b32 s4, s2, 5
	s_lshl_b32 s12, s3, 5
	s_cmp_lt_i32 s21, 1
	v_cmp_eq_f64_e64 s[2:3], s[18:19], 0
	s_cselect_b64 s[22:23], -1, 0
	s_or_b64 s[2:3], s[2:3], s[22:23]
	v_mov_b64_e32 v[6:7], 0
	s_and_b64 vcc, exec, s[2:3]
	v_mov_b64_e32 v[4:5], 0
	v_mov_b64_e32 v[2:3], 0
	;; [unrolled: 1-line block ×3, first 2 shown]
	s_cbranch_vccnz .LBB329_10
; %bb.4:
	s_load_dword s13, s[0:1], 0x18
	s_load_dword s22, s[0:1], 0x30
	s_load_dwordx4 s[24:27], s[0:1], 0x20
	v_lshl_add_u32 v1, v13, 4, v12
	v_and_b32_e32 v3, 31, v1
	v_lshrrev_b32_e32 v15, 5, v1
	s_waitcnt lgkmcnt(0)
	s_ashr_i32 s23, s22, 31
	v_lshrrev_b32_e32 v2, 3, v1
	v_or_b32_e32 v1, s4, v3
	s_add_u32 s2, s26, s6
	v_and_b32_e32 v14, 7, v12
	s_addc_u32 s3, s27, s7
	v_cmp_gt_i32_e32 vcc, s20, v1
	v_lshlrev_b32_e32 v1, 3, v3
	s_load_dwordx2 s[26:27], s[2:3], 0x0
	s_add_u32 s2, s14, s6
	v_lshl_or_b32 v16, v15, 8, v1
	v_lshlrev_b32_e32 v1, 3, v14
	v_add_u32_e32 v0, s12, v2
	s_addc_u32 s3, s15, s7
	v_lshl_or_b32 v1, v2, 6, v1
	v_mov_b32_e32 v2, 0x800
	s_load_dwordx2 s[6:7], s[2:3], 0x0
	v_lshl_add_u32 v19, v13, 6, v2
	v_add_u32_e32 v2, s4, v3
	v_mad_i64_i32 v[2:3], s[14:15], s13, v2, 0
	s_lshl_b64 s[14:15], s[24:25], 3
	s_nop 0
	v_lshl_add_u64 v[2:3], v[2:3], 3, s[14:15]
	v_lshlrev_b32_e32 v4, 3, v15
	v_mov_b32_e32 v5, 0
	v_lshl_add_u64 v[2:3], v[2:3], 0, v[4:5]
	s_waitcnt lgkmcnt(0)
	v_lshl_add_u64 v[8:9], s[6:7], 0, v[2:3]
	v_mad_i64_i32 v[2:3], s[6:7], s22, v14, 0
	s_lshl_b64 s[6:7], s[8:9], 3
	v_add_u32_e32 v17, 0x800, v1
	v_ashrrev_i32_e32 v1, 31, v0
	v_lshl_add_u64 v[2:3], v[2:3], 3, s[6:7]
	v_cmp_gt_i32_e64 s[2:3], s20, v0
	v_lshl_add_u64 v[0:1], v[0:1], 3, v[2:3]
	v_lshlrev_b32_e32 v18, 3, v12
	v_lshl_add_u64 v[10:11], s[26:27], 0, v[0:1]
	s_lshl_b64 s[8:9], s[22:23], 6
	v_mov_b64_e32 v[0:1], 0
	v_mov_b64_e32 v[2:3], 0
	;; [unrolled: 1-line block ×4, first 2 shown]
	s_branch .LBB329_6
.LBB329_5:                              ;   in Loop: Header=BB329_6 Depth=1
	s_or_b64 exec, exec, s[6:7]
	s_waitcnt vmcnt(0) lgkmcnt(0)
	ds_write_b64 v17, v[20:21]
	s_waitcnt lgkmcnt(0)
	s_barrier
	ds_read2_b64 v[20:23], v18 offset1:16
	ds_read_b128 v[24:27], v19
	ds_read_b128 v[28:31], v19 offset:16
	ds_read_b128 v[32:35], v19 offset:32
	;; [unrolled: 1-line block ×4, first 2 shown]
	ds_read2_b64 v[44:47], v18 offset0:32 offset1:48
	s_waitcnt lgkmcnt(5)
	v_fmac_f64_e32 v[6:7], v[20:21], v[24:25]
	v_fmac_f64_e32 v[4:5], v[22:23], v[24:25]
	ds_read_b128 v[48:51], v19 offset:1040
	s_waitcnt lgkmcnt(2)
	v_fmac_f64_e32 v[2:3], v[20:21], v[40:41]
	v_fmac_f64_e32 v[0:1], v[22:23], v[40:41]
	ds_read2_b64 v[20:23], v18 offset0:64 offset1:80
	s_waitcnt lgkmcnt(2)
	v_fmac_f64_e32 v[6:7], v[44:45], v[26:27]
	v_fmac_f64_e32 v[4:5], v[46:47], v[26:27]
	ds_read2_b64 v[24:27], v18 offset0:96 offset1:112
	v_fmac_f64_e32 v[2:3], v[44:45], v[42:43]
	v_fmac_f64_e32 v[0:1], v[46:47], v[42:43]
	s_waitcnt lgkmcnt(1)
	v_fmac_f64_e32 v[6:7], v[20:21], v[28:29]
	v_fmac_f64_e32 v[4:5], v[22:23], v[28:29]
	ds_read_b128 v[40:43], v19 offset:1072
	v_fmac_f64_e32 v[2:3], v[20:21], v[48:49]
	v_fmac_f64_e32 v[0:1], v[22:23], v[48:49]
	s_waitcnt lgkmcnt(1)
	v_fmac_f64_e32 v[6:7], v[24:25], v[30:31]
	ds_read2_b64 v[20:23], v18 offset0:128 offset1:144
	v_fmac_f64_e32 v[4:5], v[26:27], v[30:31]
	v_fmac_f64_e32 v[2:3], v[24:25], v[50:51]
	;; [unrolled: 1-line block ×3, first 2 shown]
	ds_read_b128 v[24:27], v19 offset:1056
	ds_read2_b64 v[28:31], v18 offset0:160 offset1:176
	s_waitcnt lgkmcnt(2)
	v_fmac_f64_e32 v[6:7], v[20:21], v[32:33]
	v_fmac_f64_e32 v[4:5], v[22:23], v[32:33]
	s_add_i32 s5, s5, 8
	s_waitcnt lgkmcnt(1)
	v_fmac_f64_e32 v[2:3], v[20:21], v[24:25]
	v_fmac_f64_e32 v[0:1], v[22:23], v[24:25]
	ds_read2_b64 v[20:23], v18 offset0:192 offset1:208
	s_waitcnt lgkmcnt(1)
	v_fmac_f64_e32 v[2:3], v[28:29], v[26:27]
	v_fmac_f64_e32 v[0:1], v[30:31], v[26:27]
	ds_read2_b64 v[24:27], v18 offset0:224 offset1:240
	v_fmac_f64_e32 v[6:7], v[28:29], v[34:35]
	v_fmac_f64_e32 v[4:5], v[30:31], v[34:35]
	s_waitcnt lgkmcnt(1)
	v_fmac_f64_e32 v[6:7], v[20:21], v[36:37]
	v_fmac_f64_e32 v[4:5], v[22:23], v[36:37]
	;; [unrolled: 1-line block ×4, first 2 shown]
	s_waitcnt lgkmcnt(0)
	v_fmac_f64_e32 v[6:7], v[24:25], v[38:39]
	v_fmac_f64_e32 v[4:5], v[26:27], v[38:39]
	;; [unrolled: 1-line block ×4, first 2 shown]
	v_lshl_add_u64 v[8:9], v[8:9], 0, 64
	s_cmp_lt_i32 s5, s21
	v_lshl_add_u64 v[10:11], v[10:11], 0, s[8:9]
	s_barrier
	s_cbranch_scc0 .LBB329_10
.LBB329_6:                              ; =>This Inner Loop Header: Depth=1
	v_add_u32_e32 v20, s5, v15
	v_cmp_gt_i32_e64 s[6:7], s21, v20
	s_and_b64 s[14:15], vcc, s[6:7]
	v_mov_b64_e32 v[20:21], 0
	s_and_saveexec_b64 s[6:7], s[14:15]
	s_cbranch_execz .LBB329_8
; %bb.7:                                ;   in Loop: Header=BB329_6 Depth=1
	flat_load_dwordx2 v[20:21], v[8:9]
.LBB329_8:                              ;   in Loop: Header=BB329_6 Depth=1
	s_or_b64 exec, exec, s[6:7]
	s_waitcnt vmcnt(0) lgkmcnt(0)
	ds_write_b64 v16, v[20:21]
	v_add_u32_e32 v20, s5, v14
	v_cmp_gt_i32_e64 s[6:7], s21, v20
	s_and_b64 s[14:15], s[6:7], s[2:3]
	v_mov_b64_e32 v[20:21], 0
	s_and_saveexec_b64 s[6:7], s[14:15]
	s_cbranch_execz .LBB329_5
; %bb.9:                                ;   in Loop: Header=BB329_6 Depth=1
	flat_load_dwordx2 v[20:21], v[10:11]
	s_branch .LBB329_5
.LBB329_10:
	s_load_dwordx2 s[6:7], s[0:1], 0x58
	s_load_dword s8, s[0:1], 0x50
	v_add_u32_e32 v8, s4, v12
	v_add_u32_e32 v14, s12, v13
	v_cmp_gt_i32_e64 s[2:3], s20, v14
	s_waitcnt lgkmcnt(0)
	s_lshl_b64 s[0:1], s[6:7], 3
	s_add_u32 s4, s10, s0
	s_addc_u32 s5, s11, s1
	v_mad_i64_i32 v[10:11], s[0:1], v14, s8, 0
	v_cmp_neq_f64_e64 s[0:1], s[16:17], 0
	v_cmp_le_i32_e32 vcc, v8, v14
	v_lshl_add_u64 v[10:11], v[10:11], 3, s[4:5]
	v_cndmask_b32_e64 v12, 0, 1, s[0:1]
	s_and_b64 s[10:11], s[2:3], vcc
	v_ashrrev_i32_e32 v9, 31, v8
	v_cmp_ne_u32_e64 s[0:1], 1, v12
	s_and_saveexec_b64 s[6:7], s[10:11]
	s_cbranch_execz .LBB329_14
; %bb.11:
	v_mul_f64 v[6:7], s[18:19], v[6:7]
	s_and_b64 vcc, exec, s[0:1]
	v_lshl_add_u64 v[12:13], v[8:9], 3, v[10:11]
	s_cbranch_vccnz .LBB329_13
; %bb.12:
	flat_load_dwordx2 v[16:17], v[12:13]
	s_waitcnt vmcnt(0) lgkmcnt(0)
	v_fmac_f64_e32 v[6:7], s[16:17], v[16:17]
.LBB329_13:
	flat_store_dwordx2 v[12:13], v[6:7]
.LBB329_14:
	s_or_b64 exec, exec, s[6:7]
	v_add_u32_e32 v6, 16, v8
	v_cmp_le_i32_e32 vcc, v6, v14
	s_and_b64 s[6:7], s[2:3], vcc
	v_ashrrev_i32_e32 v7, 31, v6
	s_and_saveexec_b64 s[2:3], s[6:7]
	s_cbranch_execz .LBB329_18
; %bb.15:
	v_mul_f64 v[4:5], s[18:19], v[4:5]
	s_and_b64 vcc, exec, s[0:1]
	v_lshl_add_u64 v[10:11], v[6:7], 3, v[10:11]
	s_cbranch_vccnz .LBB329_17
; %bb.16:
	flat_load_dwordx2 v[12:13], v[10:11]
	s_waitcnt vmcnt(0) lgkmcnt(0)
	v_fmac_f64_e32 v[4:5], s[16:17], v[12:13]
.LBB329_17:
	flat_store_dwordx2 v[10:11], v[4:5]
.LBB329_18:
	s_or_b64 exec, exec, s[2:3]
	v_add_u32_e32 v10, 16, v14
	v_cmp_gt_i32_e64 s[2:3], s20, v10
	v_mad_i64_i32 v[4:5], s[6:7], v10, s8, 0
	v_cmp_le_i32_e32 vcc, v8, v10
	v_lshl_add_u64 v[4:5], v[4:5], 3, s[4:5]
	s_and_b64 s[6:7], s[2:3], vcc
	s_and_saveexec_b64 s[4:5], s[6:7]
	s_cbranch_execz .LBB329_22
; %bb.19:
	v_mul_f64 v[2:3], s[18:19], v[2:3]
	s_and_b64 vcc, exec, s[0:1]
	v_lshl_add_u64 v[8:9], v[8:9], 3, v[4:5]
	s_cbranch_vccnz .LBB329_21
; %bb.20:
	flat_load_dwordx2 v[12:13], v[8:9]
	s_waitcnt vmcnt(0) lgkmcnt(0)
	v_fmac_f64_e32 v[2:3], s[16:17], v[12:13]
.LBB329_21:
	flat_store_dwordx2 v[8:9], v[2:3]
.LBB329_22:
	s_or_b64 exec, exec, s[4:5]
	v_cmp_le_i32_e32 vcc, v6, v10
	s_and_b64 s[2:3], s[2:3], vcc
	s_and_saveexec_b64 s[4:5], s[2:3]
	s_cbranch_execz .LBB329_26
; %bb.23:
	v_mul_f64 v[0:1], s[18:19], v[0:1]
	s_and_b64 vcc, exec, s[0:1]
	v_lshl_add_u64 v[2:3], v[6:7], 3, v[4:5]
	s_cbranch_vccnz .LBB329_25
; %bb.24:
	flat_load_dwordx2 v[4:5], v[2:3]
	s_waitcnt vmcnt(0) lgkmcnt(0)
	v_fmac_f64_e32 v[0:1], s[16:17], v[4:5]
.LBB329_25:
	flat_store_dwordx2 v[2:3], v[0:1]
.LBB329_26:
	s_endpgm
	.section	.rodata,"a",@progbits
	.p2align	6, 0x0
	.amdhsa_kernel _ZL29rocblas_internal_gemmt_kernelIiLi16ELi32ELi8ELc84ELc67ELc85ELb0ELb0EdPKdPKS1_PKPdEviT_T9_T10_S7_lS9_S7_lS8_T11_S7_li
		.amdhsa_group_segment_fixed_size 4096
		.amdhsa_private_segment_fixed_size 0
		.amdhsa_kernarg_size 100
		.amdhsa_user_sgpr_count 2
		.amdhsa_user_sgpr_dispatch_ptr 0
		.amdhsa_user_sgpr_queue_ptr 0
		.amdhsa_user_sgpr_kernarg_segment_ptr 1
		.amdhsa_user_sgpr_dispatch_id 0
		.amdhsa_user_sgpr_kernarg_preload_length 0
		.amdhsa_user_sgpr_kernarg_preload_offset 0
		.amdhsa_user_sgpr_private_segment_size 0
		.amdhsa_uses_dynamic_stack 0
		.amdhsa_enable_private_segment 0
		.amdhsa_system_sgpr_workgroup_id_x 1
		.amdhsa_system_sgpr_workgroup_id_y 1
		.amdhsa_system_sgpr_workgroup_id_z 1
		.amdhsa_system_sgpr_workgroup_info 0
		.amdhsa_system_vgpr_workitem_id 1
		.amdhsa_next_free_vgpr 52
		.amdhsa_next_free_sgpr 28
		.amdhsa_accum_offset 52
		.amdhsa_reserve_vcc 1
		.amdhsa_float_round_mode_32 0
		.amdhsa_float_round_mode_16_64 0
		.amdhsa_float_denorm_mode_32 3
		.amdhsa_float_denorm_mode_16_64 3
		.amdhsa_dx10_clamp 1
		.amdhsa_ieee_mode 1
		.amdhsa_fp16_overflow 0
		.amdhsa_tg_split 0
		.amdhsa_exception_fp_ieee_invalid_op 0
		.amdhsa_exception_fp_denorm_src 0
		.amdhsa_exception_fp_ieee_div_zero 0
		.amdhsa_exception_fp_ieee_overflow 0
		.amdhsa_exception_fp_ieee_underflow 0
		.amdhsa_exception_fp_ieee_inexact 0
		.amdhsa_exception_int_div_zero 0
	.end_amdhsa_kernel
	.section	.text._ZL29rocblas_internal_gemmt_kernelIiLi16ELi32ELi8ELc84ELc67ELc85ELb0ELb0EdPKdPKS1_PKPdEviT_T9_T10_S7_lS9_S7_lS8_T11_S7_li,"axG",@progbits,_ZL29rocblas_internal_gemmt_kernelIiLi16ELi32ELi8ELc84ELc67ELc85ELb0ELb0EdPKdPKS1_PKPdEviT_T9_T10_S7_lS9_S7_lS8_T11_S7_li,comdat
.Lfunc_end329:
	.size	_ZL29rocblas_internal_gemmt_kernelIiLi16ELi32ELi8ELc84ELc67ELc85ELb0ELb0EdPKdPKS1_PKPdEviT_T9_T10_S7_lS9_S7_lS8_T11_S7_li, .Lfunc_end329-_ZL29rocblas_internal_gemmt_kernelIiLi16ELi32ELi8ELc84ELc67ELc85ELb0ELb0EdPKdPKS1_PKPdEviT_T9_T10_S7_lS9_S7_lS8_T11_S7_li
                                        ; -- End function
	.set _ZL29rocblas_internal_gemmt_kernelIiLi16ELi32ELi8ELc84ELc67ELc85ELb0ELb0EdPKdPKS1_PKPdEviT_T9_T10_S7_lS9_S7_lS8_T11_S7_li.num_vgpr, 52
	.set _ZL29rocblas_internal_gemmt_kernelIiLi16ELi32ELi8ELc84ELc67ELc85ELb0ELb0EdPKdPKS1_PKPdEviT_T9_T10_S7_lS9_S7_lS8_T11_S7_li.num_agpr, 0
	.set _ZL29rocblas_internal_gemmt_kernelIiLi16ELi32ELi8ELc84ELc67ELc85ELb0ELb0EdPKdPKS1_PKPdEviT_T9_T10_S7_lS9_S7_lS8_T11_S7_li.numbered_sgpr, 28
	.set _ZL29rocblas_internal_gemmt_kernelIiLi16ELi32ELi8ELc84ELc67ELc85ELb0ELb0EdPKdPKS1_PKPdEviT_T9_T10_S7_lS9_S7_lS8_T11_S7_li.num_named_barrier, 0
	.set _ZL29rocblas_internal_gemmt_kernelIiLi16ELi32ELi8ELc84ELc67ELc85ELb0ELb0EdPKdPKS1_PKPdEviT_T9_T10_S7_lS9_S7_lS8_T11_S7_li.private_seg_size, 0
	.set _ZL29rocblas_internal_gemmt_kernelIiLi16ELi32ELi8ELc84ELc67ELc85ELb0ELb0EdPKdPKS1_PKPdEviT_T9_T10_S7_lS9_S7_lS8_T11_S7_li.uses_vcc, 1
	.set _ZL29rocblas_internal_gemmt_kernelIiLi16ELi32ELi8ELc84ELc67ELc85ELb0ELb0EdPKdPKS1_PKPdEviT_T9_T10_S7_lS9_S7_lS8_T11_S7_li.uses_flat_scratch, 0
	.set _ZL29rocblas_internal_gemmt_kernelIiLi16ELi32ELi8ELc84ELc67ELc85ELb0ELb0EdPKdPKS1_PKPdEviT_T9_T10_S7_lS9_S7_lS8_T11_S7_li.has_dyn_sized_stack, 0
	.set _ZL29rocblas_internal_gemmt_kernelIiLi16ELi32ELi8ELc84ELc67ELc85ELb0ELb0EdPKdPKS1_PKPdEviT_T9_T10_S7_lS9_S7_lS8_T11_S7_li.has_recursion, 0
	.set _ZL29rocblas_internal_gemmt_kernelIiLi16ELi32ELi8ELc84ELc67ELc85ELb0ELb0EdPKdPKS1_PKPdEviT_T9_T10_S7_lS9_S7_lS8_T11_S7_li.has_indirect_call, 0
	.section	.AMDGPU.csdata,"",@progbits
; Kernel info:
; codeLenInByte = 1320
; TotalNumSgprs: 34
; NumVgprs: 52
; NumAgprs: 0
; TotalNumVgprs: 52
; ScratchSize: 0
; MemoryBound: 0
; FloatMode: 240
; IeeeMode: 1
; LDSByteSize: 4096 bytes/workgroup (compile time only)
; SGPRBlocks: 4
; VGPRBlocks: 6
; NumSGPRsForWavesPerEU: 34
; NumVGPRsForWavesPerEU: 52
; AccumOffset: 52
; Occupancy: 8
; WaveLimiterHint : 1
; COMPUTE_PGM_RSRC2:SCRATCH_EN: 0
; COMPUTE_PGM_RSRC2:USER_SGPR: 2
; COMPUTE_PGM_RSRC2:TRAP_HANDLER: 0
; COMPUTE_PGM_RSRC2:TGID_X_EN: 1
; COMPUTE_PGM_RSRC2:TGID_Y_EN: 1
; COMPUTE_PGM_RSRC2:TGID_Z_EN: 1
; COMPUTE_PGM_RSRC2:TIDIG_COMP_CNT: 1
; COMPUTE_PGM_RSRC3_GFX90A:ACCUM_OFFSET: 12
; COMPUTE_PGM_RSRC3_GFX90A:TG_SPLIT: 0
	.section	.text._ZL29rocblas_internal_gemmt_kernelIiLi16ELi32ELi8ELc67ELc78ELc85ELb0ELb0EdPKdPKS1_PKPdEviT_T9_T10_S7_lS9_S7_lS8_T11_S7_li,"axG",@progbits,_ZL29rocblas_internal_gemmt_kernelIiLi16ELi32ELi8ELc67ELc78ELc85ELb0ELb0EdPKdPKS1_PKPdEviT_T9_T10_S7_lS9_S7_lS8_T11_S7_li,comdat
	.globl	_ZL29rocblas_internal_gemmt_kernelIiLi16ELi32ELi8ELc67ELc78ELc85ELb0ELb0EdPKdPKS1_PKPdEviT_T9_T10_S7_lS9_S7_lS8_T11_S7_li ; -- Begin function _ZL29rocblas_internal_gemmt_kernelIiLi16ELi32ELi8ELc67ELc78ELc85ELb0ELb0EdPKdPKS1_PKPdEviT_T9_T10_S7_lS9_S7_lS8_T11_S7_li
	.p2align	8
	.type	_ZL29rocblas_internal_gemmt_kernelIiLi16ELi32ELi8ELc67ELc78ELc85ELb0ELb0EdPKdPKS1_PKPdEviT_T9_T10_S7_lS9_S7_lS8_T11_S7_li,@function
_ZL29rocblas_internal_gemmt_kernelIiLi16ELi32ELi8ELc67ELc78ELc85ELb0ELb0EdPKdPKS1_PKPdEviT_T9_T10_S7_lS9_S7_lS8_T11_S7_li: ; @_ZL29rocblas_internal_gemmt_kernelIiLi16ELi32ELi8ELc67ELc78ELc85ELb0ELb0EdPKdPKS1_PKPdEviT_T9_T10_S7_lS9_S7_lS8_T11_S7_li
; %bb.0:
	s_load_dwordx4 s[8:11], s[0:1], 0x38
	s_load_dwordx4 s[12:15], s[0:1], 0x8
	s_waitcnt lgkmcnt(0)
	s_load_dwordx2 s[16:17], s[10:11], 0x0
	s_load_dwordx2 s[20:21], s[0:1], 0x0
	;; [unrolled: 1-line block ×3, first 2 shown]
	s_waitcnt lgkmcnt(0)
	v_cmp_neq_f64_e64 s[6:7], s[16:17], 1.0
	s_and_b64 vcc, exec, s[6:7]
	s_cbranch_vccnz .LBB330_2
; %bb.1:
	s_cmp_lg_u32 s21, 0
	s_cselect_b64 s[6:7], -1, 0
	v_cmp_neq_f64_e64 s[10:11], s[18:19], 0
	s_and_b64 s[6:7], s[6:7], s[10:11]
.LBB330_2:
	s_andn2_b64 vcc, exec, s[6:7]
	s_cbranch_vccnz .LBB330_26
; %bb.3:
	s_load_dwordx2 s[10:11], s[0:1], 0x48
	s_mov_b32 s5, 0
	s_lshl_b64 s[6:7], s[4:5], 3
	v_and_b32_e32 v12, 0x3ff, v0
	v_bfe_u32 v13, v0, 10, 10
	s_waitcnt lgkmcnt(0)
	s_add_u32 s10, s10, s6
	s_addc_u32 s11, s11, s7
	s_load_dwordx2 s[10:11], s[10:11], 0x0
	s_lshl_b32 s4, s2, 5
	s_lshl_b32 s12, s3, 5
	s_cmp_lt_i32 s21, 1
	v_cmp_eq_f64_e64 s[2:3], s[18:19], 0
	s_cselect_b64 s[22:23], -1, 0
	s_or_b64 s[2:3], s[2:3], s[22:23]
	v_mov_b64_e32 v[6:7], 0
	s_and_b64 vcc, exec, s[2:3]
	v_mov_b64_e32 v[4:5], 0
	v_mov_b64_e32 v[2:3], 0
	;; [unrolled: 1-line block ×3, first 2 shown]
	s_cbranch_vccnz .LBB330_10
; %bb.4:
	s_load_dword s13, s[0:1], 0x18
	s_load_dwordx4 s[24:27], s[0:1], 0x20
	s_load_dword s28, s[0:1], 0x30
	v_lshl_add_u32 v0, v13, 4, v12
	v_and_b32_e32 v2, 31, v0
	v_lshrrev_b32_e32 v15, 5, v0
	v_lshrrev_b32_e32 v1, 3, v0
	v_or_b32_e32 v0, s4, v2
	v_and_b32_e32 v14, 7, v12
	s_waitcnt lgkmcnt(0)
	s_add_u32 s2, s26, s6
	v_cmp_gt_i32_e32 vcc, s20, v0
	v_lshlrev_b32_e32 v0, 3, v2
	s_addc_u32 s3, s27, s7
	v_lshl_or_b32 v16, v15, 8, v0
	v_lshlrev_b32_e32 v0, 3, v14
	v_add_u32_e32 v6, s12, v1
	s_load_dwordx2 s[22:23], s[2:3], 0x0
	s_add_u32 s2, s14, s6
	v_lshl_or_b32 v1, v1, 6, v0
	s_addc_u32 s3, s15, s7
	v_add_u32_e32 v17, 0x800, v1
	v_mov_b32_e32 v1, 0x800
	s_load_dwordx2 s[6:7], s[2:3], 0x0
	v_lshl_add_u32 v19, v13, 6, v1
	v_add_u32_e32 v1, s4, v2
	v_mad_i64_i32 v[2:3], s[14:15], s13, v1, 0
	s_lshl_b64 s[14:15], s[24:25], 3
	s_nop 0
	v_lshl_add_u64 v[2:3], v[2:3], 3, s[14:15]
	v_lshlrev_b32_e32 v4, 3, v15
	v_mov_b32_e32 v5, 0
	v_lshl_add_u64 v[2:3], v[2:3], 0, v[4:5]
	s_waitcnt lgkmcnt(0)
	v_lshl_add_u64 v[8:9], s[6:7], 0, v[2:3]
	v_mad_i64_i32 v[2:3], s[6:7], s28, v6, 0
	s_lshl_b64 s[6:7], s[8:9], 3
	s_nop 0
	v_lshl_add_u64 v[2:3], v[2:3], 3, s[6:7]
	v_mov_b32_e32 v1, v5
	v_lshl_add_u64 v[0:1], v[2:3], 0, v[0:1]
	v_cmp_gt_i32_e64 s[2:3], s20, v6
	v_lshlrev_b32_e32 v18, 3, v12
	v_lshl_add_u64 v[10:11], s[22:23], 0, v[0:1]
	v_mov_b64_e32 v[0:1], 0
	v_mov_b64_e32 v[2:3], 0
	;; [unrolled: 1-line block ×4, first 2 shown]
	s_branch .LBB330_6
.LBB330_5:                              ;   in Loop: Header=BB330_6 Depth=1
	s_or_b64 exec, exec, s[6:7]
	s_waitcnt vmcnt(0) lgkmcnt(0)
	ds_write_b64 v17, v[20:21]
	s_waitcnt lgkmcnt(0)
	s_barrier
	ds_read2_b64 v[20:23], v18 offset1:16
	ds_read_b128 v[24:27], v19
	ds_read_b128 v[28:31], v19 offset:16
	ds_read_b128 v[32:35], v19 offset:32
	;; [unrolled: 1-line block ×4, first 2 shown]
	ds_read2_b64 v[44:47], v18 offset0:32 offset1:48
	s_waitcnt lgkmcnt(5)
	v_fmac_f64_e32 v[6:7], v[20:21], v[24:25]
	v_fmac_f64_e32 v[4:5], v[22:23], v[24:25]
	ds_read_b128 v[48:51], v19 offset:1040
	s_waitcnt lgkmcnt(2)
	v_fmac_f64_e32 v[2:3], v[20:21], v[40:41]
	v_fmac_f64_e32 v[0:1], v[22:23], v[40:41]
	ds_read2_b64 v[20:23], v18 offset0:64 offset1:80
	s_waitcnt lgkmcnt(2)
	v_fmac_f64_e32 v[6:7], v[44:45], v[26:27]
	v_fmac_f64_e32 v[4:5], v[46:47], v[26:27]
	ds_read2_b64 v[24:27], v18 offset0:96 offset1:112
	v_fmac_f64_e32 v[2:3], v[44:45], v[42:43]
	v_fmac_f64_e32 v[0:1], v[46:47], v[42:43]
	s_waitcnt lgkmcnt(1)
	v_fmac_f64_e32 v[6:7], v[20:21], v[28:29]
	v_fmac_f64_e32 v[4:5], v[22:23], v[28:29]
	ds_read_b128 v[40:43], v19 offset:1072
	v_fmac_f64_e32 v[2:3], v[20:21], v[48:49]
	v_fmac_f64_e32 v[0:1], v[22:23], v[48:49]
	s_waitcnt lgkmcnt(1)
	v_fmac_f64_e32 v[6:7], v[24:25], v[30:31]
	ds_read2_b64 v[20:23], v18 offset0:128 offset1:144
	v_fmac_f64_e32 v[4:5], v[26:27], v[30:31]
	v_fmac_f64_e32 v[2:3], v[24:25], v[50:51]
	;; [unrolled: 1-line block ×3, first 2 shown]
	ds_read_b128 v[24:27], v19 offset:1056
	ds_read2_b64 v[28:31], v18 offset0:160 offset1:176
	s_waitcnt lgkmcnt(2)
	v_fmac_f64_e32 v[6:7], v[20:21], v[32:33]
	v_fmac_f64_e32 v[4:5], v[22:23], v[32:33]
	s_add_i32 s5, s5, 8
	s_waitcnt lgkmcnt(1)
	v_fmac_f64_e32 v[2:3], v[20:21], v[24:25]
	v_fmac_f64_e32 v[0:1], v[22:23], v[24:25]
	ds_read2_b64 v[20:23], v18 offset0:192 offset1:208
	s_waitcnt lgkmcnt(1)
	v_fmac_f64_e32 v[2:3], v[28:29], v[26:27]
	v_fmac_f64_e32 v[0:1], v[30:31], v[26:27]
	ds_read2_b64 v[24:27], v18 offset0:224 offset1:240
	v_fmac_f64_e32 v[6:7], v[28:29], v[34:35]
	v_fmac_f64_e32 v[4:5], v[30:31], v[34:35]
	s_waitcnt lgkmcnt(1)
	v_fmac_f64_e32 v[6:7], v[20:21], v[36:37]
	v_fmac_f64_e32 v[4:5], v[22:23], v[36:37]
	;; [unrolled: 1-line block ×4, first 2 shown]
	s_waitcnt lgkmcnt(0)
	v_fmac_f64_e32 v[6:7], v[24:25], v[38:39]
	v_fmac_f64_e32 v[4:5], v[26:27], v[38:39]
	;; [unrolled: 1-line block ×4, first 2 shown]
	v_lshl_add_u64 v[8:9], v[8:9], 0, 64
	s_cmp_lt_i32 s5, s21
	v_lshl_add_u64 v[10:11], v[10:11], 0, 64
	s_barrier
	s_cbranch_scc0 .LBB330_10
.LBB330_6:                              ; =>This Inner Loop Header: Depth=1
	v_add_u32_e32 v20, s5, v15
	v_cmp_gt_i32_e64 s[6:7], s21, v20
	s_and_b64 s[8:9], vcc, s[6:7]
	v_mov_b64_e32 v[20:21], 0
	s_and_saveexec_b64 s[6:7], s[8:9]
	s_cbranch_execz .LBB330_8
; %bb.7:                                ;   in Loop: Header=BB330_6 Depth=1
	flat_load_dwordx2 v[20:21], v[8:9]
.LBB330_8:                              ;   in Loop: Header=BB330_6 Depth=1
	s_or_b64 exec, exec, s[6:7]
	s_waitcnt vmcnt(0) lgkmcnt(0)
	ds_write_b64 v16, v[20:21]
	v_add_u32_e32 v20, s5, v14
	v_cmp_gt_i32_e64 s[6:7], s21, v20
	s_and_b64 s[8:9], s[6:7], s[2:3]
	v_mov_b64_e32 v[20:21], 0
	s_and_saveexec_b64 s[6:7], s[8:9]
	s_cbranch_execz .LBB330_5
; %bb.9:                                ;   in Loop: Header=BB330_6 Depth=1
	flat_load_dwordx2 v[20:21], v[10:11]
	s_branch .LBB330_5
.LBB330_10:
	s_load_dwordx2 s[6:7], s[0:1], 0x58
	s_load_dword s8, s[0:1], 0x50
	v_add_u32_e32 v8, s4, v12
	v_add_u32_e32 v14, s12, v13
	v_cmp_gt_i32_e64 s[2:3], s20, v14
	s_waitcnt lgkmcnt(0)
	s_lshl_b64 s[0:1], s[6:7], 3
	s_add_u32 s4, s10, s0
	s_addc_u32 s5, s11, s1
	v_mad_i64_i32 v[10:11], s[0:1], v14, s8, 0
	v_cmp_neq_f64_e64 s[0:1], s[16:17], 0
	v_cmp_le_i32_e32 vcc, v8, v14
	v_lshl_add_u64 v[10:11], v[10:11], 3, s[4:5]
	v_cndmask_b32_e64 v12, 0, 1, s[0:1]
	s_and_b64 s[10:11], s[2:3], vcc
	v_ashrrev_i32_e32 v9, 31, v8
	v_cmp_ne_u32_e64 s[0:1], 1, v12
	s_and_saveexec_b64 s[6:7], s[10:11]
	s_cbranch_execz .LBB330_14
; %bb.11:
	v_mul_f64 v[6:7], s[18:19], v[6:7]
	s_and_b64 vcc, exec, s[0:1]
	v_lshl_add_u64 v[12:13], v[8:9], 3, v[10:11]
	s_cbranch_vccnz .LBB330_13
; %bb.12:
	flat_load_dwordx2 v[16:17], v[12:13]
	s_waitcnt vmcnt(0) lgkmcnt(0)
	v_fmac_f64_e32 v[6:7], s[16:17], v[16:17]
.LBB330_13:
	flat_store_dwordx2 v[12:13], v[6:7]
.LBB330_14:
	s_or_b64 exec, exec, s[6:7]
	v_add_u32_e32 v6, 16, v8
	v_cmp_le_i32_e32 vcc, v6, v14
	s_and_b64 s[6:7], s[2:3], vcc
	v_ashrrev_i32_e32 v7, 31, v6
	s_and_saveexec_b64 s[2:3], s[6:7]
	s_cbranch_execz .LBB330_18
; %bb.15:
	v_mul_f64 v[4:5], s[18:19], v[4:5]
	s_and_b64 vcc, exec, s[0:1]
	v_lshl_add_u64 v[10:11], v[6:7], 3, v[10:11]
	s_cbranch_vccnz .LBB330_17
; %bb.16:
	flat_load_dwordx2 v[12:13], v[10:11]
	s_waitcnt vmcnt(0) lgkmcnt(0)
	v_fmac_f64_e32 v[4:5], s[16:17], v[12:13]
.LBB330_17:
	flat_store_dwordx2 v[10:11], v[4:5]
.LBB330_18:
	s_or_b64 exec, exec, s[2:3]
	v_add_u32_e32 v10, 16, v14
	v_cmp_gt_i32_e64 s[2:3], s20, v10
	v_mad_i64_i32 v[4:5], s[6:7], v10, s8, 0
	v_cmp_le_i32_e32 vcc, v8, v10
	v_lshl_add_u64 v[4:5], v[4:5], 3, s[4:5]
	s_and_b64 s[6:7], s[2:3], vcc
	s_and_saveexec_b64 s[4:5], s[6:7]
	s_cbranch_execz .LBB330_22
; %bb.19:
	v_mul_f64 v[2:3], s[18:19], v[2:3]
	s_and_b64 vcc, exec, s[0:1]
	v_lshl_add_u64 v[8:9], v[8:9], 3, v[4:5]
	s_cbranch_vccnz .LBB330_21
; %bb.20:
	flat_load_dwordx2 v[12:13], v[8:9]
	s_waitcnt vmcnt(0) lgkmcnt(0)
	v_fmac_f64_e32 v[2:3], s[16:17], v[12:13]
.LBB330_21:
	flat_store_dwordx2 v[8:9], v[2:3]
.LBB330_22:
	s_or_b64 exec, exec, s[4:5]
	v_cmp_le_i32_e32 vcc, v6, v10
	s_and_b64 s[2:3], s[2:3], vcc
	s_and_saveexec_b64 s[4:5], s[2:3]
	s_cbranch_execz .LBB330_26
; %bb.23:
	v_mul_f64 v[0:1], s[18:19], v[0:1]
	s_and_b64 vcc, exec, s[0:1]
	v_lshl_add_u64 v[2:3], v[6:7], 3, v[4:5]
	s_cbranch_vccnz .LBB330_25
; %bb.24:
	flat_load_dwordx2 v[4:5], v[2:3]
	s_waitcnt vmcnt(0) lgkmcnt(0)
	v_fmac_f64_e32 v[0:1], s[16:17], v[4:5]
.LBB330_25:
	flat_store_dwordx2 v[2:3], v[0:1]
.LBB330_26:
	s_endpgm
	.section	.rodata,"a",@progbits
	.p2align	6, 0x0
	.amdhsa_kernel _ZL29rocblas_internal_gemmt_kernelIiLi16ELi32ELi8ELc67ELc78ELc85ELb0ELb0EdPKdPKS1_PKPdEviT_T9_T10_S7_lS9_S7_lS8_T11_S7_li
		.amdhsa_group_segment_fixed_size 4096
		.amdhsa_private_segment_fixed_size 0
		.amdhsa_kernarg_size 100
		.amdhsa_user_sgpr_count 2
		.amdhsa_user_sgpr_dispatch_ptr 0
		.amdhsa_user_sgpr_queue_ptr 0
		.amdhsa_user_sgpr_kernarg_segment_ptr 1
		.amdhsa_user_sgpr_dispatch_id 0
		.amdhsa_user_sgpr_kernarg_preload_length 0
		.amdhsa_user_sgpr_kernarg_preload_offset 0
		.amdhsa_user_sgpr_private_segment_size 0
		.amdhsa_uses_dynamic_stack 0
		.amdhsa_enable_private_segment 0
		.amdhsa_system_sgpr_workgroup_id_x 1
		.amdhsa_system_sgpr_workgroup_id_y 1
		.amdhsa_system_sgpr_workgroup_id_z 1
		.amdhsa_system_sgpr_workgroup_info 0
		.amdhsa_system_vgpr_workitem_id 1
		.amdhsa_next_free_vgpr 52
		.amdhsa_next_free_sgpr 29
		.amdhsa_accum_offset 52
		.amdhsa_reserve_vcc 1
		.amdhsa_float_round_mode_32 0
		.amdhsa_float_round_mode_16_64 0
		.amdhsa_float_denorm_mode_32 3
		.amdhsa_float_denorm_mode_16_64 3
		.amdhsa_dx10_clamp 1
		.amdhsa_ieee_mode 1
		.amdhsa_fp16_overflow 0
		.amdhsa_tg_split 0
		.amdhsa_exception_fp_ieee_invalid_op 0
		.amdhsa_exception_fp_denorm_src 0
		.amdhsa_exception_fp_ieee_div_zero 0
		.amdhsa_exception_fp_ieee_overflow 0
		.amdhsa_exception_fp_ieee_underflow 0
		.amdhsa_exception_fp_ieee_inexact 0
		.amdhsa_exception_int_div_zero 0
	.end_amdhsa_kernel
	.section	.text._ZL29rocblas_internal_gemmt_kernelIiLi16ELi32ELi8ELc67ELc78ELc85ELb0ELb0EdPKdPKS1_PKPdEviT_T9_T10_S7_lS9_S7_lS8_T11_S7_li,"axG",@progbits,_ZL29rocblas_internal_gemmt_kernelIiLi16ELi32ELi8ELc67ELc78ELc85ELb0ELb0EdPKdPKS1_PKPdEviT_T9_T10_S7_lS9_S7_lS8_T11_S7_li,comdat
.Lfunc_end330:
	.size	_ZL29rocblas_internal_gemmt_kernelIiLi16ELi32ELi8ELc67ELc78ELc85ELb0ELb0EdPKdPKS1_PKPdEviT_T9_T10_S7_lS9_S7_lS8_T11_S7_li, .Lfunc_end330-_ZL29rocblas_internal_gemmt_kernelIiLi16ELi32ELi8ELc67ELc78ELc85ELb0ELb0EdPKdPKS1_PKPdEviT_T9_T10_S7_lS9_S7_lS8_T11_S7_li
                                        ; -- End function
	.set _ZL29rocblas_internal_gemmt_kernelIiLi16ELi32ELi8ELc67ELc78ELc85ELb0ELb0EdPKdPKS1_PKPdEviT_T9_T10_S7_lS9_S7_lS8_T11_S7_li.num_vgpr, 52
	.set _ZL29rocblas_internal_gemmt_kernelIiLi16ELi32ELi8ELc67ELc78ELc85ELb0ELb0EdPKdPKS1_PKPdEviT_T9_T10_S7_lS9_S7_lS8_T11_S7_li.num_agpr, 0
	.set _ZL29rocblas_internal_gemmt_kernelIiLi16ELi32ELi8ELc67ELc78ELc85ELb0ELb0EdPKdPKS1_PKPdEviT_T9_T10_S7_lS9_S7_lS8_T11_S7_li.numbered_sgpr, 29
	.set _ZL29rocblas_internal_gemmt_kernelIiLi16ELi32ELi8ELc67ELc78ELc85ELb0ELb0EdPKdPKS1_PKPdEviT_T9_T10_S7_lS9_S7_lS8_T11_S7_li.num_named_barrier, 0
	.set _ZL29rocblas_internal_gemmt_kernelIiLi16ELi32ELi8ELc67ELc78ELc85ELb0ELb0EdPKdPKS1_PKPdEviT_T9_T10_S7_lS9_S7_lS8_T11_S7_li.private_seg_size, 0
	.set _ZL29rocblas_internal_gemmt_kernelIiLi16ELi32ELi8ELc67ELc78ELc85ELb0ELb0EdPKdPKS1_PKPdEviT_T9_T10_S7_lS9_S7_lS8_T11_S7_li.uses_vcc, 1
	.set _ZL29rocblas_internal_gemmt_kernelIiLi16ELi32ELi8ELc67ELc78ELc85ELb0ELb0EdPKdPKS1_PKPdEviT_T9_T10_S7_lS9_S7_lS8_T11_S7_li.uses_flat_scratch, 0
	.set _ZL29rocblas_internal_gemmt_kernelIiLi16ELi32ELi8ELc67ELc78ELc85ELb0ELb0EdPKdPKS1_PKPdEviT_T9_T10_S7_lS9_S7_lS8_T11_S7_li.has_dyn_sized_stack, 0
	.set _ZL29rocblas_internal_gemmt_kernelIiLi16ELi32ELi8ELc67ELc78ELc85ELb0ELb0EdPKdPKS1_PKPdEviT_T9_T10_S7_lS9_S7_lS8_T11_S7_li.has_recursion, 0
	.set _ZL29rocblas_internal_gemmt_kernelIiLi16ELi32ELi8ELc67ELc78ELc85ELb0ELb0EdPKdPKS1_PKPdEviT_T9_T10_S7_lS9_S7_lS8_T11_S7_li.has_indirect_call, 0
	.section	.AMDGPU.csdata,"",@progbits
; Kernel info:
; codeLenInByte = 1316
; TotalNumSgprs: 35
; NumVgprs: 52
; NumAgprs: 0
; TotalNumVgprs: 52
; ScratchSize: 0
; MemoryBound: 0
; FloatMode: 240
; IeeeMode: 1
; LDSByteSize: 4096 bytes/workgroup (compile time only)
; SGPRBlocks: 4
; VGPRBlocks: 6
; NumSGPRsForWavesPerEU: 35
; NumVGPRsForWavesPerEU: 52
; AccumOffset: 52
; Occupancy: 8
; WaveLimiterHint : 1
; COMPUTE_PGM_RSRC2:SCRATCH_EN: 0
; COMPUTE_PGM_RSRC2:USER_SGPR: 2
; COMPUTE_PGM_RSRC2:TRAP_HANDLER: 0
; COMPUTE_PGM_RSRC2:TGID_X_EN: 1
; COMPUTE_PGM_RSRC2:TGID_Y_EN: 1
; COMPUTE_PGM_RSRC2:TGID_Z_EN: 1
; COMPUTE_PGM_RSRC2:TIDIG_COMP_CNT: 1
; COMPUTE_PGM_RSRC3_GFX90A:ACCUM_OFFSET: 12
; COMPUTE_PGM_RSRC3_GFX90A:TG_SPLIT: 0
	.section	.text._ZL29rocblas_internal_gemmt_kernelIiLi16ELi32ELi8ELc67ELc84ELc85ELb0ELb0EdPKdPKS1_PKPdEviT_T9_T10_S7_lS9_S7_lS8_T11_S7_li,"axG",@progbits,_ZL29rocblas_internal_gemmt_kernelIiLi16ELi32ELi8ELc67ELc84ELc85ELb0ELb0EdPKdPKS1_PKPdEviT_T9_T10_S7_lS9_S7_lS8_T11_S7_li,comdat
	.globl	_ZL29rocblas_internal_gemmt_kernelIiLi16ELi32ELi8ELc67ELc84ELc85ELb0ELb0EdPKdPKS1_PKPdEviT_T9_T10_S7_lS9_S7_lS8_T11_S7_li ; -- Begin function _ZL29rocblas_internal_gemmt_kernelIiLi16ELi32ELi8ELc67ELc84ELc85ELb0ELb0EdPKdPKS1_PKPdEviT_T9_T10_S7_lS9_S7_lS8_T11_S7_li
	.p2align	8
	.type	_ZL29rocblas_internal_gemmt_kernelIiLi16ELi32ELi8ELc67ELc84ELc85ELb0ELb0EdPKdPKS1_PKPdEviT_T9_T10_S7_lS9_S7_lS8_T11_S7_li,@function
_ZL29rocblas_internal_gemmt_kernelIiLi16ELi32ELi8ELc67ELc84ELc85ELb0ELb0EdPKdPKS1_PKPdEviT_T9_T10_S7_lS9_S7_lS8_T11_S7_li: ; @_ZL29rocblas_internal_gemmt_kernelIiLi16ELi32ELi8ELc67ELc84ELc85ELb0ELb0EdPKdPKS1_PKPdEviT_T9_T10_S7_lS9_S7_lS8_T11_S7_li
; %bb.0:
	s_load_dwordx4 s[8:11], s[0:1], 0x38
	s_load_dwordx4 s[12:15], s[0:1], 0x8
	s_waitcnt lgkmcnt(0)
	s_load_dwordx2 s[16:17], s[10:11], 0x0
	s_load_dwordx2 s[20:21], s[0:1], 0x0
	;; [unrolled: 1-line block ×3, first 2 shown]
	s_waitcnt lgkmcnt(0)
	v_cmp_neq_f64_e64 s[6:7], s[16:17], 1.0
	s_and_b64 vcc, exec, s[6:7]
	s_cbranch_vccnz .LBB331_2
; %bb.1:
	s_cmp_lg_u32 s21, 0
	s_cselect_b64 s[6:7], -1, 0
	v_cmp_neq_f64_e64 s[10:11], s[18:19], 0
	s_and_b64 s[6:7], s[6:7], s[10:11]
.LBB331_2:
	s_andn2_b64 vcc, exec, s[6:7]
	s_cbranch_vccnz .LBB331_26
; %bb.3:
	s_load_dwordx2 s[10:11], s[0:1], 0x48
	s_mov_b32 s5, 0
	s_lshl_b64 s[6:7], s[4:5], 3
	v_and_b32_e32 v12, 0x3ff, v0
	v_bfe_u32 v13, v0, 10, 10
	s_waitcnt lgkmcnt(0)
	s_add_u32 s10, s10, s6
	s_addc_u32 s11, s11, s7
	s_load_dwordx2 s[10:11], s[10:11], 0x0
	s_lshl_b32 s4, s2, 5
	s_lshl_b32 s12, s3, 5
	s_cmp_lt_i32 s21, 1
	v_cmp_eq_f64_e64 s[2:3], s[18:19], 0
	s_cselect_b64 s[22:23], -1, 0
	s_or_b64 s[2:3], s[2:3], s[22:23]
	v_mov_b64_e32 v[6:7], 0
	s_and_b64 vcc, exec, s[2:3]
	v_mov_b64_e32 v[4:5], 0
	v_mov_b64_e32 v[2:3], 0
	;; [unrolled: 1-line block ×3, first 2 shown]
	s_cbranch_vccnz .LBB331_10
; %bb.4:
	s_load_dword s13, s[0:1], 0x18
	s_load_dword s22, s[0:1], 0x30
	s_load_dwordx4 s[24:27], s[0:1], 0x20
	v_lshl_add_u32 v1, v13, 4, v12
	v_and_b32_e32 v3, 31, v1
	v_lshrrev_b32_e32 v15, 5, v1
	s_waitcnt lgkmcnt(0)
	s_ashr_i32 s23, s22, 31
	v_lshrrev_b32_e32 v2, 3, v1
	v_or_b32_e32 v1, s4, v3
	s_add_u32 s2, s26, s6
	v_and_b32_e32 v14, 7, v12
	s_addc_u32 s3, s27, s7
	v_cmp_gt_i32_e32 vcc, s20, v1
	v_lshlrev_b32_e32 v1, 3, v3
	s_load_dwordx2 s[26:27], s[2:3], 0x0
	s_add_u32 s2, s14, s6
	v_lshl_or_b32 v16, v15, 8, v1
	v_lshlrev_b32_e32 v1, 3, v14
	v_add_u32_e32 v0, s12, v2
	s_addc_u32 s3, s15, s7
	v_lshl_or_b32 v1, v2, 6, v1
	v_mov_b32_e32 v2, 0x800
	s_load_dwordx2 s[6:7], s[2:3], 0x0
	v_lshl_add_u32 v19, v13, 6, v2
	v_add_u32_e32 v2, s4, v3
	v_mad_i64_i32 v[2:3], s[14:15], s13, v2, 0
	s_lshl_b64 s[14:15], s[24:25], 3
	s_nop 0
	v_lshl_add_u64 v[2:3], v[2:3], 3, s[14:15]
	v_lshlrev_b32_e32 v4, 3, v15
	v_mov_b32_e32 v5, 0
	v_lshl_add_u64 v[2:3], v[2:3], 0, v[4:5]
	s_waitcnt lgkmcnt(0)
	v_lshl_add_u64 v[8:9], s[6:7], 0, v[2:3]
	v_mad_i64_i32 v[2:3], s[6:7], s22, v14, 0
	s_lshl_b64 s[6:7], s[8:9], 3
	v_add_u32_e32 v17, 0x800, v1
	v_ashrrev_i32_e32 v1, 31, v0
	v_lshl_add_u64 v[2:3], v[2:3], 3, s[6:7]
	v_cmp_gt_i32_e64 s[2:3], s20, v0
	v_lshl_add_u64 v[0:1], v[0:1], 3, v[2:3]
	v_lshlrev_b32_e32 v18, 3, v12
	v_lshl_add_u64 v[10:11], s[26:27], 0, v[0:1]
	s_lshl_b64 s[8:9], s[22:23], 6
	v_mov_b64_e32 v[0:1], 0
	v_mov_b64_e32 v[2:3], 0
	;; [unrolled: 1-line block ×4, first 2 shown]
	s_branch .LBB331_6
.LBB331_5:                              ;   in Loop: Header=BB331_6 Depth=1
	s_or_b64 exec, exec, s[6:7]
	s_waitcnt vmcnt(0) lgkmcnt(0)
	ds_write_b64 v17, v[20:21]
	s_waitcnt lgkmcnt(0)
	s_barrier
	ds_read2_b64 v[20:23], v18 offset1:16
	ds_read_b128 v[24:27], v19
	ds_read_b128 v[28:31], v19 offset:16
	ds_read_b128 v[32:35], v19 offset:32
	;; [unrolled: 1-line block ×4, first 2 shown]
	ds_read2_b64 v[44:47], v18 offset0:32 offset1:48
	s_waitcnt lgkmcnt(5)
	v_fmac_f64_e32 v[6:7], v[20:21], v[24:25]
	v_fmac_f64_e32 v[4:5], v[22:23], v[24:25]
	ds_read_b128 v[48:51], v19 offset:1040
	s_waitcnt lgkmcnt(2)
	v_fmac_f64_e32 v[2:3], v[20:21], v[40:41]
	v_fmac_f64_e32 v[0:1], v[22:23], v[40:41]
	ds_read2_b64 v[20:23], v18 offset0:64 offset1:80
	s_waitcnt lgkmcnt(2)
	v_fmac_f64_e32 v[6:7], v[44:45], v[26:27]
	v_fmac_f64_e32 v[4:5], v[46:47], v[26:27]
	ds_read2_b64 v[24:27], v18 offset0:96 offset1:112
	v_fmac_f64_e32 v[2:3], v[44:45], v[42:43]
	v_fmac_f64_e32 v[0:1], v[46:47], v[42:43]
	s_waitcnt lgkmcnt(1)
	v_fmac_f64_e32 v[6:7], v[20:21], v[28:29]
	v_fmac_f64_e32 v[4:5], v[22:23], v[28:29]
	ds_read_b128 v[40:43], v19 offset:1072
	v_fmac_f64_e32 v[2:3], v[20:21], v[48:49]
	v_fmac_f64_e32 v[0:1], v[22:23], v[48:49]
	s_waitcnt lgkmcnt(1)
	v_fmac_f64_e32 v[6:7], v[24:25], v[30:31]
	ds_read2_b64 v[20:23], v18 offset0:128 offset1:144
	v_fmac_f64_e32 v[4:5], v[26:27], v[30:31]
	v_fmac_f64_e32 v[2:3], v[24:25], v[50:51]
	;; [unrolled: 1-line block ×3, first 2 shown]
	ds_read_b128 v[24:27], v19 offset:1056
	ds_read2_b64 v[28:31], v18 offset0:160 offset1:176
	s_waitcnt lgkmcnt(2)
	v_fmac_f64_e32 v[6:7], v[20:21], v[32:33]
	v_fmac_f64_e32 v[4:5], v[22:23], v[32:33]
	s_add_i32 s5, s5, 8
	s_waitcnt lgkmcnt(1)
	v_fmac_f64_e32 v[2:3], v[20:21], v[24:25]
	v_fmac_f64_e32 v[0:1], v[22:23], v[24:25]
	ds_read2_b64 v[20:23], v18 offset0:192 offset1:208
	s_waitcnt lgkmcnt(1)
	v_fmac_f64_e32 v[2:3], v[28:29], v[26:27]
	v_fmac_f64_e32 v[0:1], v[30:31], v[26:27]
	ds_read2_b64 v[24:27], v18 offset0:224 offset1:240
	v_fmac_f64_e32 v[6:7], v[28:29], v[34:35]
	v_fmac_f64_e32 v[4:5], v[30:31], v[34:35]
	s_waitcnt lgkmcnt(1)
	v_fmac_f64_e32 v[6:7], v[20:21], v[36:37]
	v_fmac_f64_e32 v[4:5], v[22:23], v[36:37]
	;; [unrolled: 1-line block ×4, first 2 shown]
	s_waitcnt lgkmcnt(0)
	v_fmac_f64_e32 v[6:7], v[24:25], v[38:39]
	v_fmac_f64_e32 v[4:5], v[26:27], v[38:39]
	;; [unrolled: 1-line block ×4, first 2 shown]
	v_lshl_add_u64 v[8:9], v[8:9], 0, 64
	s_cmp_lt_i32 s5, s21
	v_lshl_add_u64 v[10:11], v[10:11], 0, s[8:9]
	s_barrier
	s_cbranch_scc0 .LBB331_10
.LBB331_6:                              ; =>This Inner Loop Header: Depth=1
	v_add_u32_e32 v20, s5, v15
	v_cmp_gt_i32_e64 s[6:7], s21, v20
	s_and_b64 s[14:15], vcc, s[6:7]
	v_mov_b64_e32 v[20:21], 0
	s_and_saveexec_b64 s[6:7], s[14:15]
	s_cbranch_execz .LBB331_8
; %bb.7:                                ;   in Loop: Header=BB331_6 Depth=1
	flat_load_dwordx2 v[20:21], v[8:9]
.LBB331_8:                              ;   in Loop: Header=BB331_6 Depth=1
	s_or_b64 exec, exec, s[6:7]
	s_waitcnt vmcnt(0) lgkmcnt(0)
	ds_write_b64 v16, v[20:21]
	v_add_u32_e32 v20, s5, v14
	v_cmp_gt_i32_e64 s[6:7], s21, v20
	s_and_b64 s[14:15], s[6:7], s[2:3]
	v_mov_b64_e32 v[20:21], 0
	s_and_saveexec_b64 s[6:7], s[14:15]
	s_cbranch_execz .LBB331_5
; %bb.9:                                ;   in Loop: Header=BB331_6 Depth=1
	flat_load_dwordx2 v[20:21], v[10:11]
	s_branch .LBB331_5
.LBB331_10:
	s_load_dwordx2 s[6:7], s[0:1], 0x58
	s_load_dword s8, s[0:1], 0x50
	v_add_u32_e32 v8, s4, v12
	v_add_u32_e32 v14, s12, v13
	v_cmp_gt_i32_e64 s[2:3], s20, v14
	s_waitcnt lgkmcnt(0)
	s_lshl_b64 s[0:1], s[6:7], 3
	s_add_u32 s4, s10, s0
	s_addc_u32 s5, s11, s1
	v_mad_i64_i32 v[10:11], s[0:1], v14, s8, 0
	v_cmp_neq_f64_e64 s[0:1], s[16:17], 0
	v_cmp_le_i32_e32 vcc, v8, v14
	v_lshl_add_u64 v[10:11], v[10:11], 3, s[4:5]
	v_cndmask_b32_e64 v12, 0, 1, s[0:1]
	s_and_b64 s[10:11], s[2:3], vcc
	v_ashrrev_i32_e32 v9, 31, v8
	v_cmp_ne_u32_e64 s[0:1], 1, v12
	s_and_saveexec_b64 s[6:7], s[10:11]
	s_cbranch_execz .LBB331_14
; %bb.11:
	v_mul_f64 v[6:7], s[18:19], v[6:7]
	s_and_b64 vcc, exec, s[0:1]
	v_lshl_add_u64 v[12:13], v[8:9], 3, v[10:11]
	s_cbranch_vccnz .LBB331_13
; %bb.12:
	flat_load_dwordx2 v[16:17], v[12:13]
	s_waitcnt vmcnt(0) lgkmcnt(0)
	v_fmac_f64_e32 v[6:7], s[16:17], v[16:17]
.LBB331_13:
	flat_store_dwordx2 v[12:13], v[6:7]
.LBB331_14:
	s_or_b64 exec, exec, s[6:7]
	v_add_u32_e32 v6, 16, v8
	v_cmp_le_i32_e32 vcc, v6, v14
	s_and_b64 s[6:7], s[2:3], vcc
	v_ashrrev_i32_e32 v7, 31, v6
	s_and_saveexec_b64 s[2:3], s[6:7]
	s_cbranch_execz .LBB331_18
; %bb.15:
	v_mul_f64 v[4:5], s[18:19], v[4:5]
	s_and_b64 vcc, exec, s[0:1]
	v_lshl_add_u64 v[10:11], v[6:7], 3, v[10:11]
	s_cbranch_vccnz .LBB331_17
; %bb.16:
	flat_load_dwordx2 v[12:13], v[10:11]
	s_waitcnt vmcnt(0) lgkmcnt(0)
	v_fmac_f64_e32 v[4:5], s[16:17], v[12:13]
.LBB331_17:
	flat_store_dwordx2 v[10:11], v[4:5]
.LBB331_18:
	s_or_b64 exec, exec, s[2:3]
	v_add_u32_e32 v10, 16, v14
	v_cmp_gt_i32_e64 s[2:3], s20, v10
	v_mad_i64_i32 v[4:5], s[6:7], v10, s8, 0
	v_cmp_le_i32_e32 vcc, v8, v10
	v_lshl_add_u64 v[4:5], v[4:5], 3, s[4:5]
	s_and_b64 s[6:7], s[2:3], vcc
	s_and_saveexec_b64 s[4:5], s[6:7]
	s_cbranch_execz .LBB331_22
; %bb.19:
	v_mul_f64 v[2:3], s[18:19], v[2:3]
	s_and_b64 vcc, exec, s[0:1]
	v_lshl_add_u64 v[8:9], v[8:9], 3, v[4:5]
	s_cbranch_vccnz .LBB331_21
; %bb.20:
	flat_load_dwordx2 v[12:13], v[8:9]
	s_waitcnt vmcnt(0) lgkmcnt(0)
	v_fmac_f64_e32 v[2:3], s[16:17], v[12:13]
.LBB331_21:
	flat_store_dwordx2 v[8:9], v[2:3]
.LBB331_22:
	s_or_b64 exec, exec, s[4:5]
	v_cmp_le_i32_e32 vcc, v6, v10
	s_and_b64 s[2:3], s[2:3], vcc
	s_and_saveexec_b64 s[4:5], s[2:3]
	s_cbranch_execz .LBB331_26
; %bb.23:
	v_mul_f64 v[0:1], s[18:19], v[0:1]
	s_and_b64 vcc, exec, s[0:1]
	v_lshl_add_u64 v[2:3], v[6:7], 3, v[4:5]
	s_cbranch_vccnz .LBB331_25
; %bb.24:
	flat_load_dwordx2 v[4:5], v[2:3]
	s_waitcnt vmcnt(0) lgkmcnt(0)
	v_fmac_f64_e32 v[0:1], s[16:17], v[4:5]
.LBB331_25:
	flat_store_dwordx2 v[2:3], v[0:1]
.LBB331_26:
	s_endpgm
	.section	.rodata,"a",@progbits
	.p2align	6, 0x0
	.amdhsa_kernel _ZL29rocblas_internal_gemmt_kernelIiLi16ELi32ELi8ELc67ELc84ELc85ELb0ELb0EdPKdPKS1_PKPdEviT_T9_T10_S7_lS9_S7_lS8_T11_S7_li
		.amdhsa_group_segment_fixed_size 4096
		.amdhsa_private_segment_fixed_size 0
		.amdhsa_kernarg_size 100
		.amdhsa_user_sgpr_count 2
		.amdhsa_user_sgpr_dispatch_ptr 0
		.amdhsa_user_sgpr_queue_ptr 0
		.amdhsa_user_sgpr_kernarg_segment_ptr 1
		.amdhsa_user_sgpr_dispatch_id 0
		.amdhsa_user_sgpr_kernarg_preload_length 0
		.amdhsa_user_sgpr_kernarg_preload_offset 0
		.amdhsa_user_sgpr_private_segment_size 0
		.amdhsa_uses_dynamic_stack 0
		.amdhsa_enable_private_segment 0
		.amdhsa_system_sgpr_workgroup_id_x 1
		.amdhsa_system_sgpr_workgroup_id_y 1
		.amdhsa_system_sgpr_workgroup_id_z 1
		.amdhsa_system_sgpr_workgroup_info 0
		.amdhsa_system_vgpr_workitem_id 1
		.amdhsa_next_free_vgpr 52
		.amdhsa_next_free_sgpr 28
		.amdhsa_accum_offset 52
		.amdhsa_reserve_vcc 1
		.amdhsa_float_round_mode_32 0
		.amdhsa_float_round_mode_16_64 0
		.amdhsa_float_denorm_mode_32 3
		.amdhsa_float_denorm_mode_16_64 3
		.amdhsa_dx10_clamp 1
		.amdhsa_ieee_mode 1
		.amdhsa_fp16_overflow 0
		.amdhsa_tg_split 0
		.amdhsa_exception_fp_ieee_invalid_op 0
		.amdhsa_exception_fp_denorm_src 0
		.amdhsa_exception_fp_ieee_div_zero 0
		.amdhsa_exception_fp_ieee_overflow 0
		.amdhsa_exception_fp_ieee_underflow 0
		.amdhsa_exception_fp_ieee_inexact 0
		.amdhsa_exception_int_div_zero 0
	.end_amdhsa_kernel
	.section	.text._ZL29rocblas_internal_gemmt_kernelIiLi16ELi32ELi8ELc67ELc84ELc85ELb0ELb0EdPKdPKS1_PKPdEviT_T9_T10_S7_lS9_S7_lS8_T11_S7_li,"axG",@progbits,_ZL29rocblas_internal_gemmt_kernelIiLi16ELi32ELi8ELc67ELc84ELc85ELb0ELb0EdPKdPKS1_PKPdEviT_T9_T10_S7_lS9_S7_lS8_T11_S7_li,comdat
.Lfunc_end331:
	.size	_ZL29rocblas_internal_gemmt_kernelIiLi16ELi32ELi8ELc67ELc84ELc85ELb0ELb0EdPKdPKS1_PKPdEviT_T9_T10_S7_lS9_S7_lS8_T11_S7_li, .Lfunc_end331-_ZL29rocblas_internal_gemmt_kernelIiLi16ELi32ELi8ELc67ELc84ELc85ELb0ELb0EdPKdPKS1_PKPdEviT_T9_T10_S7_lS9_S7_lS8_T11_S7_li
                                        ; -- End function
	.set _ZL29rocblas_internal_gemmt_kernelIiLi16ELi32ELi8ELc67ELc84ELc85ELb0ELb0EdPKdPKS1_PKPdEviT_T9_T10_S7_lS9_S7_lS8_T11_S7_li.num_vgpr, 52
	.set _ZL29rocblas_internal_gemmt_kernelIiLi16ELi32ELi8ELc67ELc84ELc85ELb0ELb0EdPKdPKS1_PKPdEviT_T9_T10_S7_lS9_S7_lS8_T11_S7_li.num_agpr, 0
	.set _ZL29rocblas_internal_gemmt_kernelIiLi16ELi32ELi8ELc67ELc84ELc85ELb0ELb0EdPKdPKS1_PKPdEviT_T9_T10_S7_lS9_S7_lS8_T11_S7_li.numbered_sgpr, 28
	.set _ZL29rocblas_internal_gemmt_kernelIiLi16ELi32ELi8ELc67ELc84ELc85ELb0ELb0EdPKdPKS1_PKPdEviT_T9_T10_S7_lS9_S7_lS8_T11_S7_li.num_named_barrier, 0
	.set _ZL29rocblas_internal_gemmt_kernelIiLi16ELi32ELi8ELc67ELc84ELc85ELb0ELb0EdPKdPKS1_PKPdEviT_T9_T10_S7_lS9_S7_lS8_T11_S7_li.private_seg_size, 0
	.set _ZL29rocblas_internal_gemmt_kernelIiLi16ELi32ELi8ELc67ELc84ELc85ELb0ELb0EdPKdPKS1_PKPdEviT_T9_T10_S7_lS9_S7_lS8_T11_S7_li.uses_vcc, 1
	.set _ZL29rocblas_internal_gemmt_kernelIiLi16ELi32ELi8ELc67ELc84ELc85ELb0ELb0EdPKdPKS1_PKPdEviT_T9_T10_S7_lS9_S7_lS8_T11_S7_li.uses_flat_scratch, 0
	.set _ZL29rocblas_internal_gemmt_kernelIiLi16ELi32ELi8ELc67ELc84ELc85ELb0ELb0EdPKdPKS1_PKPdEviT_T9_T10_S7_lS9_S7_lS8_T11_S7_li.has_dyn_sized_stack, 0
	.set _ZL29rocblas_internal_gemmt_kernelIiLi16ELi32ELi8ELc67ELc84ELc85ELb0ELb0EdPKdPKS1_PKPdEviT_T9_T10_S7_lS9_S7_lS8_T11_S7_li.has_recursion, 0
	.set _ZL29rocblas_internal_gemmt_kernelIiLi16ELi32ELi8ELc67ELc84ELc85ELb0ELb0EdPKdPKS1_PKPdEviT_T9_T10_S7_lS9_S7_lS8_T11_S7_li.has_indirect_call, 0
	.section	.AMDGPU.csdata,"",@progbits
; Kernel info:
; codeLenInByte = 1320
; TotalNumSgprs: 34
; NumVgprs: 52
; NumAgprs: 0
; TotalNumVgprs: 52
; ScratchSize: 0
; MemoryBound: 0
; FloatMode: 240
; IeeeMode: 1
; LDSByteSize: 4096 bytes/workgroup (compile time only)
; SGPRBlocks: 4
; VGPRBlocks: 6
; NumSGPRsForWavesPerEU: 34
; NumVGPRsForWavesPerEU: 52
; AccumOffset: 52
; Occupancy: 8
; WaveLimiterHint : 1
; COMPUTE_PGM_RSRC2:SCRATCH_EN: 0
; COMPUTE_PGM_RSRC2:USER_SGPR: 2
; COMPUTE_PGM_RSRC2:TRAP_HANDLER: 0
; COMPUTE_PGM_RSRC2:TGID_X_EN: 1
; COMPUTE_PGM_RSRC2:TGID_Y_EN: 1
; COMPUTE_PGM_RSRC2:TGID_Z_EN: 1
; COMPUTE_PGM_RSRC2:TIDIG_COMP_CNT: 1
; COMPUTE_PGM_RSRC3_GFX90A:ACCUM_OFFSET: 12
; COMPUTE_PGM_RSRC3_GFX90A:TG_SPLIT: 0
	.section	.text._ZL29rocblas_internal_gemmt_kernelIiLi16ELi32ELi8ELc67ELc67ELc85ELb0ELb0EdPKdPKS1_PKPdEviT_T9_T10_S7_lS9_S7_lS8_T11_S7_li,"axG",@progbits,_ZL29rocblas_internal_gemmt_kernelIiLi16ELi32ELi8ELc67ELc67ELc85ELb0ELb0EdPKdPKS1_PKPdEviT_T9_T10_S7_lS9_S7_lS8_T11_S7_li,comdat
	.globl	_ZL29rocblas_internal_gemmt_kernelIiLi16ELi32ELi8ELc67ELc67ELc85ELb0ELb0EdPKdPKS1_PKPdEviT_T9_T10_S7_lS9_S7_lS8_T11_S7_li ; -- Begin function _ZL29rocblas_internal_gemmt_kernelIiLi16ELi32ELi8ELc67ELc67ELc85ELb0ELb0EdPKdPKS1_PKPdEviT_T9_T10_S7_lS9_S7_lS8_T11_S7_li
	.p2align	8
	.type	_ZL29rocblas_internal_gemmt_kernelIiLi16ELi32ELi8ELc67ELc67ELc85ELb0ELb0EdPKdPKS1_PKPdEviT_T9_T10_S7_lS9_S7_lS8_T11_S7_li,@function
_ZL29rocblas_internal_gemmt_kernelIiLi16ELi32ELi8ELc67ELc67ELc85ELb0ELb0EdPKdPKS1_PKPdEviT_T9_T10_S7_lS9_S7_lS8_T11_S7_li: ; @_ZL29rocblas_internal_gemmt_kernelIiLi16ELi32ELi8ELc67ELc67ELc85ELb0ELb0EdPKdPKS1_PKPdEviT_T9_T10_S7_lS9_S7_lS8_T11_S7_li
; %bb.0:
	s_load_dwordx4 s[8:11], s[0:1], 0x38
	s_load_dwordx4 s[12:15], s[0:1], 0x8
	s_waitcnt lgkmcnt(0)
	s_load_dwordx2 s[16:17], s[10:11], 0x0
	s_load_dwordx2 s[20:21], s[0:1], 0x0
	;; [unrolled: 1-line block ×3, first 2 shown]
	s_waitcnt lgkmcnt(0)
	v_cmp_neq_f64_e64 s[6:7], s[16:17], 1.0
	s_and_b64 vcc, exec, s[6:7]
	s_cbranch_vccnz .LBB332_2
; %bb.1:
	s_cmp_lg_u32 s21, 0
	s_cselect_b64 s[6:7], -1, 0
	v_cmp_neq_f64_e64 s[10:11], s[18:19], 0
	s_and_b64 s[6:7], s[6:7], s[10:11]
.LBB332_2:
	s_andn2_b64 vcc, exec, s[6:7]
	s_cbranch_vccnz .LBB332_26
; %bb.3:
	s_load_dwordx2 s[10:11], s[0:1], 0x48
	s_mov_b32 s5, 0
	s_lshl_b64 s[6:7], s[4:5], 3
	v_and_b32_e32 v12, 0x3ff, v0
	v_bfe_u32 v13, v0, 10, 10
	s_waitcnt lgkmcnt(0)
	s_add_u32 s10, s10, s6
	s_addc_u32 s11, s11, s7
	s_load_dwordx2 s[10:11], s[10:11], 0x0
	s_lshl_b32 s4, s2, 5
	s_lshl_b32 s12, s3, 5
	s_cmp_lt_i32 s21, 1
	v_cmp_eq_f64_e64 s[2:3], s[18:19], 0
	s_cselect_b64 s[22:23], -1, 0
	s_or_b64 s[2:3], s[2:3], s[22:23]
	v_mov_b64_e32 v[6:7], 0
	s_and_b64 vcc, exec, s[2:3]
	v_mov_b64_e32 v[4:5], 0
	v_mov_b64_e32 v[2:3], 0
	;; [unrolled: 1-line block ×3, first 2 shown]
	s_cbranch_vccnz .LBB332_10
; %bb.4:
	s_load_dword s13, s[0:1], 0x18
	s_load_dword s22, s[0:1], 0x30
	s_load_dwordx4 s[24:27], s[0:1], 0x20
	v_lshl_add_u32 v1, v13, 4, v12
	v_and_b32_e32 v3, 31, v1
	v_lshrrev_b32_e32 v15, 5, v1
	s_waitcnt lgkmcnt(0)
	s_ashr_i32 s23, s22, 31
	v_lshrrev_b32_e32 v2, 3, v1
	v_or_b32_e32 v1, s4, v3
	s_add_u32 s2, s26, s6
	v_and_b32_e32 v14, 7, v12
	s_addc_u32 s3, s27, s7
	v_cmp_gt_i32_e32 vcc, s20, v1
	v_lshlrev_b32_e32 v1, 3, v3
	s_load_dwordx2 s[26:27], s[2:3], 0x0
	s_add_u32 s2, s14, s6
	v_lshl_or_b32 v16, v15, 8, v1
	v_lshlrev_b32_e32 v1, 3, v14
	v_add_u32_e32 v0, s12, v2
	s_addc_u32 s3, s15, s7
	v_lshl_or_b32 v1, v2, 6, v1
	v_mov_b32_e32 v2, 0x800
	s_load_dwordx2 s[6:7], s[2:3], 0x0
	v_lshl_add_u32 v19, v13, 6, v2
	v_add_u32_e32 v2, s4, v3
	v_mad_i64_i32 v[2:3], s[14:15], s13, v2, 0
	s_lshl_b64 s[14:15], s[24:25], 3
	s_nop 0
	v_lshl_add_u64 v[2:3], v[2:3], 3, s[14:15]
	v_lshlrev_b32_e32 v4, 3, v15
	v_mov_b32_e32 v5, 0
	v_lshl_add_u64 v[2:3], v[2:3], 0, v[4:5]
	s_waitcnt lgkmcnt(0)
	v_lshl_add_u64 v[8:9], s[6:7], 0, v[2:3]
	v_mad_i64_i32 v[2:3], s[6:7], s22, v14, 0
	s_lshl_b64 s[6:7], s[8:9], 3
	v_add_u32_e32 v17, 0x800, v1
	v_ashrrev_i32_e32 v1, 31, v0
	v_lshl_add_u64 v[2:3], v[2:3], 3, s[6:7]
	v_cmp_gt_i32_e64 s[2:3], s20, v0
	v_lshl_add_u64 v[0:1], v[0:1], 3, v[2:3]
	v_lshlrev_b32_e32 v18, 3, v12
	v_lshl_add_u64 v[10:11], s[26:27], 0, v[0:1]
	s_lshl_b64 s[8:9], s[22:23], 6
	v_mov_b64_e32 v[0:1], 0
	v_mov_b64_e32 v[2:3], 0
	v_mov_b64_e32 v[4:5], 0
	v_mov_b64_e32 v[6:7], 0
	s_branch .LBB332_6
.LBB332_5:                              ;   in Loop: Header=BB332_6 Depth=1
	s_or_b64 exec, exec, s[6:7]
	s_waitcnt vmcnt(0) lgkmcnt(0)
	ds_write_b64 v17, v[20:21]
	s_waitcnt lgkmcnt(0)
	s_barrier
	ds_read2_b64 v[20:23], v18 offset1:16
	ds_read_b128 v[24:27], v19
	ds_read_b128 v[28:31], v19 offset:16
	ds_read_b128 v[32:35], v19 offset:32
	;; [unrolled: 1-line block ×4, first 2 shown]
	ds_read2_b64 v[44:47], v18 offset0:32 offset1:48
	s_waitcnt lgkmcnt(5)
	v_fmac_f64_e32 v[6:7], v[20:21], v[24:25]
	v_fmac_f64_e32 v[4:5], v[22:23], v[24:25]
	ds_read_b128 v[48:51], v19 offset:1040
	s_waitcnt lgkmcnt(2)
	v_fmac_f64_e32 v[2:3], v[20:21], v[40:41]
	v_fmac_f64_e32 v[0:1], v[22:23], v[40:41]
	ds_read2_b64 v[20:23], v18 offset0:64 offset1:80
	s_waitcnt lgkmcnt(2)
	v_fmac_f64_e32 v[6:7], v[44:45], v[26:27]
	v_fmac_f64_e32 v[4:5], v[46:47], v[26:27]
	ds_read2_b64 v[24:27], v18 offset0:96 offset1:112
	v_fmac_f64_e32 v[2:3], v[44:45], v[42:43]
	v_fmac_f64_e32 v[0:1], v[46:47], v[42:43]
	s_waitcnt lgkmcnt(1)
	v_fmac_f64_e32 v[6:7], v[20:21], v[28:29]
	v_fmac_f64_e32 v[4:5], v[22:23], v[28:29]
	ds_read_b128 v[40:43], v19 offset:1072
	v_fmac_f64_e32 v[2:3], v[20:21], v[48:49]
	v_fmac_f64_e32 v[0:1], v[22:23], v[48:49]
	s_waitcnt lgkmcnt(1)
	v_fmac_f64_e32 v[6:7], v[24:25], v[30:31]
	ds_read2_b64 v[20:23], v18 offset0:128 offset1:144
	v_fmac_f64_e32 v[4:5], v[26:27], v[30:31]
	v_fmac_f64_e32 v[2:3], v[24:25], v[50:51]
	;; [unrolled: 1-line block ×3, first 2 shown]
	ds_read_b128 v[24:27], v19 offset:1056
	ds_read2_b64 v[28:31], v18 offset0:160 offset1:176
	s_waitcnt lgkmcnt(2)
	v_fmac_f64_e32 v[6:7], v[20:21], v[32:33]
	v_fmac_f64_e32 v[4:5], v[22:23], v[32:33]
	s_add_i32 s5, s5, 8
	s_waitcnt lgkmcnt(1)
	v_fmac_f64_e32 v[2:3], v[20:21], v[24:25]
	v_fmac_f64_e32 v[0:1], v[22:23], v[24:25]
	ds_read2_b64 v[20:23], v18 offset0:192 offset1:208
	s_waitcnt lgkmcnt(1)
	v_fmac_f64_e32 v[2:3], v[28:29], v[26:27]
	v_fmac_f64_e32 v[0:1], v[30:31], v[26:27]
	ds_read2_b64 v[24:27], v18 offset0:224 offset1:240
	v_fmac_f64_e32 v[6:7], v[28:29], v[34:35]
	v_fmac_f64_e32 v[4:5], v[30:31], v[34:35]
	s_waitcnt lgkmcnt(1)
	v_fmac_f64_e32 v[6:7], v[20:21], v[36:37]
	v_fmac_f64_e32 v[4:5], v[22:23], v[36:37]
	;; [unrolled: 1-line block ×4, first 2 shown]
	s_waitcnt lgkmcnt(0)
	v_fmac_f64_e32 v[6:7], v[24:25], v[38:39]
	v_fmac_f64_e32 v[4:5], v[26:27], v[38:39]
	;; [unrolled: 1-line block ×4, first 2 shown]
	v_lshl_add_u64 v[8:9], v[8:9], 0, 64
	s_cmp_lt_i32 s5, s21
	v_lshl_add_u64 v[10:11], v[10:11], 0, s[8:9]
	s_barrier
	s_cbranch_scc0 .LBB332_10
.LBB332_6:                              ; =>This Inner Loop Header: Depth=1
	v_add_u32_e32 v20, s5, v15
	v_cmp_gt_i32_e64 s[6:7], s21, v20
	s_and_b64 s[14:15], vcc, s[6:7]
	v_mov_b64_e32 v[20:21], 0
	s_and_saveexec_b64 s[6:7], s[14:15]
	s_cbranch_execz .LBB332_8
; %bb.7:                                ;   in Loop: Header=BB332_6 Depth=1
	flat_load_dwordx2 v[20:21], v[8:9]
.LBB332_8:                              ;   in Loop: Header=BB332_6 Depth=1
	s_or_b64 exec, exec, s[6:7]
	s_waitcnt vmcnt(0) lgkmcnt(0)
	ds_write_b64 v16, v[20:21]
	v_add_u32_e32 v20, s5, v14
	v_cmp_gt_i32_e64 s[6:7], s21, v20
	s_and_b64 s[14:15], s[6:7], s[2:3]
	v_mov_b64_e32 v[20:21], 0
	s_and_saveexec_b64 s[6:7], s[14:15]
	s_cbranch_execz .LBB332_5
; %bb.9:                                ;   in Loop: Header=BB332_6 Depth=1
	flat_load_dwordx2 v[20:21], v[10:11]
	s_branch .LBB332_5
.LBB332_10:
	s_load_dwordx2 s[6:7], s[0:1], 0x58
	s_load_dword s8, s[0:1], 0x50
	v_add_u32_e32 v8, s4, v12
	v_add_u32_e32 v14, s12, v13
	v_cmp_gt_i32_e64 s[2:3], s20, v14
	s_waitcnt lgkmcnt(0)
	s_lshl_b64 s[0:1], s[6:7], 3
	s_add_u32 s4, s10, s0
	s_addc_u32 s5, s11, s1
	v_mad_i64_i32 v[10:11], s[0:1], v14, s8, 0
	v_cmp_neq_f64_e64 s[0:1], s[16:17], 0
	v_cmp_le_i32_e32 vcc, v8, v14
	v_lshl_add_u64 v[10:11], v[10:11], 3, s[4:5]
	v_cndmask_b32_e64 v12, 0, 1, s[0:1]
	s_and_b64 s[10:11], s[2:3], vcc
	v_ashrrev_i32_e32 v9, 31, v8
	v_cmp_ne_u32_e64 s[0:1], 1, v12
	s_and_saveexec_b64 s[6:7], s[10:11]
	s_cbranch_execz .LBB332_14
; %bb.11:
	v_mul_f64 v[6:7], s[18:19], v[6:7]
	s_and_b64 vcc, exec, s[0:1]
	v_lshl_add_u64 v[12:13], v[8:9], 3, v[10:11]
	s_cbranch_vccnz .LBB332_13
; %bb.12:
	flat_load_dwordx2 v[16:17], v[12:13]
	s_waitcnt vmcnt(0) lgkmcnt(0)
	v_fmac_f64_e32 v[6:7], s[16:17], v[16:17]
.LBB332_13:
	flat_store_dwordx2 v[12:13], v[6:7]
.LBB332_14:
	s_or_b64 exec, exec, s[6:7]
	v_add_u32_e32 v6, 16, v8
	v_cmp_le_i32_e32 vcc, v6, v14
	s_and_b64 s[6:7], s[2:3], vcc
	v_ashrrev_i32_e32 v7, 31, v6
	s_and_saveexec_b64 s[2:3], s[6:7]
	s_cbranch_execz .LBB332_18
; %bb.15:
	v_mul_f64 v[4:5], s[18:19], v[4:5]
	s_and_b64 vcc, exec, s[0:1]
	v_lshl_add_u64 v[10:11], v[6:7], 3, v[10:11]
	s_cbranch_vccnz .LBB332_17
; %bb.16:
	flat_load_dwordx2 v[12:13], v[10:11]
	s_waitcnt vmcnt(0) lgkmcnt(0)
	v_fmac_f64_e32 v[4:5], s[16:17], v[12:13]
.LBB332_17:
	flat_store_dwordx2 v[10:11], v[4:5]
.LBB332_18:
	s_or_b64 exec, exec, s[2:3]
	v_add_u32_e32 v10, 16, v14
	v_cmp_gt_i32_e64 s[2:3], s20, v10
	v_mad_i64_i32 v[4:5], s[6:7], v10, s8, 0
	v_cmp_le_i32_e32 vcc, v8, v10
	v_lshl_add_u64 v[4:5], v[4:5], 3, s[4:5]
	s_and_b64 s[6:7], s[2:3], vcc
	s_and_saveexec_b64 s[4:5], s[6:7]
	s_cbranch_execz .LBB332_22
; %bb.19:
	v_mul_f64 v[2:3], s[18:19], v[2:3]
	s_and_b64 vcc, exec, s[0:1]
	v_lshl_add_u64 v[8:9], v[8:9], 3, v[4:5]
	s_cbranch_vccnz .LBB332_21
; %bb.20:
	flat_load_dwordx2 v[12:13], v[8:9]
	s_waitcnt vmcnt(0) lgkmcnt(0)
	v_fmac_f64_e32 v[2:3], s[16:17], v[12:13]
.LBB332_21:
	flat_store_dwordx2 v[8:9], v[2:3]
.LBB332_22:
	s_or_b64 exec, exec, s[4:5]
	v_cmp_le_i32_e32 vcc, v6, v10
	s_and_b64 s[2:3], s[2:3], vcc
	s_and_saveexec_b64 s[4:5], s[2:3]
	s_cbranch_execz .LBB332_26
; %bb.23:
	v_mul_f64 v[0:1], s[18:19], v[0:1]
	s_and_b64 vcc, exec, s[0:1]
	v_lshl_add_u64 v[2:3], v[6:7], 3, v[4:5]
	s_cbranch_vccnz .LBB332_25
; %bb.24:
	flat_load_dwordx2 v[4:5], v[2:3]
	s_waitcnt vmcnt(0) lgkmcnt(0)
	v_fmac_f64_e32 v[0:1], s[16:17], v[4:5]
.LBB332_25:
	flat_store_dwordx2 v[2:3], v[0:1]
.LBB332_26:
	s_endpgm
	.section	.rodata,"a",@progbits
	.p2align	6, 0x0
	.amdhsa_kernel _ZL29rocblas_internal_gemmt_kernelIiLi16ELi32ELi8ELc67ELc67ELc85ELb0ELb0EdPKdPKS1_PKPdEviT_T9_T10_S7_lS9_S7_lS8_T11_S7_li
		.amdhsa_group_segment_fixed_size 4096
		.amdhsa_private_segment_fixed_size 0
		.amdhsa_kernarg_size 100
		.amdhsa_user_sgpr_count 2
		.amdhsa_user_sgpr_dispatch_ptr 0
		.amdhsa_user_sgpr_queue_ptr 0
		.amdhsa_user_sgpr_kernarg_segment_ptr 1
		.amdhsa_user_sgpr_dispatch_id 0
		.amdhsa_user_sgpr_kernarg_preload_length 0
		.amdhsa_user_sgpr_kernarg_preload_offset 0
		.amdhsa_user_sgpr_private_segment_size 0
		.amdhsa_uses_dynamic_stack 0
		.amdhsa_enable_private_segment 0
		.amdhsa_system_sgpr_workgroup_id_x 1
		.amdhsa_system_sgpr_workgroup_id_y 1
		.amdhsa_system_sgpr_workgroup_id_z 1
		.amdhsa_system_sgpr_workgroup_info 0
		.amdhsa_system_vgpr_workitem_id 1
		.amdhsa_next_free_vgpr 52
		.amdhsa_next_free_sgpr 28
		.amdhsa_accum_offset 52
		.amdhsa_reserve_vcc 1
		.amdhsa_float_round_mode_32 0
		.amdhsa_float_round_mode_16_64 0
		.amdhsa_float_denorm_mode_32 3
		.amdhsa_float_denorm_mode_16_64 3
		.amdhsa_dx10_clamp 1
		.amdhsa_ieee_mode 1
		.amdhsa_fp16_overflow 0
		.amdhsa_tg_split 0
		.amdhsa_exception_fp_ieee_invalid_op 0
		.amdhsa_exception_fp_denorm_src 0
		.amdhsa_exception_fp_ieee_div_zero 0
		.amdhsa_exception_fp_ieee_overflow 0
		.amdhsa_exception_fp_ieee_underflow 0
		.amdhsa_exception_fp_ieee_inexact 0
		.amdhsa_exception_int_div_zero 0
	.end_amdhsa_kernel
	.section	.text._ZL29rocblas_internal_gemmt_kernelIiLi16ELi32ELi8ELc67ELc67ELc85ELb0ELb0EdPKdPKS1_PKPdEviT_T9_T10_S7_lS9_S7_lS8_T11_S7_li,"axG",@progbits,_ZL29rocblas_internal_gemmt_kernelIiLi16ELi32ELi8ELc67ELc67ELc85ELb0ELb0EdPKdPKS1_PKPdEviT_T9_T10_S7_lS9_S7_lS8_T11_S7_li,comdat
.Lfunc_end332:
	.size	_ZL29rocblas_internal_gemmt_kernelIiLi16ELi32ELi8ELc67ELc67ELc85ELb0ELb0EdPKdPKS1_PKPdEviT_T9_T10_S7_lS9_S7_lS8_T11_S7_li, .Lfunc_end332-_ZL29rocblas_internal_gemmt_kernelIiLi16ELi32ELi8ELc67ELc67ELc85ELb0ELb0EdPKdPKS1_PKPdEviT_T9_T10_S7_lS9_S7_lS8_T11_S7_li
                                        ; -- End function
	.set _ZL29rocblas_internal_gemmt_kernelIiLi16ELi32ELi8ELc67ELc67ELc85ELb0ELb0EdPKdPKS1_PKPdEviT_T9_T10_S7_lS9_S7_lS8_T11_S7_li.num_vgpr, 52
	.set _ZL29rocblas_internal_gemmt_kernelIiLi16ELi32ELi8ELc67ELc67ELc85ELb0ELb0EdPKdPKS1_PKPdEviT_T9_T10_S7_lS9_S7_lS8_T11_S7_li.num_agpr, 0
	.set _ZL29rocblas_internal_gemmt_kernelIiLi16ELi32ELi8ELc67ELc67ELc85ELb0ELb0EdPKdPKS1_PKPdEviT_T9_T10_S7_lS9_S7_lS8_T11_S7_li.numbered_sgpr, 28
	.set _ZL29rocblas_internal_gemmt_kernelIiLi16ELi32ELi8ELc67ELc67ELc85ELb0ELb0EdPKdPKS1_PKPdEviT_T9_T10_S7_lS9_S7_lS8_T11_S7_li.num_named_barrier, 0
	.set _ZL29rocblas_internal_gemmt_kernelIiLi16ELi32ELi8ELc67ELc67ELc85ELb0ELb0EdPKdPKS1_PKPdEviT_T9_T10_S7_lS9_S7_lS8_T11_S7_li.private_seg_size, 0
	.set _ZL29rocblas_internal_gemmt_kernelIiLi16ELi32ELi8ELc67ELc67ELc85ELb0ELb0EdPKdPKS1_PKPdEviT_T9_T10_S7_lS9_S7_lS8_T11_S7_li.uses_vcc, 1
	.set _ZL29rocblas_internal_gemmt_kernelIiLi16ELi32ELi8ELc67ELc67ELc85ELb0ELb0EdPKdPKS1_PKPdEviT_T9_T10_S7_lS9_S7_lS8_T11_S7_li.uses_flat_scratch, 0
	.set _ZL29rocblas_internal_gemmt_kernelIiLi16ELi32ELi8ELc67ELc67ELc85ELb0ELb0EdPKdPKS1_PKPdEviT_T9_T10_S7_lS9_S7_lS8_T11_S7_li.has_dyn_sized_stack, 0
	.set _ZL29rocblas_internal_gemmt_kernelIiLi16ELi32ELi8ELc67ELc67ELc85ELb0ELb0EdPKdPKS1_PKPdEviT_T9_T10_S7_lS9_S7_lS8_T11_S7_li.has_recursion, 0
	.set _ZL29rocblas_internal_gemmt_kernelIiLi16ELi32ELi8ELc67ELc67ELc85ELb0ELb0EdPKdPKS1_PKPdEviT_T9_T10_S7_lS9_S7_lS8_T11_S7_li.has_indirect_call, 0
	.section	.AMDGPU.csdata,"",@progbits
; Kernel info:
; codeLenInByte = 1320
; TotalNumSgprs: 34
; NumVgprs: 52
; NumAgprs: 0
; TotalNumVgprs: 52
; ScratchSize: 0
; MemoryBound: 0
; FloatMode: 240
; IeeeMode: 1
; LDSByteSize: 4096 bytes/workgroup (compile time only)
; SGPRBlocks: 4
; VGPRBlocks: 6
; NumSGPRsForWavesPerEU: 34
; NumVGPRsForWavesPerEU: 52
; AccumOffset: 52
; Occupancy: 8
; WaveLimiterHint : 1
; COMPUTE_PGM_RSRC2:SCRATCH_EN: 0
; COMPUTE_PGM_RSRC2:USER_SGPR: 2
; COMPUTE_PGM_RSRC2:TRAP_HANDLER: 0
; COMPUTE_PGM_RSRC2:TGID_X_EN: 1
; COMPUTE_PGM_RSRC2:TGID_Y_EN: 1
; COMPUTE_PGM_RSRC2:TGID_Z_EN: 1
; COMPUTE_PGM_RSRC2:TIDIG_COMP_CNT: 1
; COMPUTE_PGM_RSRC3_GFX90A:ACCUM_OFFSET: 12
; COMPUTE_PGM_RSRC3_GFX90A:TG_SPLIT: 0
	.section	.text._ZL29rocblas_internal_gemmt_kernelIiLi16ELi32ELi8ELc78ELc78ELc76ELb0ELb0EdPKdPKS1_PKPdEviT_T9_T10_S7_lS9_S7_lS8_T11_S7_li,"axG",@progbits,_ZL29rocblas_internal_gemmt_kernelIiLi16ELi32ELi8ELc78ELc78ELc76ELb0ELb0EdPKdPKS1_PKPdEviT_T9_T10_S7_lS9_S7_lS8_T11_S7_li,comdat
	.globl	_ZL29rocblas_internal_gemmt_kernelIiLi16ELi32ELi8ELc78ELc78ELc76ELb0ELb0EdPKdPKS1_PKPdEviT_T9_T10_S7_lS9_S7_lS8_T11_S7_li ; -- Begin function _ZL29rocblas_internal_gemmt_kernelIiLi16ELi32ELi8ELc78ELc78ELc76ELb0ELb0EdPKdPKS1_PKPdEviT_T9_T10_S7_lS9_S7_lS8_T11_S7_li
	.p2align	8
	.type	_ZL29rocblas_internal_gemmt_kernelIiLi16ELi32ELi8ELc78ELc78ELc76ELb0ELb0EdPKdPKS1_PKPdEviT_T9_T10_S7_lS9_S7_lS8_T11_S7_li,@function
_ZL29rocblas_internal_gemmt_kernelIiLi16ELi32ELi8ELc78ELc78ELc76ELb0ELb0EdPKdPKS1_PKPdEviT_T9_T10_S7_lS9_S7_lS8_T11_S7_li: ; @_ZL29rocblas_internal_gemmt_kernelIiLi16ELi32ELi8ELc78ELc78ELc76ELb0ELb0EdPKdPKS1_PKPdEviT_T9_T10_S7_lS9_S7_lS8_T11_S7_li
; %bb.0:
	s_load_dwordx4 s[8:11], s[0:1], 0x38
	s_load_dwordx4 s[12:15], s[0:1], 0x8
	s_waitcnt lgkmcnt(0)
	s_load_dwordx2 s[16:17], s[10:11], 0x0
	s_load_dwordx2 s[20:21], s[0:1], 0x0
	s_load_dwordx2 s[18:19], s[12:13], 0x0
	s_waitcnt lgkmcnt(0)
	v_cmp_neq_f64_e64 s[6:7], s[16:17], 1.0
	s_and_b64 vcc, exec, s[6:7]
	s_cbranch_vccnz .LBB333_2
; %bb.1:
	s_cmp_lg_u32 s21, 0
	s_cselect_b64 s[6:7], -1, 0
	v_cmp_neq_f64_e64 s[10:11], s[18:19], 0
	s_and_b64 s[6:7], s[6:7], s[10:11]
.LBB333_2:
	s_andn2_b64 vcc, exec, s[6:7]
	s_cbranch_vccnz .LBB333_26
; %bb.3:
	s_load_dwordx2 s[10:11], s[0:1], 0x48
	s_mov_b32 s5, 0
	s_lshl_b64 s[6:7], s[4:5], 3
	v_and_b32_e32 v12, 0x3ff, v0
	v_bfe_u32 v13, v0, 10, 10
	s_waitcnt lgkmcnt(0)
	s_add_u32 s10, s10, s6
	s_addc_u32 s11, s11, s7
	s_load_dwordx2 s[10:11], s[10:11], 0x0
	s_lshl_b32 s4, s2, 5
	s_lshl_b32 s22, s3, 5
	s_cmp_lt_i32 s21, 1
	v_cmp_eq_f64_e64 s[2:3], s[18:19], 0
	s_cselect_b64 s[12:13], -1, 0
	s_or_b64 s[2:3], s[2:3], s[12:13]
	v_mov_b64_e32 v[6:7], 0
	s_and_b64 vcc, exec, s[2:3]
	v_mov_b64_e32 v[4:5], 0
	v_mov_b64_e32 v[2:3], 0
	;; [unrolled: 1-line block ×3, first 2 shown]
	s_cbranch_vccnz .LBB333_10
; %bb.4:
	s_load_dword s12, s[0:1], 0x18
	s_load_dwordx4 s[24:27], s[0:1], 0x20
	s_load_dword s23, s[0:1], 0x30
	v_lshl_add_u32 v0, v13, 4, v12
	v_lshrrev_b32_e32 v15, 5, v0
	v_and_b32_e32 v4, 31, v0
	s_waitcnt lgkmcnt(0)
	s_ashr_i32 s13, s12, 31
	s_add_u32 s2, s26, s6
	s_addc_u32 s3, s27, s7
	s_load_dwordx2 s[26:27], s[2:3], 0x0
	s_add_u32 s2, s14, s6
	s_addc_u32 s3, s15, s7
	s_load_dwordx2 s[6:7], s[2:3], 0x0
	v_lshrrev_b32_e32 v1, 3, v0
	v_or_b32_e32 v0, s4, v4
	v_mad_i64_i32 v[2:3], s[14:15], v15, s12, 0
	v_cmp_gt_i32_e32 vcc, s20, v0
	v_lshlrev_b32_e32 v0, 3, v4
	s_lshl_b64 s[14:15], s[24:25], 3
	v_add_u32_e32 v4, s4, v4
	v_and_b32_e32 v14, 7, v12
	v_lshl_add_u64 v[2:3], v[2:3], 3, s[14:15]
	v_ashrrev_i32_e32 v5, 31, v4
	v_add_u32_e32 v6, s22, v1
	v_lshl_or_b32 v16, v15, 8, v0
	v_lshlrev_b32_e32 v0, 3, v14
	v_lshl_add_u64 v[2:3], v[4:5], 3, v[2:3]
	v_lshl_or_b32 v1, v1, 6, v0
	s_waitcnt lgkmcnt(0)
	v_lshl_add_u64 v[8:9], s[6:7], 0, v[2:3]
	v_mad_i64_i32 v[2:3], s[6:7], s23, v6, 0
	v_add_u32_e32 v17, 0x800, v1
	v_mov_b32_e32 v1, 0x800
	s_lshl_b64 s[6:7], s[8:9], 3
	v_lshl_add_u32 v19, v13, 6, v1
	v_lshl_add_u64 v[2:3], v[2:3], 3, s[6:7]
	v_mov_b32_e32 v1, 0
	v_lshl_add_u64 v[0:1], v[2:3], 0, v[0:1]
	v_cmp_gt_i32_e64 s[2:3], s20, v6
	v_lshlrev_b32_e32 v18, 3, v12
	s_lshl_b64 s[12:13], s[12:13], 6
	v_lshl_add_u64 v[10:11], s[26:27], 0, v[0:1]
	v_mov_b64_e32 v[0:1], 0
	v_mov_b64_e32 v[2:3], 0
	;; [unrolled: 1-line block ×4, first 2 shown]
	s_branch .LBB333_6
.LBB333_5:                              ;   in Loop: Header=BB333_6 Depth=1
	s_or_b64 exec, exec, s[6:7]
	s_waitcnt vmcnt(0) lgkmcnt(0)
	ds_write_b64 v17, v[20:21]
	s_waitcnt lgkmcnt(0)
	s_barrier
	ds_read2_b64 v[20:23], v18 offset1:16
	ds_read_b128 v[24:27], v19
	ds_read_b128 v[28:31], v19 offset:16
	ds_read_b128 v[32:35], v19 offset:32
	;; [unrolled: 1-line block ×4, first 2 shown]
	ds_read2_b64 v[44:47], v18 offset0:32 offset1:48
	s_waitcnt lgkmcnt(5)
	v_fmac_f64_e32 v[6:7], v[20:21], v[24:25]
	v_fmac_f64_e32 v[4:5], v[22:23], v[24:25]
	ds_read_b128 v[48:51], v19 offset:1040
	s_waitcnt lgkmcnt(2)
	v_fmac_f64_e32 v[2:3], v[20:21], v[40:41]
	v_fmac_f64_e32 v[0:1], v[22:23], v[40:41]
	ds_read2_b64 v[20:23], v18 offset0:64 offset1:80
	s_waitcnt lgkmcnt(2)
	v_fmac_f64_e32 v[6:7], v[44:45], v[26:27]
	v_fmac_f64_e32 v[4:5], v[46:47], v[26:27]
	ds_read2_b64 v[24:27], v18 offset0:96 offset1:112
	v_fmac_f64_e32 v[2:3], v[44:45], v[42:43]
	v_fmac_f64_e32 v[0:1], v[46:47], v[42:43]
	s_waitcnt lgkmcnt(1)
	v_fmac_f64_e32 v[6:7], v[20:21], v[28:29]
	v_fmac_f64_e32 v[4:5], v[22:23], v[28:29]
	ds_read_b128 v[40:43], v19 offset:1072
	v_fmac_f64_e32 v[2:3], v[20:21], v[48:49]
	v_fmac_f64_e32 v[0:1], v[22:23], v[48:49]
	s_waitcnt lgkmcnt(1)
	v_fmac_f64_e32 v[6:7], v[24:25], v[30:31]
	ds_read2_b64 v[20:23], v18 offset0:128 offset1:144
	v_fmac_f64_e32 v[4:5], v[26:27], v[30:31]
	v_fmac_f64_e32 v[2:3], v[24:25], v[50:51]
	;; [unrolled: 1-line block ×3, first 2 shown]
	ds_read_b128 v[24:27], v19 offset:1056
	ds_read2_b64 v[28:31], v18 offset0:160 offset1:176
	s_waitcnt lgkmcnt(2)
	v_fmac_f64_e32 v[6:7], v[20:21], v[32:33]
	v_fmac_f64_e32 v[4:5], v[22:23], v[32:33]
	s_add_i32 s5, s5, 8
	s_waitcnt lgkmcnt(1)
	v_fmac_f64_e32 v[2:3], v[20:21], v[24:25]
	v_fmac_f64_e32 v[0:1], v[22:23], v[24:25]
	ds_read2_b64 v[20:23], v18 offset0:192 offset1:208
	s_waitcnt lgkmcnt(1)
	v_fmac_f64_e32 v[2:3], v[28:29], v[26:27]
	v_fmac_f64_e32 v[0:1], v[30:31], v[26:27]
	ds_read2_b64 v[24:27], v18 offset0:224 offset1:240
	v_fmac_f64_e32 v[6:7], v[28:29], v[34:35]
	v_fmac_f64_e32 v[4:5], v[30:31], v[34:35]
	s_waitcnt lgkmcnt(1)
	v_fmac_f64_e32 v[6:7], v[20:21], v[36:37]
	v_fmac_f64_e32 v[4:5], v[22:23], v[36:37]
	;; [unrolled: 1-line block ×4, first 2 shown]
	s_waitcnt lgkmcnt(0)
	v_fmac_f64_e32 v[6:7], v[24:25], v[38:39]
	v_fmac_f64_e32 v[4:5], v[26:27], v[38:39]
	;; [unrolled: 1-line block ×4, first 2 shown]
	v_lshl_add_u64 v[8:9], v[8:9], 0, s[12:13]
	s_cmp_lt_i32 s5, s21
	v_lshl_add_u64 v[10:11], v[10:11], 0, 64
	s_barrier
	s_cbranch_scc0 .LBB333_10
.LBB333_6:                              ; =>This Inner Loop Header: Depth=1
	v_add_u32_e32 v20, s5, v15
	v_cmp_gt_i32_e64 s[6:7], s21, v20
	s_and_b64 s[8:9], vcc, s[6:7]
	v_mov_b64_e32 v[20:21], 0
	s_and_saveexec_b64 s[6:7], s[8:9]
	s_cbranch_execz .LBB333_8
; %bb.7:                                ;   in Loop: Header=BB333_6 Depth=1
	flat_load_dwordx2 v[20:21], v[8:9]
.LBB333_8:                              ;   in Loop: Header=BB333_6 Depth=1
	s_or_b64 exec, exec, s[6:7]
	s_waitcnt vmcnt(0) lgkmcnt(0)
	ds_write_b64 v16, v[20:21]
	v_add_u32_e32 v20, s5, v14
	v_cmp_gt_i32_e64 s[6:7], s21, v20
	s_and_b64 s[8:9], s[6:7], s[2:3]
	v_mov_b64_e32 v[20:21], 0
	s_and_saveexec_b64 s[6:7], s[8:9]
	s_cbranch_execz .LBB333_5
; %bb.9:                                ;   in Loop: Header=BB333_6 Depth=1
	flat_load_dwordx2 v[20:21], v[10:11]
	s_branch .LBB333_5
.LBB333_10:
	s_load_dwordx2 s[2:3], s[0:1], 0x58
	s_load_dword s12, s[0:1], 0x50
	v_add_u32_e32 v14, s22, v13
	v_add_u32_e32 v8, s4, v12
	v_cmp_le_i32_e32 vcc, v14, v8
	s_waitcnt lgkmcnt(0)
	s_lshl_b64 s[0:1], s[2:3], 3
	s_add_u32 s6, s10, s0
	s_addc_u32 s7, s11, s1
	v_mad_i64_i32 v[10:11], s[0:1], v14, s12, 0
	v_cmp_neq_f64_e64 s[0:1], s[16:17], 0
	v_cmp_gt_i32_e64 s[2:3], s20, v8
	v_lshl_add_u64 v[10:11], v[10:11], 3, s[6:7]
	v_cndmask_b32_e64 v12, 0, 1, s[0:1]
	s_and_b64 s[8:9], vcc, s[2:3]
	v_ashrrev_i32_e32 v9, 31, v8
	v_cmp_ne_u32_e64 s[0:1], 1, v12
	s_and_saveexec_b64 s[4:5], s[8:9]
	s_cbranch_execz .LBB333_14
; %bb.11:
	v_mul_f64 v[6:7], s[18:19], v[6:7]
	s_and_b64 vcc, exec, s[0:1]
	v_lshl_add_u64 v[12:13], v[8:9], 3, v[10:11]
	s_cbranch_vccnz .LBB333_13
; %bb.12:
	flat_load_dwordx2 v[16:17], v[12:13]
	s_waitcnt vmcnt(0) lgkmcnt(0)
	v_fmac_f64_e32 v[6:7], s[16:17], v[16:17]
.LBB333_13:
	flat_store_dwordx2 v[12:13], v[6:7]
.LBB333_14:
	s_or_b64 exec, exec, s[4:5]
	v_add_u32_e32 v6, 16, v8
	v_cmp_le_i32_e32 vcc, v14, v6
	v_cmp_gt_i32_e64 s[4:5], s20, v6
	s_and_b64 s[10:11], vcc, s[4:5]
	v_ashrrev_i32_e32 v7, 31, v6
	s_and_saveexec_b64 s[8:9], s[10:11]
	s_cbranch_execz .LBB333_18
; %bb.15:
	v_mul_f64 v[4:5], s[18:19], v[4:5]
	s_and_b64 vcc, exec, s[0:1]
	v_lshl_add_u64 v[10:11], v[6:7], 3, v[10:11]
	s_cbranch_vccnz .LBB333_17
; %bb.16:
	flat_load_dwordx2 v[12:13], v[10:11]
	s_waitcnt vmcnt(0) lgkmcnt(0)
	v_fmac_f64_e32 v[4:5], s[16:17], v[12:13]
.LBB333_17:
	flat_store_dwordx2 v[10:11], v[4:5]
.LBB333_18:
	s_or_b64 exec, exec, s[8:9]
	v_add_u32_e32 v10, 16, v14
	v_mad_i64_i32 v[4:5], s[8:9], v10, s12, 0
	v_cmp_le_i32_e32 vcc, v10, v8
	v_lshl_add_u64 v[4:5], v[4:5], 3, s[6:7]
	s_and_b64 s[6:7], vcc, s[2:3]
	s_and_saveexec_b64 s[2:3], s[6:7]
	s_cbranch_execz .LBB333_22
; %bb.19:
	v_mul_f64 v[2:3], s[18:19], v[2:3]
	s_and_b64 vcc, exec, s[0:1]
	v_lshl_add_u64 v[8:9], v[8:9], 3, v[4:5]
	s_cbranch_vccnz .LBB333_21
; %bb.20:
	flat_load_dwordx2 v[12:13], v[8:9]
	s_waitcnt vmcnt(0) lgkmcnt(0)
	v_fmac_f64_e32 v[2:3], s[16:17], v[12:13]
.LBB333_21:
	flat_store_dwordx2 v[8:9], v[2:3]
.LBB333_22:
	s_or_b64 exec, exec, s[2:3]
	v_cmp_le_i32_e32 vcc, v10, v6
	s_and_b64 s[2:3], vcc, s[4:5]
	s_and_saveexec_b64 s[4:5], s[2:3]
	s_cbranch_execz .LBB333_26
; %bb.23:
	v_mul_f64 v[0:1], s[18:19], v[0:1]
	s_and_b64 vcc, exec, s[0:1]
	v_lshl_add_u64 v[2:3], v[6:7], 3, v[4:5]
	s_cbranch_vccnz .LBB333_25
; %bb.24:
	flat_load_dwordx2 v[4:5], v[2:3]
	s_waitcnt vmcnt(0) lgkmcnt(0)
	v_fmac_f64_e32 v[0:1], s[16:17], v[4:5]
.LBB333_25:
	flat_store_dwordx2 v[2:3], v[0:1]
.LBB333_26:
	s_endpgm
	.section	.rodata,"a",@progbits
	.p2align	6, 0x0
	.amdhsa_kernel _ZL29rocblas_internal_gemmt_kernelIiLi16ELi32ELi8ELc78ELc78ELc76ELb0ELb0EdPKdPKS1_PKPdEviT_T9_T10_S7_lS9_S7_lS8_T11_S7_li
		.amdhsa_group_segment_fixed_size 4096
		.amdhsa_private_segment_fixed_size 0
		.amdhsa_kernarg_size 100
		.amdhsa_user_sgpr_count 2
		.amdhsa_user_sgpr_dispatch_ptr 0
		.amdhsa_user_sgpr_queue_ptr 0
		.amdhsa_user_sgpr_kernarg_segment_ptr 1
		.amdhsa_user_sgpr_dispatch_id 0
		.amdhsa_user_sgpr_kernarg_preload_length 0
		.amdhsa_user_sgpr_kernarg_preload_offset 0
		.amdhsa_user_sgpr_private_segment_size 0
		.amdhsa_uses_dynamic_stack 0
		.amdhsa_enable_private_segment 0
		.amdhsa_system_sgpr_workgroup_id_x 1
		.amdhsa_system_sgpr_workgroup_id_y 1
		.amdhsa_system_sgpr_workgroup_id_z 1
		.amdhsa_system_sgpr_workgroup_info 0
		.amdhsa_system_vgpr_workitem_id 1
		.amdhsa_next_free_vgpr 52
		.amdhsa_next_free_sgpr 28
		.amdhsa_accum_offset 52
		.amdhsa_reserve_vcc 1
		.amdhsa_float_round_mode_32 0
		.amdhsa_float_round_mode_16_64 0
		.amdhsa_float_denorm_mode_32 3
		.amdhsa_float_denorm_mode_16_64 3
		.amdhsa_dx10_clamp 1
		.amdhsa_ieee_mode 1
		.amdhsa_fp16_overflow 0
		.amdhsa_tg_split 0
		.amdhsa_exception_fp_ieee_invalid_op 0
		.amdhsa_exception_fp_denorm_src 0
		.amdhsa_exception_fp_ieee_div_zero 0
		.amdhsa_exception_fp_ieee_overflow 0
		.amdhsa_exception_fp_ieee_underflow 0
		.amdhsa_exception_fp_ieee_inexact 0
		.amdhsa_exception_int_div_zero 0
	.end_amdhsa_kernel
	.section	.text._ZL29rocblas_internal_gemmt_kernelIiLi16ELi32ELi8ELc78ELc78ELc76ELb0ELb0EdPKdPKS1_PKPdEviT_T9_T10_S7_lS9_S7_lS8_T11_S7_li,"axG",@progbits,_ZL29rocblas_internal_gemmt_kernelIiLi16ELi32ELi8ELc78ELc78ELc76ELb0ELb0EdPKdPKS1_PKPdEviT_T9_T10_S7_lS9_S7_lS8_T11_S7_li,comdat
.Lfunc_end333:
	.size	_ZL29rocblas_internal_gemmt_kernelIiLi16ELi32ELi8ELc78ELc78ELc76ELb0ELb0EdPKdPKS1_PKPdEviT_T9_T10_S7_lS9_S7_lS8_T11_S7_li, .Lfunc_end333-_ZL29rocblas_internal_gemmt_kernelIiLi16ELi32ELi8ELc78ELc78ELc76ELb0ELb0EdPKdPKS1_PKPdEviT_T9_T10_S7_lS9_S7_lS8_T11_S7_li
                                        ; -- End function
	.set _ZL29rocblas_internal_gemmt_kernelIiLi16ELi32ELi8ELc78ELc78ELc76ELb0ELb0EdPKdPKS1_PKPdEviT_T9_T10_S7_lS9_S7_lS8_T11_S7_li.num_vgpr, 52
	.set _ZL29rocblas_internal_gemmt_kernelIiLi16ELi32ELi8ELc78ELc78ELc76ELb0ELb0EdPKdPKS1_PKPdEviT_T9_T10_S7_lS9_S7_lS8_T11_S7_li.num_agpr, 0
	.set _ZL29rocblas_internal_gemmt_kernelIiLi16ELi32ELi8ELc78ELc78ELc76ELb0ELb0EdPKdPKS1_PKPdEviT_T9_T10_S7_lS9_S7_lS8_T11_S7_li.numbered_sgpr, 28
	.set _ZL29rocblas_internal_gemmt_kernelIiLi16ELi32ELi8ELc78ELc78ELc76ELb0ELb0EdPKdPKS1_PKPdEviT_T9_T10_S7_lS9_S7_lS8_T11_S7_li.num_named_barrier, 0
	.set _ZL29rocblas_internal_gemmt_kernelIiLi16ELi32ELi8ELc78ELc78ELc76ELb0ELb0EdPKdPKS1_PKPdEviT_T9_T10_S7_lS9_S7_lS8_T11_S7_li.private_seg_size, 0
	.set _ZL29rocblas_internal_gemmt_kernelIiLi16ELi32ELi8ELc78ELc78ELc76ELb0ELb0EdPKdPKS1_PKPdEviT_T9_T10_S7_lS9_S7_lS8_T11_S7_li.uses_vcc, 1
	.set _ZL29rocblas_internal_gemmt_kernelIiLi16ELi32ELi8ELc78ELc78ELc76ELb0ELb0EdPKdPKS1_PKPdEviT_T9_T10_S7_lS9_S7_lS8_T11_S7_li.uses_flat_scratch, 0
	.set _ZL29rocblas_internal_gemmt_kernelIiLi16ELi32ELi8ELc78ELc78ELc76ELb0ELb0EdPKdPKS1_PKPdEviT_T9_T10_S7_lS9_S7_lS8_T11_S7_li.has_dyn_sized_stack, 0
	.set _ZL29rocblas_internal_gemmt_kernelIiLi16ELi32ELi8ELc78ELc78ELc76ELb0ELb0EdPKdPKS1_PKPdEviT_T9_T10_S7_lS9_S7_lS8_T11_S7_li.has_recursion, 0
	.set _ZL29rocblas_internal_gemmt_kernelIiLi16ELi32ELi8ELc78ELc78ELc76ELb0ELb0EdPKdPKS1_PKPdEviT_T9_T10_S7_lS9_S7_lS8_T11_S7_li.has_indirect_call, 0
	.section	.AMDGPU.csdata,"",@progbits
; Kernel info:
; codeLenInByte = 1312
; TotalNumSgprs: 34
; NumVgprs: 52
; NumAgprs: 0
; TotalNumVgprs: 52
; ScratchSize: 0
; MemoryBound: 0
; FloatMode: 240
; IeeeMode: 1
; LDSByteSize: 4096 bytes/workgroup (compile time only)
; SGPRBlocks: 4
; VGPRBlocks: 6
; NumSGPRsForWavesPerEU: 34
; NumVGPRsForWavesPerEU: 52
; AccumOffset: 52
; Occupancy: 8
; WaveLimiterHint : 1
; COMPUTE_PGM_RSRC2:SCRATCH_EN: 0
; COMPUTE_PGM_RSRC2:USER_SGPR: 2
; COMPUTE_PGM_RSRC2:TRAP_HANDLER: 0
; COMPUTE_PGM_RSRC2:TGID_X_EN: 1
; COMPUTE_PGM_RSRC2:TGID_Y_EN: 1
; COMPUTE_PGM_RSRC2:TGID_Z_EN: 1
; COMPUTE_PGM_RSRC2:TIDIG_COMP_CNT: 1
; COMPUTE_PGM_RSRC3_GFX90A:ACCUM_OFFSET: 12
; COMPUTE_PGM_RSRC3_GFX90A:TG_SPLIT: 0
	.section	.text._ZL29rocblas_internal_gemmt_kernelIiLi16ELi32ELi8ELc78ELc84ELc76ELb0ELb0EdPKdPKS1_PKPdEviT_T9_T10_S7_lS9_S7_lS8_T11_S7_li,"axG",@progbits,_ZL29rocblas_internal_gemmt_kernelIiLi16ELi32ELi8ELc78ELc84ELc76ELb0ELb0EdPKdPKS1_PKPdEviT_T9_T10_S7_lS9_S7_lS8_T11_S7_li,comdat
	.globl	_ZL29rocblas_internal_gemmt_kernelIiLi16ELi32ELi8ELc78ELc84ELc76ELb0ELb0EdPKdPKS1_PKPdEviT_T9_T10_S7_lS9_S7_lS8_T11_S7_li ; -- Begin function _ZL29rocblas_internal_gemmt_kernelIiLi16ELi32ELi8ELc78ELc84ELc76ELb0ELb0EdPKdPKS1_PKPdEviT_T9_T10_S7_lS9_S7_lS8_T11_S7_li
	.p2align	8
	.type	_ZL29rocblas_internal_gemmt_kernelIiLi16ELi32ELi8ELc78ELc84ELc76ELb0ELb0EdPKdPKS1_PKPdEviT_T9_T10_S7_lS9_S7_lS8_T11_S7_li,@function
_ZL29rocblas_internal_gemmt_kernelIiLi16ELi32ELi8ELc78ELc84ELc76ELb0ELb0EdPKdPKS1_PKPdEviT_T9_T10_S7_lS9_S7_lS8_T11_S7_li: ; @_ZL29rocblas_internal_gemmt_kernelIiLi16ELi32ELi8ELc78ELc84ELc76ELb0ELb0EdPKdPKS1_PKPdEviT_T9_T10_S7_lS9_S7_lS8_T11_S7_li
; %bb.0:
	s_load_dwordx4 s[8:11], s[0:1], 0x38
	s_load_dwordx4 s[12:15], s[0:1], 0x8
	s_waitcnt lgkmcnt(0)
	s_load_dwordx2 s[16:17], s[10:11], 0x0
	s_load_dwordx2 s[20:21], s[0:1], 0x0
	;; [unrolled: 1-line block ×3, first 2 shown]
	s_waitcnt lgkmcnt(0)
	v_cmp_neq_f64_e64 s[6:7], s[16:17], 1.0
	s_and_b64 vcc, exec, s[6:7]
	s_cbranch_vccnz .LBB334_2
; %bb.1:
	s_cmp_lg_u32 s21, 0
	s_cselect_b64 s[6:7], -1, 0
	v_cmp_neq_f64_e64 s[10:11], s[18:19], 0
	s_and_b64 s[6:7], s[6:7], s[10:11]
.LBB334_2:
	s_andn2_b64 vcc, exec, s[6:7]
	s_cbranch_vccnz .LBB334_26
; %bb.3:
	s_load_dwordx2 s[10:11], s[0:1], 0x48
	s_mov_b32 s5, 0
	s_lshl_b64 s[6:7], s[4:5], 3
	v_and_b32_e32 v12, 0x3ff, v0
	v_bfe_u32 v13, v0, 10, 10
	s_waitcnt lgkmcnt(0)
	s_add_u32 s10, s10, s6
	s_addc_u32 s11, s11, s7
	s_load_dwordx2 s[10:11], s[10:11], 0x0
	s_lshl_b32 s4, s2, 5
	s_lshl_b32 s22, s3, 5
	s_cmp_lt_i32 s21, 1
	v_cmp_eq_f64_e64 s[2:3], s[18:19], 0
	s_cselect_b64 s[12:13], -1, 0
	s_or_b64 s[2:3], s[2:3], s[12:13]
	v_mov_b64_e32 v[6:7], 0
	s_and_b64 vcc, exec, s[2:3]
	v_mov_b64_e32 v[4:5], 0
	v_mov_b64_e32 v[2:3], 0
	;; [unrolled: 1-line block ×3, first 2 shown]
	s_cbranch_vccnz .LBB334_10
; %bb.4:
	s_load_dword s12, s[0:1], 0x18
	s_load_dwordx4 s[24:27], s[0:1], 0x20
	s_load_dword s28, s[0:1], 0x30
	v_lshl_add_u32 v1, v13, 4, v12
	v_and_b32_e32 v4, 31, v1
	s_waitcnt lgkmcnt(0)
	s_ashr_i32 s13, s12, 31
	v_lshrrev_b32_e32 v15, 5, v1
	s_ashr_i32 s29, s28, 31
	s_add_u32 s2, s26, s6
	v_lshrrev_b32_e32 v2, 3, v1
	v_or_b32_e32 v1, s4, v4
	s_addc_u32 s3, s27, s7
	v_and_b32_e32 v14, 7, v12
	s_load_dwordx2 s[26:27], s[2:3], 0x0
	s_add_u32 s2, s14, s6
	v_cmp_gt_i32_e32 vcc, s20, v1
	v_lshlrev_b32_e32 v1, 3, v4
	s_addc_u32 s3, s15, s7
	v_lshl_or_b32 v16, v15, 8, v1
	v_lshlrev_b32_e32 v1, 3, v14
	v_add_u32_e32 v0, s22, v2
	s_load_dwordx2 s[6:7], s[2:3], 0x0
	v_lshl_or_b32 v1, v2, 6, v1
	v_mov_b32_e32 v2, 0x800
	v_lshl_add_u32 v19, v13, 6, v2
	v_mad_i64_i32 v[2:3], s[14:15], v15, s12, 0
	s_lshl_b64 s[14:15], s[24:25], 3
	v_add_u32_e32 v4, s4, v4
	v_lshl_add_u64 v[2:3], v[2:3], 3, s[14:15]
	v_ashrrev_i32_e32 v5, 31, v4
	v_lshl_add_u64 v[2:3], v[4:5], 3, v[2:3]
	s_waitcnt lgkmcnt(0)
	v_lshl_add_u64 v[8:9], s[6:7], 0, v[2:3]
	v_mad_i64_i32 v[2:3], s[6:7], s28, v14, 0
	s_lshl_b64 s[6:7], s[8:9], 3
	v_add_u32_e32 v17, 0x800, v1
	v_ashrrev_i32_e32 v1, 31, v0
	v_lshl_add_u64 v[2:3], v[2:3], 3, s[6:7]
	v_cmp_gt_i32_e64 s[2:3], s20, v0
	v_lshl_add_u64 v[0:1], v[0:1], 3, v[2:3]
	v_lshlrev_b32_e32 v18, 3, v12
	s_lshl_b64 s[12:13], s[12:13], 6
	v_lshl_add_u64 v[10:11], s[26:27], 0, v[0:1]
	s_lshl_b64 s[8:9], s[28:29], 6
	v_mov_b64_e32 v[0:1], 0
	v_mov_b64_e32 v[2:3], 0
	;; [unrolled: 1-line block ×4, first 2 shown]
	s_branch .LBB334_6
.LBB334_5:                              ;   in Loop: Header=BB334_6 Depth=1
	s_or_b64 exec, exec, s[6:7]
	s_waitcnt vmcnt(0) lgkmcnt(0)
	ds_write_b64 v17, v[20:21]
	s_waitcnt lgkmcnt(0)
	s_barrier
	ds_read2_b64 v[20:23], v18 offset1:16
	ds_read_b128 v[24:27], v19
	ds_read_b128 v[28:31], v19 offset:16
	ds_read_b128 v[32:35], v19 offset:32
	;; [unrolled: 1-line block ×4, first 2 shown]
	ds_read2_b64 v[44:47], v18 offset0:32 offset1:48
	s_waitcnt lgkmcnt(5)
	v_fmac_f64_e32 v[6:7], v[20:21], v[24:25]
	v_fmac_f64_e32 v[4:5], v[22:23], v[24:25]
	ds_read_b128 v[48:51], v19 offset:1040
	s_waitcnt lgkmcnt(2)
	v_fmac_f64_e32 v[2:3], v[20:21], v[40:41]
	v_fmac_f64_e32 v[0:1], v[22:23], v[40:41]
	ds_read2_b64 v[20:23], v18 offset0:64 offset1:80
	s_waitcnt lgkmcnt(2)
	v_fmac_f64_e32 v[6:7], v[44:45], v[26:27]
	v_fmac_f64_e32 v[4:5], v[46:47], v[26:27]
	ds_read2_b64 v[24:27], v18 offset0:96 offset1:112
	v_fmac_f64_e32 v[2:3], v[44:45], v[42:43]
	v_fmac_f64_e32 v[0:1], v[46:47], v[42:43]
	s_waitcnt lgkmcnt(1)
	v_fmac_f64_e32 v[6:7], v[20:21], v[28:29]
	v_fmac_f64_e32 v[4:5], v[22:23], v[28:29]
	ds_read_b128 v[40:43], v19 offset:1072
	v_fmac_f64_e32 v[2:3], v[20:21], v[48:49]
	v_fmac_f64_e32 v[0:1], v[22:23], v[48:49]
	s_waitcnt lgkmcnt(1)
	v_fmac_f64_e32 v[6:7], v[24:25], v[30:31]
	ds_read2_b64 v[20:23], v18 offset0:128 offset1:144
	v_fmac_f64_e32 v[4:5], v[26:27], v[30:31]
	v_fmac_f64_e32 v[2:3], v[24:25], v[50:51]
	;; [unrolled: 1-line block ×3, first 2 shown]
	ds_read_b128 v[24:27], v19 offset:1056
	ds_read2_b64 v[28:31], v18 offset0:160 offset1:176
	s_waitcnt lgkmcnt(2)
	v_fmac_f64_e32 v[6:7], v[20:21], v[32:33]
	v_fmac_f64_e32 v[4:5], v[22:23], v[32:33]
	s_add_i32 s5, s5, 8
	s_waitcnt lgkmcnt(1)
	v_fmac_f64_e32 v[2:3], v[20:21], v[24:25]
	v_fmac_f64_e32 v[0:1], v[22:23], v[24:25]
	ds_read2_b64 v[20:23], v18 offset0:192 offset1:208
	s_waitcnt lgkmcnt(1)
	v_fmac_f64_e32 v[2:3], v[28:29], v[26:27]
	v_fmac_f64_e32 v[0:1], v[30:31], v[26:27]
	ds_read2_b64 v[24:27], v18 offset0:224 offset1:240
	v_fmac_f64_e32 v[6:7], v[28:29], v[34:35]
	v_fmac_f64_e32 v[4:5], v[30:31], v[34:35]
	s_waitcnt lgkmcnt(1)
	v_fmac_f64_e32 v[6:7], v[20:21], v[36:37]
	v_fmac_f64_e32 v[4:5], v[22:23], v[36:37]
	;; [unrolled: 1-line block ×4, first 2 shown]
	s_waitcnt lgkmcnt(0)
	v_fmac_f64_e32 v[6:7], v[24:25], v[38:39]
	v_fmac_f64_e32 v[4:5], v[26:27], v[38:39]
	;; [unrolled: 1-line block ×4, first 2 shown]
	v_lshl_add_u64 v[8:9], v[8:9], 0, s[12:13]
	s_cmp_lt_i32 s5, s21
	v_lshl_add_u64 v[10:11], v[10:11], 0, s[8:9]
	s_barrier
	s_cbranch_scc0 .LBB334_10
.LBB334_6:                              ; =>This Inner Loop Header: Depth=1
	v_add_u32_e32 v20, s5, v15
	v_cmp_gt_i32_e64 s[6:7], s21, v20
	s_and_b64 s[14:15], vcc, s[6:7]
	v_mov_b64_e32 v[20:21], 0
	s_and_saveexec_b64 s[6:7], s[14:15]
	s_cbranch_execz .LBB334_8
; %bb.7:                                ;   in Loop: Header=BB334_6 Depth=1
	flat_load_dwordx2 v[20:21], v[8:9]
.LBB334_8:                              ;   in Loop: Header=BB334_6 Depth=1
	s_or_b64 exec, exec, s[6:7]
	s_waitcnt vmcnt(0) lgkmcnt(0)
	ds_write_b64 v16, v[20:21]
	v_add_u32_e32 v20, s5, v14
	v_cmp_gt_i32_e64 s[6:7], s21, v20
	s_and_b64 s[14:15], s[6:7], s[2:3]
	v_mov_b64_e32 v[20:21], 0
	s_and_saveexec_b64 s[6:7], s[14:15]
	s_cbranch_execz .LBB334_5
; %bb.9:                                ;   in Loop: Header=BB334_6 Depth=1
	flat_load_dwordx2 v[20:21], v[10:11]
	s_branch .LBB334_5
.LBB334_10:
	s_load_dwordx2 s[2:3], s[0:1], 0x58
	s_load_dword s12, s[0:1], 0x50
	v_add_u32_e32 v14, s22, v13
	v_add_u32_e32 v8, s4, v12
	v_cmp_le_i32_e32 vcc, v14, v8
	s_waitcnt lgkmcnt(0)
	s_lshl_b64 s[0:1], s[2:3], 3
	s_add_u32 s6, s10, s0
	s_addc_u32 s7, s11, s1
	v_mad_i64_i32 v[10:11], s[0:1], v14, s12, 0
	v_cmp_neq_f64_e64 s[0:1], s[16:17], 0
	v_cmp_gt_i32_e64 s[2:3], s20, v8
	v_lshl_add_u64 v[10:11], v[10:11], 3, s[6:7]
	v_cndmask_b32_e64 v12, 0, 1, s[0:1]
	s_and_b64 s[8:9], vcc, s[2:3]
	v_ashrrev_i32_e32 v9, 31, v8
	v_cmp_ne_u32_e64 s[0:1], 1, v12
	s_and_saveexec_b64 s[4:5], s[8:9]
	s_cbranch_execz .LBB334_14
; %bb.11:
	v_mul_f64 v[6:7], s[18:19], v[6:7]
	s_and_b64 vcc, exec, s[0:1]
	v_lshl_add_u64 v[12:13], v[8:9], 3, v[10:11]
	s_cbranch_vccnz .LBB334_13
; %bb.12:
	flat_load_dwordx2 v[16:17], v[12:13]
	s_waitcnt vmcnt(0) lgkmcnt(0)
	v_fmac_f64_e32 v[6:7], s[16:17], v[16:17]
.LBB334_13:
	flat_store_dwordx2 v[12:13], v[6:7]
.LBB334_14:
	s_or_b64 exec, exec, s[4:5]
	v_add_u32_e32 v6, 16, v8
	v_cmp_le_i32_e32 vcc, v14, v6
	v_cmp_gt_i32_e64 s[4:5], s20, v6
	s_and_b64 s[10:11], vcc, s[4:5]
	v_ashrrev_i32_e32 v7, 31, v6
	s_and_saveexec_b64 s[8:9], s[10:11]
	s_cbranch_execz .LBB334_18
; %bb.15:
	v_mul_f64 v[4:5], s[18:19], v[4:5]
	s_and_b64 vcc, exec, s[0:1]
	v_lshl_add_u64 v[10:11], v[6:7], 3, v[10:11]
	s_cbranch_vccnz .LBB334_17
; %bb.16:
	flat_load_dwordx2 v[12:13], v[10:11]
	s_waitcnt vmcnt(0) lgkmcnt(0)
	v_fmac_f64_e32 v[4:5], s[16:17], v[12:13]
.LBB334_17:
	flat_store_dwordx2 v[10:11], v[4:5]
.LBB334_18:
	s_or_b64 exec, exec, s[8:9]
	v_add_u32_e32 v10, 16, v14
	v_mad_i64_i32 v[4:5], s[8:9], v10, s12, 0
	v_cmp_le_i32_e32 vcc, v10, v8
	v_lshl_add_u64 v[4:5], v[4:5], 3, s[6:7]
	s_and_b64 s[6:7], vcc, s[2:3]
	s_and_saveexec_b64 s[2:3], s[6:7]
	s_cbranch_execz .LBB334_22
; %bb.19:
	v_mul_f64 v[2:3], s[18:19], v[2:3]
	s_and_b64 vcc, exec, s[0:1]
	v_lshl_add_u64 v[8:9], v[8:9], 3, v[4:5]
	s_cbranch_vccnz .LBB334_21
; %bb.20:
	flat_load_dwordx2 v[12:13], v[8:9]
	s_waitcnt vmcnt(0) lgkmcnt(0)
	v_fmac_f64_e32 v[2:3], s[16:17], v[12:13]
.LBB334_21:
	flat_store_dwordx2 v[8:9], v[2:3]
.LBB334_22:
	s_or_b64 exec, exec, s[2:3]
	v_cmp_le_i32_e32 vcc, v10, v6
	s_and_b64 s[2:3], vcc, s[4:5]
	s_and_saveexec_b64 s[4:5], s[2:3]
	s_cbranch_execz .LBB334_26
; %bb.23:
	v_mul_f64 v[0:1], s[18:19], v[0:1]
	s_and_b64 vcc, exec, s[0:1]
	v_lshl_add_u64 v[2:3], v[6:7], 3, v[4:5]
	s_cbranch_vccnz .LBB334_25
; %bb.24:
	flat_load_dwordx2 v[4:5], v[2:3]
	s_waitcnt vmcnt(0) lgkmcnt(0)
	v_fmac_f64_e32 v[0:1], s[16:17], v[4:5]
.LBB334_25:
	flat_store_dwordx2 v[2:3], v[0:1]
.LBB334_26:
	s_endpgm
	.section	.rodata,"a",@progbits
	.p2align	6, 0x0
	.amdhsa_kernel _ZL29rocblas_internal_gemmt_kernelIiLi16ELi32ELi8ELc78ELc84ELc76ELb0ELb0EdPKdPKS1_PKPdEviT_T9_T10_S7_lS9_S7_lS8_T11_S7_li
		.amdhsa_group_segment_fixed_size 4096
		.amdhsa_private_segment_fixed_size 0
		.amdhsa_kernarg_size 100
		.amdhsa_user_sgpr_count 2
		.amdhsa_user_sgpr_dispatch_ptr 0
		.amdhsa_user_sgpr_queue_ptr 0
		.amdhsa_user_sgpr_kernarg_segment_ptr 1
		.amdhsa_user_sgpr_dispatch_id 0
		.amdhsa_user_sgpr_kernarg_preload_length 0
		.amdhsa_user_sgpr_kernarg_preload_offset 0
		.amdhsa_user_sgpr_private_segment_size 0
		.amdhsa_uses_dynamic_stack 0
		.amdhsa_enable_private_segment 0
		.amdhsa_system_sgpr_workgroup_id_x 1
		.amdhsa_system_sgpr_workgroup_id_y 1
		.amdhsa_system_sgpr_workgroup_id_z 1
		.amdhsa_system_sgpr_workgroup_info 0
		.amdhsa_system_vgpr_workitem_id 1
		.amdhsa_next_free_vgpr 52
		.amdhsa_next_free_sgpr 30
		.amdhsa_accum_offset 52
		.amdhsa_reserve_vcc 1
		.amdhsa_float_round_mode_32 0
		.amdhsa_float_round_mode_16_64 0
		.amdhsa_float_denorm_mode_32 3
		.amdhsa_float_denorm_mode_16_64 3
		.amdhsa_dx10_clamp 1
		.amdhsa_ieee_mode 1
		.amdhsa_fp16_overflow 0
		.amdhsa_tg_split 0
		.amdhsa_exception_fp_ieee_invalid_op 0
		.amdhsa_exception_fp_denorm_src 0
		.amdhsa_exception_fp_ieee_div_zero 0
		.amdhsa_exception_fp_ieee_overflow 0
		.amdhsa_exception_fp_ieee_underflow 0
		.amdhsa_exception_fp_ieee_inexact 0
		.amdhsa_exception_int_div_zero 0
	.end_amdhsa_kernel
	.section	.text._ZL29rocblas_internal_gemmt_kernelIiLi16ELi32ELi8ELc78ELc84ELc76ELb0ELb0EdPKdPKS1_PKPdEviT_T9_T10_S7_lS9_S7_lS8_T11_S7_li,"axG",@progbits,_ZL29rocblas_internal_gemmt_kernelIiLi16ELi32ELi8ELc78ELc84ELc76ELb0ELb0EdPKdPKS1_PKPdEviT_T9_T10_S7_lS9_S7_lS8_T11_S7_li,comdat
.Lfunc_end334:
	.size	_ZL29rocblas_internal_gemmt_kernelIiLi16ELi32ELi8ELc78ELc84ELc76ELb0ELb0EdPKdPKS1_PKPdEviT_T9_T10_S7_lS9_S7_lS8_T11_S7_li, .Lfunc_end334-_ZL29rocblas_internal_gemmt_kernelIiLi16ELi32ELi8ELc78ELc84ELc76ELb0ELb0EdPKdPKS1_PKPdEviT_T9_T10_S7_lS9_S7_lS8_T11_S7_li
                                        ; -- End function
	.set _ZL29rocblas_internal_gemmt_kernelIiLi16ELi32ELi8ELc78ELc84ELc76ELb0ELb0EdPKdPKS1_PKPdEviT_T9_T10_S7_lS9_S7_lS8_T11_S7_li.num_vgpr, 52
	.set _ZL29rocblas_internal_gemmt_kernelIiLi16ELi32ELi8ELc78ELc84ELc76ELb0ELb0EdPKdPKS1_PKPdEviT_T9_T10_S7_lS9_S7_lS8_T11_S7_li.num_agpr, 0
	.set _ZL29rocblas_internal_gemmt_kernelIiLi16ELi32ELi8ELc78ELc84ELc76ELb0ELb0EdPKdPKS1_PKPdEviT_T9_T10_S7_lS9_S7_lS8_T11_S7_li.numbered_sgpr, 30
	.set _ZL29rocblas_internal_gemmt_kernelIiLi16ELi32ELi8ELc78ELc84ELc76ELb0ELb0EdPKdPKS1_PKPdEviT_T9_T10_S7_lS9_S7_lS8_T11_S7_li.num_named_barrier, 0
	.set _ZL29rocblas_internal_gemmt_kernelIiLi16ELi32ELi8ELc78ELc84ELc76ELb0ELb0EdPKdPKS1_PKPdEviT_T9_T10_S7_lS9_S7_lS8_T11_S7_li.private_seg_size, 0
	.set _ZL29rocblas_internal_gemmt_kernelIiLi16ELi32ELi8ELc78ELc84ELc76ELb0ELb0EdPKdPKS1_PKPdEviT_T9_T10_S7_lS9_S7_lS8_T11_S7_li.uses_vcc, 1
	.set _ZL29rocblas_internal_gemmt_kernelIiLi16ELi32ELi8ELc78ELc84ELc76ELb0ELb0EdPKdPKS1_PKPdEviT_T9_T10_S7_lS9_S7_lS8_T11_S7_li.uses_flat_scratch, 0
	.set _ZL29rocblas_internal_gemmt_kernelIiLi16ELi32ELi8ELc78ELc84ELc76ELb0ELb0EdPKdPKS1_PKPdEviT_T9_T10_S7_lS9_S7_lS8_T11_S7_li.has_dyn_sized_stack, 0
	.set _ZL29rocblas_internal_gemmt_kernelIiLi16ELi32ELi8ELc78ELc84ELc76ELb0ELb0EdPKdPKS1_PKPdEviT_T9_T10_S7_lS9_S7_lS8_T11_S7_li.has_recursion, 0
	.set _ZL29rocblas_internal_gemmt_kernelIiLi16ELi32ELi8ELc78ELc84ELc76ELb0ELb0EdPKdPKS1_PKPdEviT_T9_T10_S7_lS9_S7_lS8_T11_S7_li.has_indirect_call, 0
	.section	.AMDGPU.csdata,"",@progbits
; Kernel info:
; codeLenInByte = 1320
; TotalNumSgprs: 36
; NumVgprs: 52
; NumAgprs: 0
; TotalNumVgprs: 52
; ScratchSize: 0
; MemoryBound: 0
; FloatMode: 240
; IeeeMode: 1
; LDSByteSize: 4096 bytes/workgroup (compile time only)
; SGPRBlocks: 4
; VGPRBlocks: 6
; NumSGPRsForWavesPerEU: 36
; NumVGPRsForWavesPerEU: 52
; AccumOffset: 52
; Occupancy: 8
; WaveLimiterHint : 1
; COMPUTE_PGM_RSRC2:SCRATCH_EN: 0
; COMPUTE_PGM_RSRC2:USER_SGPR: 2
; COMPUTE_PGM_RSRC2:TRAP_HANDLER: 0
; COMPUTE_PGM_RSRC2:TGID_X_EN: 1
; COMPUTE_PGM_RSRC2:TGID_Y_EN: 1
; COMPUTE_PGM_RSRC2:TGID_Z_EN: 1
; COMPUTE_PGM_RSRC2:TIDIG_COMP_CNT: 1
; COMPUTE_PGM_RSRC3_GFX90A:ACCUM_OFFSET: 12
; COMPUTE_PGM_RSRC3_GFX90A:TG_SPLIT: 0
	.section	.text._ZL29rocblas_internal_gemmt_kernelIiLi16ELi32ELi8ELc78ELc67ELc76ELb0ELb0EdPKdPKS1_PKPdEviT_T9_T10_S7_lS9_S7_lS8_T11_S7_li,"axG",@progbits,_ZL29rocblas_internal_gemmt_kernelIiLi16ELi32ELi8ELc78ELc67ELc76ELb0ELb0EdPKdPKS1_PKPdEviT_T9_T10_S7_lS9_S7_lS8_T11_S7_li,comdat
	.globl	_ZL29rocblas_internal_gemmt_kernelIiLi16ELi32ELi8ELc78ELc67ELc76ELb0ELb0EdPKdPKS1_PKPdEviT_T9_T10_S7_lS9_S7_lS8_T11_S7_li ; -- Begin function _ZL29rocblas_internal_gemmt_kernelIiLi16ELi32ELi8ELc78ELc67ELc76ELb0ELb0EdPKdPKS1_PKPdEviT_T9_T10_S7_lS9_S7_lS8_T11_S7_li
	.p2align	8
	.type	_ZL29rocblas_internal_gemmt_kernelIiLi16ELi32ELi8ELc78ELc67ELc76ELb0ELb0EdPKdPKS1_PKPdEviT_T9_T10_S7_lS9_S7_lS8_T11_S7_li,@function
_ZL29rocblas_internal_gemmt_kernelIiLi16ELi32ELi8ELc78ELc67ELc76ELb0ELb0EdPKdPKS1_PKPdEviT_T9_T10_S7_lS9_S7_lS8_T11_S7_li: ; @_ZL29rocblas_internal_gemmt_kernelIiLi16ELi32ELi8ELc78ELc67ELc76ELb0ELb0EdPKdPKS1_PKPdEviT_T9_T10_S7_lS9_S7_lS8_T11_S7_li
; %bb.0:
	s_load_dwordx4 s[8:11], s[0:1], 0x38
	s_load_dwordx4 s[12:15], s[0:1], 0x8
	s_waitcnt lgkmcnt(0)
	s_load_dwordx2 s[16:17], s[10:11], 0x0
	s_load_dwordx2 s[20:21], s[0:1], 0x0
	;; [unrolled: 1-line block ×3, first 2 shown]
	s_waitcnt lgkmcnt(0)
	v_cmp_neq_f64_e64 s[6:7], s[16:17], 1.0
	s_and_b64 vcc, exec, s[6:7]
	s_cbranch_vccnz .LBB335_2
; %bb.1:
	s_cmp_lg_u32 s21, 0
	s_cselect_b64 s[6:7], -1, 0
	v_cmp_neq_f64_e64 s[10:11], s[18:19], 0
	s_and_b64 s[6:7], s[6:7], s[10:11]
.LBB335_2:
	s_andn2_b64 vcc, exec, s[6:7]
	s_cbranch_vccnz .LBB335_26
; %bb.3:
	s_load_dwordx2 s[10:11], s[0:1], 0x48
	s_mov_b32 s5, 0
	s_lshl_b64 s[6:7], s[4:5], 3
	v_and_b32_e32 v12, 0x3ff, v0
	v_bfe_u32 v13, v0, 10, 10
	s_waitcnt lgkmcnt(0)
	s_add_u32 s10, s10, s6
	s_addc_u32 s11, s11, s7
	s_load_dwordx2 s[10:11], s[10:11], 0x0
	s_lshl_b32 s4, s2, 5
	s_lshl_b32 s22, s3, 5
	s_cmp_lt_i32 s21, 1
	v_cmp_eq_f64_e64 s[2:3], s[18:19], 0
	s_cselect_b64 s[12:13], -1, 0
	s_or_b64 s[2:3], s[2:3], s[12:13]
	v_mov_b64_e32 v[6:7], 0
	s_and_b64 vcc, exec, s[2:3]
	v_mov_b64_e32 v[4:5], 0
	v_mov_b64_e32 v[2:3], 0
	;; [unrolled: 1-line block ×3, first 2 shown]
	s_cbranch_vccnz .LBB335_10
; %bb.4:
	s_load_dword s12, s[0:1], 0x18
	s_load_dwordx4 s[24:27], s[0:1], 0x20
	s_load_dword s28, s[0:1], 0x30
	v_lshl_add_u32 v1, v13, 4, v12
	v_and_b32_e32 v4, 31, v1
	s_waitcnt lgkmcnt(0)
	s_ashr_i32 s13, s12, 31
	v_lshrrev_b32_e32 v15, 5, v1
	s_ashr_i32 s29, s28, 31
	s_add_u32 s2, s26, s6
	v_lshrrev_b32_e32 v2, 3, v1
	v_or_b32_e32 v1, s4, v4
	s_addc_u32 s3, s27, s7
	v_and_b32_e32 v14, 7, v12
	s_load_dwordx2 s[26:27], s[2:3], 0x0
	s_add_u32 s2, s14, s6
	v_cmp_gt_i32_e32 vcc, s20, v1
	v_lshlrev_b32_e32 v1, 3, v4
	s_addc_u32 s3, s15, s7
	v_lshl_or_b32 v16, v15, 8, v1
	v_lshlrev_b32_e32 v1, 3, v14
	v_add_u32_e32 v0, s22, v2
	s_load_dwordx2 s[6:7], s[2:3], 0x0
	v_lshl_or_b32 v1, v2, 6, v1
	v_mov_b32_e32 v2, 0x800
	v_lshl_add_u32 v19, v13, 6, v2
	v_mad_i64_i32 v[2:3], s[14:15], v15, s12, 0
	s_lshl_b64 s[14:15], s[24:25], 3
	v_add_u32_e32 v4, s4, v4
	v_lshl_add_u64 v[2:3], v[2:3], 3, s[14:15]
	v_ashrrev_i32_e32 v5, 31, v4
	v_lshl_add_u64 v[2:3], v[4:5], 3, v[2:3]
	s_waitcnt lgkmcnt(0)
	v_lshl_add_u64 v[8:9], s[6:7], 0, v[2:3]
	v_mad_i64_i32 v[2:3], s[6:7], s28, v14, 0
	s_lshl_b64 s[6:7], s[8:9], 3
	v_add_u32_e32 v17, 0x800, v1
	v_ashrrev_i32_e32 v1, 31, v0
	v_lshl_add_u64 v[2:3], v[2:3], 3, s[6:7]
	v_cmp_gt_i32_e64 s[2:3], s20, v0
	v_lshl_add_u64 v[0:1], v[0:1], 3, v[2:3]
	v_lshlrev_b32_e32 v18, 3, v12
	s_lshl_b64 s[12:13], s[12:13], 6
	v_lshl_add_u64 v[10:11], s[26:27], 0, v[0:1]
	s_lshl_b64 s[8:9], s[28:29], 6
	v_mov_b64_e32 v[0:1], 0
	v_mov_b64_e32 v[2:3], 0
	;; [unrolled: 1-line block ×4, first 2 shown]
	s_branch .LBB335_6
.LBB335_5:                              ;   in Loop: Header=BB335_6 Depth=1
	s_or_b64 exec, exec, s[6:7]
	s_waitcnt vmcnt(0) lgkmcnt(0)
	ds_write_b64 v17, v[20:21]
	s_waitcnt lgkmcnt(0)
	s_barrier
	ds_read2_b64 v[20:23], v18 offset1:16
	ds_read_b128 v[24:27], v19
	ds_read_b128 v[28:31], v19 offset:16
	ds_read_b128 v[32:35], v19 offset:32
	;; [unrolled: 1-line block ×4, first 2 shown]
	ds_read2_b64 v[44:47], v18 offset0:32 offset1:48
	s_waitcnt lgkmcnt(5)
	v_fmac_f64_e32 v[6:7], v[20:21], v[24:25]
	v_fmac_f64_e32 v[4:5], v[22:23], v[24:25]
	ds_read_b128 v[48:51], v19 offset:1040
	s_waitcnt lgkmcnt(2)
	v_fmac_f64_e32 v[2:3], v[20:21], v[40:41]
	v_fmac_f64_e32 v[0:1], v[22:23], v[40:41]
	ds_read2_b64 v[20:23], v18 offset0:64 offset1:80
	s_waitcnt lgkmcnt(2)
	v_fmac_f64_e32 v[6:7], v[44:45], v[26:27]
	v_fmac_f64_e32 v[4:5], v[46:47], v[26:27]
	ds_read2_b64 v[24:27], v18 offset0:96 offset1:112
	v_fmac_f64_e32 v[2:3], v[44:45], v[42:43]
	v_fmac_f64_e32 v[0:1], v[46:47], v[42:43]
	s_waitcnt lgkmcnt(1)
	v_fmac_f64_e32 v[6:7], v[20:21], v[28:29]
	v_fmac_f64_e32 v[4:5], v[22:23], v[28:29]
	ds_read_b128 v[40:43], v19 offset:1072
	v_fmac_f64_e32 v[2:3], v[20:21], v[48:49]
	v_fmac_f64_e32 v[0:1], v[22:23], v[48:49]
	s_waitcnt lgkmcnt(1)
	v_fmac_f64_e32 v[6:7], v[24:25], v[30:31]
	ds_read2_b64 v[20:23], v18 offset0:128 offset1:144
	v_fmac_f64_e32 v[4:5], v[26:27], v[30:31]
	v_fmac_f64_e32 v[2:3], v[24:25], v[50:51]
	;; [unrolled: 1-line block ×3, first 2 shown]
	ds_read_b128 v[24:27], v19 offset:1056
	ds_read2_b64 v[28:31], v18 offset0:160 offset1:176
	s_waitcnt lgkmcnt(2)
	v_fmac_f64_e32 v[6:7], v[20:21], v[32:33]
	v_fmac_f64_e32 v[4:5], v[22:23], v[32:33]
	s_add_i32 s5, s5, 8
	s_waitcnt lgkmcnt(1)
	v_fmac_f64_e32 v[2:3], v[20:21], v[24:25]
	v_fmac_f64_e32 v[0:1], v[22:23], v[24:25]
	ds_read2_b64 v[20:23], v18 offset0:192 offset1:208
	s_waitcnt lgkmcnt(1)
	v_fmac_f64_e32 v[2:3], v[28:29], v[26:27]
	v_fmac_f64_e32 v[0:1], v[30:31], v[26:27]
	ds_read2_b64 v[24:27], v18 offset0:224 offset1:240
	v_fmac_f64_e32 v[6:7], v[28:29], v[34:35]
	v_fmac_f64_e32 v[4:5], v[30:31], v[34:35]
	s_waitcnt lgkmcnt(1)
	v_fmac_f64_e32 v[6:7], v[20:21], v[36:37]
	v_fmac_f64_e32 v[4:5], v[22:23], v[36:37]
	;; [unrolled: 1-line block ×4, first 2 shown]
	s_waitcnt lgkmcnt(0)
	v_fmac_f64_e32 v[6:7], v[24:25], v[38:39]
	v_fmac_f64_e32 v[4:5], v[26:27], v[38:39]
	;; [unrolled: 1-line block ×4, first 2 shown]
	v_lshl_add_u64 v[8:9], v[8:9], 0, s[12:13]
	s_cmp_lt_i32 s5, s21
	v_lshl_add_u64 v[10:11], v[10:11], 0, s[8:9]
	s_barrier
	s_cbranch_scc0 .LBB335_10
.LBB335_6:                              ; =>This Inner Loop Header: Depth=1
	v_add_u32_e32 v20, s5, v15
	v_cmp_gt_i32_e64 s[6:7], s21, v20
	s_and_b64 s[14:15], vcc, s[6:7]
	v_mov_b64_e32 v[20:21], 0
	s_and_saveexec_b64 s[6:7], s[14:15]
	s_cbranch_execz .LBB335_8
; %bb.7:                                ;   in Loop: Header=BB335_6 Depth=1
	flat_load_dwordx2 v[20:21], v[8:9]
.LBB335_8:                              ;   in Loop: Header=BB335_6 Depth=1
	s_or_b64 exec, exec, s[6:7]
	s_waitcnt vmcnt(0) lgkmcnt(0)
	ds_write_b64 v16, v[20:21]
	v_add_u32_e32 v20, s5, v14
	v_cmp_gt_i32_e64 s[6:7], s21, v20
	s_and_b64 s[14:15], s[6:7], s[2:3]
	v_mov_b64_e32 v[20:21], 0
	s_and_saveexec_b64 s[6:7], s[14:15]
	s_cbranch_execz .LBB335_5
; %bb.9:                                ;   in Loop: Header=BB335_6 Depth=1
	flat_load_dwordx2 v[20:21], v[10:11]
	s_branch .LBB335_5
.LBB335_10:
	s_load_dwordx2 s[2:3], s[0:1], 0x58
	s_load_dword s12, s[0:1], 0x50
	v_add_u32_e32 v14, s22, v13
	v_add_u32_e32 v8, s4, v12
	v_cmp_le_i32_e32 vcc, v14, v8
	s_waitcnt lgkmcnt(0)
	s_lshl_b64 s[0:1], s[2:3], 3
	s_add_u32 s6, s10, s0
	s_addc_u32 s7, s11, s1
	v_mad_i64_i32 v[10:11], s[0:1], v14, s12, 0
	v_cmp_neq_f64_e64 s[0:1], s[16:17], 0
	v_cmp_gt_i32_e64 s[2:3], s20, v8
	v_lshl_add_u64 v[10:11], v[10:11], 3, s[6:7]
	v_cndmask_b32_e64 v12, 0, 1, s[0:1]
	s_and_b64 s[8:9], vcc, s[2:3]
	v_ashrrev_i32_e32 v9, 31, v8
	v_cmp_ne_u32_e64 s[0:1], 1, v12
	s_and_saveexec_b64 s[4:5], s[8:9]
	s_cbranch_execz .LBB335_14
; %bb.11:
	v_mul_f64 v[6:7], s[18:19], v[6:7]
	s_and_b64 vcc, exec, s[0:1]
	v_lshl_add_u64 v[12:13], v[8:9], 3, v[10:11]
	s_cbranch_vccnz .LBB335_13
; %bb.12:
	flat_load_dwordx2 v[16:17], v[12:13]
	s_waitcnt vmcnt(0) lgkmcnt(0)
	v_fmac_f64_e32 v[6:7], s[16:17], v[16:17]
.LBB335_13:
	flat_store_dwordx2 v[12:13], v[6:7]
.LBB335_14:
	s_or_b64 exec, exec, s[4:5]
	v_add_u32_e32 v6, 16, v8
	v_cmp_le_i32_e32 vcc, v14, v6
	v_cmp_gt_i32_e64 s[4:5], s20, v6
	s_and_b64 s[10:11], vcc, s[4:5]
	v_ashrrev_i32_e32 v7, 31, v6
	s_and_saveexec_b64 s[8:9], s[10:11]
	s_cbranch_execz .LBB335_18
; %bb.15:
	v_mul_f64 v[4:5], s[18:19], v[4:5]
	s_and_b64 vcc, exec, s[0:1]
	v_lshl_add_u64 v[10:11], v[6:7], 3, v[10:11]
	s_cbranch_vccnz .LBB335_17
; %bb.16:
	flat_load_dwordx2 v[12:13], v[10:11]
	s_waitcnt vmcnt(0) lgkmcnt(0)
	v_fmac_f64_e32 v[4:5], s[16:17], v[12:13]
.LBB335_17:
	flat_store_dwordx2 v[10:11], v[4:5]
.LBB335_18:
	s_or_b64 exec, exec, s[8:9]
	v_add_u32_e32 v10, 16, v14
	v_mad_i64_i32 v[4:5], s[8:9], v10, s12, 0
	v_cmp_le_i32_e32 vcc, v10, v8
	v_lshl_add_u64 v[4:5], v[4:5], 3, s[6:7]
	s_and_b64 s[6:7], vcc, s[2:3]
	s_and_saveexec_b64 s[2:3], s[6:7]
	s_cbranch_execz .LBB335_22
; %bb.19:
	v_mul_f64 v[2:3], s[18:19], v[2:3]
	s_and_b64 vcc, exec, s[0:1]
	v_lshl_add_u64 v[8:9], v[8:9], 3, v[4:5]
	s_cbranch_vccnz .LBB335_21
; %bb.20:
	flat_load_dwordx2 v[12:13], v[8:9]
	s_waitcnt vmcnt(0) lgkmcnt(0)
	v_fmac_f64_e32 v[2:3], s[16:17], v[12:13]
.LBB335_21:
	flat_store_dwordx2 v[8:9], v[2:3]
.LBB335_22:
	s_or_b64 exec, exec, s[2:3]
	v_cmp_le_i32_e32 vcc, v10, v6
	s_and_b64 s[2:3], vcc, s[4:5]
	s_and_saveexec_b64 s[4:5], s[2:3]
	s_cbranch_execz .LBB335_26
; %bb.23:
	v_mul_f64 v[0:1], s[18:19], v[0:1]
	s_and_b64 vcc, exec, s[0:1]
	v_lshl_add_u64 v[2:3], v[6:7], 3, v[4:5]
	s_cbranch_vccnz .LBB335_25
; %bb.24:
	flat_load_dwordx2 v[4:5], v[2:3]
	s_waitcnt vmcnt(0) lgkmcnt(0)
	v_fmac_f64_e32 v[0:1], s[16:17], v[4:5]
.LBB335_25:
	flat_store_dwordx2 v[2:3], v[0:1]
.LBB335_26:
	s_endpgm
	.section	.rodata,"a",@progbits
	.p2align	6, 0x0
	.amdhsa_kernel _ZL29rocblas_internal_gemmt_kernelIiLi16ELi32ELi8ELc78ELc67ELc76ELb0ELb0EdPKdPKS1_PKPdEviT_T9_T10_S7_lS9_S7_lS8_T11_S7_li
		.amdhsa_group_segment_fixed_size 4096
		.amdhsa_private_segment_fixed_size 0
		.amdhsa_kernarg_size 100
		.amdhsa_user_sgpr_count 2
		.amdhsa_user_sgpr_dispatch_ptr 0
		.amdhsa_user_sgpr_queue_ptr 0
		.amdhsa_user_sgpr_kernarg_segment_ptr 1
		.amdhsa_user_sgpr_dispatch_id 0
		.amdhsa_user_sgpr_kernarg_preload_length 0
		.amdhsa_user_sgpr_kernarg_preload_offset 0
		.amdhsa_user_sgpr_private_segment_size 0
		.amdhsa_uses_dynamic_stack 0
		.amdhsa_enable_private_segment 0
		.amdhsa_system_sgpr_workgroup_id_x 1
		.amdhsa_system_sgpr_workgroup_id_y 1
		.amdhsa_system_sgpr_workgroup_id_z 1
		.amdhsa_system_sgpr_workgroup_info 0
		.amdhsa_system_vgpr_workitem_id 1
		.amdhsa_next_free_vgpr 52
		.amdhsa_next_free_sgpr 30
		.amdhsa_accum_offset 52
		.amdhsa_reserve_vcc 1
		.amdhsa_float_round_mode_32 0
		.amdhsa_float_round_mode_16_64 0
		.amdhsa_float_denorm_mode_32 3
		.amdhsa_float_denorm_mode_16_64 3
		.amdhsa_dx10_clamp 1
		.amdhsa_ieee_mode 1
		.amdhsa_fp16_overflow 0
		.amdhsa_tg_split 0
		.amdhsa_exception_fp_ieee_invalid_op 0
		.amdhsa_exception_fp_denorm_src 0
		.amdhsa_exception_fp_ieee_div_zero 0
		.amdhsa_exception_fp_ieee_overflow 0
		.amdhsa_exception_fp_ieee_underflow 0
		.amdhsa_exception_fp_ieee_inexact 0
		.amdhsa_exception_int_div_zero 0
	.end_amdhsa_kernel
	.section	.text._ZL29rocblas_internal_gemmt_kernelIiLi16ELi32ELi8ELc78ELc67ELc76ELb0ELb0EdPKdPKS1_PKPdEviT_T9_T10_S7_lS9_S7_lS8_T11_S7_li,"axG",@progbits,_ZL29rocblas_internal_gemmt_kernelIiLi16ELi32ELi8ELc78ELc67ELc76ELb0ELb0EdPKdPKS1_PKPdEviT_T9_T10_S7_lS9_S7_lS8_T11_S7_li,comdat
.Lfunc_end335:
	.size	_ZL29rocblas_internal_gemmt_kernelIiLi16ELi32ELi8ELc78ELc67ELc76ELb0ELb0EdPKdPKS1_PKPdEviT_T9_T10_S7_lS9_S7_lS8_T11_S7_li, .Lfunc_end335-_ZL29rocblas_internal_gemmt_kernelIiLi16ELi32ELi8ELc78ELc67ELc76ELb0ELb0EdPKdPKS1_PKPdEviT_T9_T10_S7_lS9_S7_lS8_T11_S7_li
                                        ; -- End function
	.set _ZL29rocblas_internal_gemmt_kernelIiLi16ELi32ELi8ELc78ELc67ELc76ELb0ELb0EdPKdPKS1_PKPdEviT_T9_T10_S7_lS9_S7_lS8_T11_S7_li.num_vgpr, 52
	.set _ZL29rocblas_internal_gemmt_kernelIiLi16ELi32ELi8ELc78ELc67ELc76ELb0ELb0EdPKdPKS1_PKPdEviT_T9_T10_S7_lS9_S7_lS8_T11_S7_li.num_agpr, 0
	.set _ZL29rocblas_internal_gemmt_kernelIiLi16ELi32ELi8ELc78ELc67ELc76ELb0ELb0EdPKdPKS1_PKPdEviT_T9_T10_S7_lS9_S7_lS8_T11_S7_li.numbered_sgpr, 30
	.set _ZL29rocblas_internal_gemmt_kernelIiLi16ELi32ELi8ELc78ELc67ELc76ELb0ELb0EdPKdPKS1_PKPdEviT_T9_T10_S7_lS9_S7_lS8_T11_S7_li.num_named_barrier, 0
	.set _ZL29rocblas_internal_gemmt_kernelIiLi16ELi32ELi8ELc78ELc67ELc76ELb0ELb0EdPKdPKS1_PKPdEviT_T9_T10_S7_lS9_S7_lS8_T11_S7_li.private_seg_size, 0
	.set _ZL29rocblas_internal_gemmt_kernelIiLi16ELi32ELi8ELc78ELc67ELc76ELb0ELb0EdPKdPKS1_PKPdEviT_T9_T10_S7_lS9_S7_lS8_T11_S7_li.uses_vcc, 1
	.set _ZL29rocblas_internal_gemmt_kernelIiLi16ELi32ELi8ELc78ELc67ELc76ELb0ELb0EdPKdPKS1_PKPdEviT_T9_T10_S7_lS9_S7_lS8_T11_S7_li.uses_flat_scratch, 0
	.set _ZL29rocblas_internal_gemmt_kernelIiLi16ELi32ELi8ELc78ELc67ELc76ELb0ELb0EdPKdPKS1_PKPdEviT_T9_T10_S7_lS9_S7_lS8_T11_S7_li.has_dyn_sized_stack, 0
	.set _ZL29rocblas_internal_gemmt_kernelIiLi16ELi32ELi8ELc78ELc67ELc76ELb0ELb0EdPKdPKS1_PKPdEviT_T9_T10_S7_lS9_S7_lS8_T11_S7_li.has_recursion, 0
	.set _ZL29rocblas_internal_gemmt_kernelIiLi16ELi32ELi8ELc78ELc67ELc76ELb0ELb0EdPKdPKS1_PKPdEviT_T9_T10_S7_lS9_S7_lS8_T11_S7_li.has_indirect_call, 0
	.section	.AMDGPU.csdata,"",@progbits
; Kernel info:
; codeLenInByte = 1320
; TotalNumSgprs: 36
; NumVgprs: 52
; NumAgprs: 0
; TotalNumVgprs: 52
; ScratchSize: 0
; MemoryBound: 0
; FloatMode: 240
; IeeeMode: 1
; LDSByteSize: 4096 bytes/workgroup (compile time only)
; SGPRBlocks: 4
; VGPRBlocks: 6
; NumSGPRsForWavesPerEU: 36
; NumVGPRsForWavesPerEU: 52
; AccumOffset: 52
; Occupancy: 8
; WaveLimiterHint : 1
; COMPUTE_PGM_RSRC2:SCRATCH_EN: 0
; COMPUTE_PGM_RSRC2:USER_SGPR: 2
; COMPUTE_PGM_RSRC2:TRAP_HANDLER: 0
; COMPUTE_PGM_RSRC2:TGID_X_EN: 1
; COMPUTE_PGM_RSRC2:TGID_Y_EN: 1
; COMPUTE_PGM_RSRC2:TGID_Z_EN: 1
; COMPUTE_PGM_RSRC2:TIDIG_COMP_CNT: 1
; COMPUTE_PGM_RSRC3_GFX90A:ACCUM_OFFSET: 12
; COMPUTE_PGM_RSRC3_GFX90A:TG_SPLIT: 0
	.section	.text._ZL29rocblas_internal_gemmt_kernelIiLi16ELi32ELi8ELc84ELc78ELc76ELb0ELb0EdPKdPKS1_PKPdEviT_T9_T10_S7_lS9_S7_lS8_T11_S7_li,"axG",@progbits,_ZL29rocblas_internal_gemmt_kernelIiLi16ELi32ELi8ELc84ELc78ELc76ELb0ELb0EdPKdPKS1_PKPdEviT_T9_T10_S7_lS9_S7_lS8_T11_S7_li,comdat
	.globl	_ZL29rocblas_internal_gemmt_kernelIiLi16ELi32ELi8ELc84ELc78ELc76ELb0ELb0EdPKdPKS1_PKPdEviT_T9_T10_S7_lS9_S7_lS8_T11_S7_li ; -- Begin function _ZL29rocblas_internal_gemmt_kernelIiLi16ELi32ELi8ELc84ELc78ELc76ELb0ELb0EdPKdPKS1_PKPdEviT_T9_T10_S7_lS9_S7_lS8_T11_S7_li
	.p2align	8
	.type	_ZL29rocblas_internal_gemmt_kernelIiLi16ELi32ELi8ELc84ELc78ELc76ELb0ELb0EdPKdPKS1_PKPdEviT_T9_T10_S7_lS9_S7_lS8_T11_S7_li,@function
_ZL29rocblas_internal_gemmt_kernelIiLi16ELi32ELi8ELc84ELc78ELc76ELb0ELb0EdPKdPKS1_PKPdEviT_T9_T10_S7_lS9_S7_lS8_T11_S7_li: ; @_ZL29rocblas_internal_gemmt_kernelIiLi16ELi32ELi8ELc84ELc78ELc76ELb0ELb0EdPKdPKS1_PKPdEviT_T9_T10_S7_lS9_S7_lS8_T11_S7_li
; %bb.0:
	s_load_dwordx4 s[8:11], s[0:1], 0x38
	s_load_dwordx4 s[12:15], s[0:1], 0x8
	s_waitcnt lgkmcnt(0)
	s_load_dwordx2 s[16:17], s[10:11], 0x0
	s_load_dwordx2 s[20:21], s[0:1], 0x0
	;; [unrolled: 1-line block ×3, first 2 shown]
	s_waitcnt lgkmcnt(0)
	v_cmp_neq_f64_e64 s[6:7], s[16:17], 1.0
	s_and_b64 vcc, exec, s[6:7]
	s_cbranch_vccnz .LBB336_2
; %bb.1:
	s_cmp_lg_u32 s21, 0
	s_cselect_b64 s[6:7], -1, 0
	v_cmp_neq_f64_e64 s[10:11], s[18:19], 0
	s_and_b64 s[6:7], s[6:7], s[10:11]
.LBB336_2:
	s_andn2_b64 vcc, exec, s[6:7]
	s_cbranch_vccnz .LBB336_26
; %bb.3:
	s_load_dwordx2 s[10:11], s[0:1], 0x48
	s_mov_b32 s5, 0
	s_lshl_b64 s[6:7], s[4:5], 3
	v_and_b32_e32 v12, 0x3ff, v0
	v_bfe_u32 v13, v0, 10, 10
	s_waitcnt lgkmcnt(0)
	s_add_u32 s10, s10, s6
	s_addc_u32 s11, s11, s7
	s_load_dwordx2 s[10:11], s[10:11], 0x0
	s_lshl_b32 s4, s2, 5
	s_lshl_b32 s12, s3, 5
	s_cmp_lt_i32 s21, 1
	v_cmp_eq_f64_e64 s[2:3], s[18:19], 0
	s_cselect_b64 s[22:23], -1, 0
	s_or_b64 s[2:3], s[2:3], s[22:23]
	v_mov_b64_e32 v[6:7], 0
	s_and_b64 vcc, exec, s[2:3]
	v_mov_b64_e32 v[4:5], 0
	v_mov_b64_e32 v[2:3], 0
	;; [unrolled: 1-line block ×3, first 2 shown]
	s_cbranch_vccnz .LBB336_10
; %bb.4:
	s_load_dword s13, s[0:1], 0x18
	s_load_dwordx4 s[24:27], s[0:1], 0x20
	s_load_dword s28, s[0:1], 0x30
	v_lshl_add_u32 v0, v13, 4, v12
	v_and_b32_e32 v2, 31, v0
	v_lshrrev_b32_e32 v15, 5, v0
	v_lshrrev_b32_e32 v1, 3, v0
	v_or_b32_e32 v0, s4, v2
	v_and_b32_e32 v14, 7, v12
	s_waitcnt lgkmcnt(0)
	s_add_u32 s2, s26, s6
	v_cmp_gt_i32_e32 vcc, s20, v0
	v_lshlrev_b32_e32 v0, 3, v2
	s_addc_u32 s3, s27, s7
	v_lshl_or_b32 v16, v15, 8, v0
	v_lshlrev_b32_e32 v0, 3, v14
	v_add_u32_e32 v6, s12, v1
	s_load_dwordx2 s[22:23], s[2:3], 0x0
	s_add_u32 s2, s14, s6
	v_lshl_or_b32 v1, v1, 6, v0
	s_addc_u32 s3, s15, s7
	v_add_u32_e32 v17, 0x800, v1
	v_mov_b32_e32 v1, 0x800
	s_load_dwordx2 s[6:7], s[2:3], 0x0
	v_lshl_add_u32 v19, v13, 6, v1
	v_add_u32_e32 v1, s4, v2
	v_mad_i64_i32 v[2:3], s[14:15], s13, v1, 0
	s_lshl_b64 s[14:15], s[24:25], 3
	s_nop 0
	v_lshl_add_u64 v[2:3], v[2:3], 3, s[14:15]
	v_lshlrev_b32_e32 v4, 3, v15
	v_mov_b32_e32 v5, 0
	v_lshl_add_u64 v[2:3], v[2:3], 0, v[4:5]
	s_waitcnt lgkmcnt(0)
	v_lshl_add_u64 v[8:9], s[6:7], 0, v[2:3]
	v_mad_i64_i32 v[2:3], s[6:7], s28, v6, 0
	s_lshl_b64 s[6:7], s[8:9], 3
	s_nop 0
	v_lshl_add_u64 v[2:3], v[2:3], 3, s[6:7]
	v_mov_b32_e32 v1, v5
	v_lshl_add_u64 v[0:1], v[2:3], 0, v[0:1]
	v_cmp_gt_i32_e64 s[2:3], s20, v6
	v_lshlrev_b32_e32 v18, 3, v12
	v_lshl_add_u64 v[10:11], s[22:23], 0, v[0:1]
	v_mov_b64_e32 v[0:1], 0
	v_mov_b64_e32 v[2:3], 0
	;; [unrolled: 1-line block ×4, first 2 shown]
	s_branch .LBB336_6
.LBB336_5:                              ;   in Loop: Header=BB336_6 Depth=1
	s_or_b64 exec, exec, s[6:7]
	s_waitcnt vmcnt(0) lgkmcnt(0)
	ds_write_b64 v17, v[20:21]
	s_waitcnt lgkmcnt(0)
	s_barrier
	ds_read2_b64 v[20:23], v18 offset1:16
	ds_read_b128 v[24:27], v19
	ds_read_b128 v[28:31], v19 offset:16
	ds_read_b128 v[32:35], v19 offset:32
	;; [unrolled: 1-line block ×4, first 2 shown]
	ds_read2_b64 v[44:47], v18 offset0:32 offset1:48
	s_waitcnt lgkmcnt(5)
	v_fmac_f64_e32 v[6:7], v[20:21], v[24:25]
	v_fmac_f64_e32 v[4:5], v[22:23], v[24:25]
	ds_read_b128 v[48:51], v19 offset:1040
	s_waitcnt lgkmcnt(2)
	v_fmac_f64_e32 v[2:3], v[20:21], v[40:41]
	v_fmac_f64_e32 v[0:1], v[22:23], v[40:41]
	ds_read2_b64 v[20:23], v18 offset0:64 offset1:80
	s_waitcnt lgkmcnt(2)
	v_fmac_f64_e32 v[6:7], v[44:45], v[26:27]
	v_fmac_f64_e32 v[4:5], v[46:47], v[26:27]
	ds_read2_b64 v[24:27], v18 offset0:96 offset1:112
	v_fmac_f64_e32 v[2:3], v[44:45], v[42:43]
	v_fmac_f64_e32 v[0:1], v[46:47], v[42:43]
	s_waitcnt lgkmcnt(1)
	v_fmac_f64_e32 v[6:7], v[20:21], v[28:29]
	v_fmac_f64_e32 v[4:5], v[22:23], v[28:29]
	ds_read_b128 v[40:43], v19 offset:1072
	v_fmac_f64_e32 v[2:3], v[20:21], v[48:49]
	v_fmac_f64_e32 v[0:1], v[22:23], v[48:49]
	s_waitcnt lgkmcnt(1)
	v_fmac_f64_e32 v[6:7], v[24:25], v[30:31]
	ds_read2_b64 v[20:23], v18 offset0:128 offset1:144
	v_fmac_f64_e32 v[4:5], v[26:27], v[30:31]
	v_fmac_f64_e32 v[2:3], v[24:25], v[50:51]
	;; [unrolled: 1-line block ×3, first 2 shown]
	ds_read_b128 v[24:27], v19 offset:1056
	ds_read2_b64 v[28:31], v18 offset0:160 offset1:176
	s_waitcnt lgkmcnt(2)
	v_fmac_f64_e32 v[6:7], v[20:21], v[32:33]
	v_fmac_f64_e32 v[4:5], v[22:23], v[32:33]
	s_add_i32 s5, s5, 8
	s_waitcnt lgkmcnt(1)
	v_fmac_f64_e32 v[2:3], v[20:21], v[24:25]
	v_fmac_f64_e32 v[0:1], v[22:23], v[24:25]
	ds_read2_b64 v[20:23], v18 offset0:192 offset1:208
	s_waitcnt lgkmcnt(1)
	v_fmac_f64_e32 v[2:3], v[28:29], v[26:27]
	v_fmac_f64_e32 v[0:1], v[30:31], v[26:27]
	ds_read2_b64 v[24:27], v18 offset0:224 offset1:240
	v_fmac_f64_e32 v[6:7], v[28:29], v[34:35]
	v_fmac_f64_e32 v[4:5], v[30:31], v[34:35]
	s_waitcnt lgkmcnt(1)
	v_fmac_f64_e32 v[6:7], v[20:21], v[36:37]
	v_fmac_f64_e32 v[4:5], v[22:23], v[36:37]
	v_fmac_f64_e32 v[2:3], v[20:21], v[40:41]
	v_fmac_f64_e32 v[0:1], v[22:23], v[40:41]
	s_waitcnt lgkmcnt(0)
	v_fmac_f64_e32 v[6:7], v[24:25], v[38:39]
	v_fmac_f64_e32 v[4:5], v[26:27], v[38:39]
	v_fmac_f64_e32 v[2:3], v[24:25], v[42:43]
	v_fmac_f64_e32 v[0:1], v[26:27], v[42:43]
	v_lshl_add_u64 v[8:9], v[8:9], 0, 64
	s_cmp_lt_i32 s5, s21
	v_lshl_add_u64 v[10:11], v[10:11], 0, 64
	s_barrier
	s_cbranch_scc0 .LBB336_10
.LBB336_6:                              ; =>This Inner Loop Header: Depth=1
	v_add_u32_e32 v20, s5, v15
	v_cmp_gt_i32_e64 s[6:7], s21, v20
	s_and_b64 s[8:9], vcc, s[6:7]
	v_mov_b64_e32 v[20:21], 0
	s_and_saveexec_b64 s[6:7], s[8:9]
	s_cbranch_execz .LBB336_8
; %bb.7:                                ;   in Loop: Header=BB336_6 Depth=1
	flat_load_dwordx2 v[20:21], v[8:9]
.LBB336_8:                              ;   in Loop: Header=BB336_6 Depth=1
	s_or_b64 exec, exec, s[6:7]
	s_waitcnt vmcnt(0) lgkmcnt(0)
	ds_write_b64 v16, v[20:21]
	v_add_u32_e32 v20, s5, v14
	v_cmp_gt_i32_e64 s[6:7], s21, v20
	s_and_b64 s[8:9], s[6:7], s[2:3]
	v_mov_b64_e32 v[20:21], 0
	s_and_saveexec_b64 s[6:7], s[8:9]
	s_cbranch_execz .LBB336_5
; %bb.9:                                ;   in Loop: Header=BB336_6 Depth=1
	flat_load_dwordx2 v[20:21], v[10:11]
	s_branch .LBB336_5
.LBB336_10:
	s_load_dwordx2 s[2:3], s[0:1], 0x58
	s_load_dword s13, s[0:1], 0x50
	v_add_u32_e32 v14, s12, v13
	v_add_u32_e32 v8, s4, v12
	v_cmp_le_i32_e32 vcc, v14, v8
	s_waitcnt lgkmcnt(0)
	s_lshl_b64 s[0:1], s[2:3], 3
	s_add_u32 s6, s10, s0
	s_addc_u32 s7, s11, s1
	v_mad_i64_i32 v[10:11], s[0:1], v14, s13, 0
	v_cmp_neq_f64_e64 s[0:1], s[16:17], 0
	v_cmp_gt_i32_e64 s[2:3], s20, v8
	v_lshl_add_u64 v[10:11], v[10:11], 3, s[6:7]
	v_cndmask_b32_e64 v12, 0, 1, s[0:1]
	s_and_b64 s[8:9], vcc, s[2:3]
	v_ashrrev_i32_e32 v9, 31, v8
	v_cmp_ne_u32_e64 s[0:1], 1, v12
	s_and_saveexec_b64 s[4:5], s[8:9]
	s_cbranch_execz .LBB336_14
; %bb.11:
	v_mul_f64 v[6:7], s[18:19], v[6:7]
	s_and_b64 vcc, exec, s[0:1]
	v_lshl_add_u64 v[12:13], v[8:9], 3, v[10:11]
	s_cbranch_vccnz .LBB336_13
; %bb.12:
	flat_load_dwordx2 v[16:17], v[12:13]
	s_waitcnt vmcnt(0) lgkmcnt(0)
	v_fmac_f64_e32 v[6:7], s[16:17], v[16:17]
.LBB336_13:
	flat_store_dwordx2 v[12:13], v[6:7]
.LBB336_14:
	s_or_b64 exec, exec, s[4:5]
	v_add_u32_e32 v6, 16, v8
	v_cmp_le_i32_e32 vcc, v14, v6
	v_cmp_gt_i32_e64 s[4:5], s20, v6
	s_and_b64 s[10:11], vcc, s[4:5]
	v_ashrrev_i32_e32 v7, 31, v6
	s_and_saveexec_b64 s[8:9], s[10:11]
	s_cbranch_execz .LBB336_18
; %bb.15:
	v_mul_f64 v[4:5], s[18:19], v[4:5]
	s_and_b64 vcc, exec, s[0:1]
	v_lshl_add_u64 v[10:11], v[6:7], 3, v[10:11]
	s_cbranch_vccnz .LBB336_17
; %bb.16:
	flat_load_dwordx2 v[12:13], v[10:11]
	s_waitcnt vmcnt(0) lgkmcnt(0)
	v_fmac_f64_e32 v[4:5], s[16:17], v[12:13]
.LBB336_17:
	flat_store_dwordx2 v[10:11], v[4:5]
.LBB336_18:
	s_or_b64 exec, exec, s[8:9]
	v_add_u32_e32 v10, 16, v14
	v_mad_i64_i32 v[4:5], s[8:9], v10, s13, 0
	v_cmp_le_i32_e32 vcc, v10, v8
	v_lshl_add_u64 v[4:5], v[4:5], 3, s[6:7]
	s_and_b64 s[6:7], vcc, s[2:3]
	s_and_saveexec_b64 s[2:3], s[6:7]
	s_cbranch_execz .LBB336_22
; %bb.19:
	v_mul_f64 v[2:3], s[18:19], v[2:3]
	s_and_b64 vcc, exec, s[0:1]
	v_lshl_add_u64 v[8:9], v[8:9], 3, v[4:5]
	s_cbranch_vccnz .LBB336_21
; %bb.20:
	flat_load_dwordx2 v[12:13], v[8:9]
	s_waitcnt vmcnt(0) lgkmcnt(0)
	v_fmac_f64_e32 v[2:3], s[16:17], v[12:13]
.LBB336_21:
	flat_store_dwordx2 v[8:9], v[2:3]
.LBB336_22:
	s_or_b64 exec, exec, s[2:3]
	v_cmp_le_i32_e32 vcc, v10, v6
	s_and_b64 s[2:3], vcc, s[4:5]
	s_and_saveexec_b64 s[4:5], s[2:3]
	s_cbranch_execz .LBB336_26
; %bb.23:
	v_mul_f64 v[0:1], s[18:19], v[0:1]
	s_and_b64 vcc, exec, s[0:1]
	v_lshl_add_u64 v[2:3], v[6:7], 3, v[4:5]
	s_cbranch_vccnz .LBB336_25
; %bb.24:
	flat_load_dwordx2 v[4:5], v[2:3]
	s_waitcnt vmcnt(0) lgkmcnt(0)
	v_fmac_f64_e32 v[0:1], s[16:17], v[4:5]
.LBB336_25:
	flat_store_dwordx2 v[2:3], v[0:1]
.LBB336_26:
	s_endpgm
	.section	.rodata,"a",@progbits
	.p2align	6, 0x0
	.amdhsa_kernel _ZL29rocblas_internal_gemmt_kernelIiLi16ELi32ELi8ELc84ELc78ELc76ELb0ELb0EdPKdPKS1_PKPdEviT_T9_T10_S7_lS9_S7_lS8_T11_S7_li
		.amdhsa_group_segment_fixed_size 4096
		.amdhsa_private_segment_fixed_size 0
		.amdhsa_kernarg_size 100
		.amdhsa_user_sgpr_count 2
		.amdhsa_user_sgpr_dispatch_ptr 0
		.amdhsa_user_sgpr_queue_ptr 0
		.amdhsa_user_sgpr_kernarg_segment_ptr 1
		.amdhsa_user_sgpr_dispatch_id 0
		.amdhsa_user_sgpr_kernarg_preload_length 0
		.amdhsa_user_sgpr_kernarg_preload_offset 0
		.amdhsa_user_sgpr_private_segment_size 0
		.amdhsa_uses_dynamic_stack 0
		.amdhsa_enable_private_segment 0
		.amdhsa_system_sgpr_workgroup_id_x 1
		.amdhsa_system_sgpr_workgroup_id_y 1
		.amdhsa_system_sgpr_workgroup_id_z 1
		.amdhsa_system_sgpr_workgroup_info 0
		.amdhsa_system_vgpr_workitem_id 1
		.amdhsa_next_free_vgpr 52
		.amdhsa_next_free_sgpr 29
		.amdhsa_accum_offset 52
		.amdhsa_reserve_vcc 1
		.amdhsa_float_round_mode_32 0
		.amdhsa_float_round_mode_16_64 0
		.amdhsa_float_denorm_mode_32 3
		.amdhsa_float_denorm_mode_16_64 3
		.amdhsa_dx10_clamp 1
		.amdhsa_ieee_mode 1
		.amdhsa_fp16_overflow 0
		.amdhsa_tg_split 0
		.amdhsa_exception_fp_ieee_invalid_op 0
		.amdhsa_exception_fp_denorm_src 0
		.amdhsa_exception_fp_ieee_div_zero 0
		.amdhsa_exception_fp_ieee_overflow 0
		.amdhsa_exception_fp_ieee_underflow 0
		.amdhsa_exception_fp_ieee_inexact 0
		.amdhsa_exception_int_div_zero 0
	.end_amdhsa_kernel
	.section	.text._ZL29rocblas_internal_gemmt_kernelIiLi16ELi32ELi8ELc84ELc78ELc76ELb0ELb0EdPKdPKS1_PKPdEviT_T9_T10_S7_lS9_S7_lS8_T11_S7_li,"axG",@progbits,_ZL29rocblas_internal_gemmt_kernelIiLi16ELi32ELi8ELc84ELc78ELc76ELb0ELb0EdPKdPKS1_PKPdEviT_T9_T10_S7_lS9_S7_lS8_T11_S7_li,comdat
.Lfunc_end336:
	.size	_ZL29rocblas_internal_gemmt_kernelIiLi16ELi32ELi8ELc84ELc78ELc76ELb0ELb0EdPKdPKS1_PKPdEviT_T9_T10_S7_lS9_S7_lS8_T11_S7_li, .Lfunc_end336-_ZL29rocblas_internal_gemmt_kernelIiLi16ELi32ELi8ELc84ELc78ELc76ELb0ELb0EdPKdPKS1_PKPdEviT_T9_T10_S7_lS9_S7_lS8_T11_S7_li
                                        ; -- End function
	.set _ZL29rocblas_internal_gemmt_kernelIiLi16ELi32ELi8ELc84ELc78ELc76ELb0ELb0EdPKdPKS1_PKPdEviT_T9_T10_S7_lS9_S7_lS8_T11_S7_li.num_vgpr, 52
	.set _ZL29rocblas_internal_gemmt_kernelIiLi16ELi32ELi8ELc84ELc78ELc76ELb0ELb0EdPKdPKS1_PKPdEviT_T9_T10_S7_lS9_S7_lS8_T11_S7_li.num_agpr, 0
	.set _ZL29rocblas_internal_gemmt_kernelIiLi16ELi32ELi8ELc84ELc78ELc76ELb0ELb0EdPKdPKS1_PKPdEviT_T9_T10_S7_lS9_S7_lS8_T11_S7_li.numbered_sgpr, 29
	.set _ZL29rocblas_internal_gemmt_kernelIiLi16ELi32ELi8ELc84ELc78ELc76ELb0ELb0EdPKdPKS1_PKPdEviT_T9_T10_S7_lS9_S7_lS8_T11_S7_li.num_named_barrier, 0
	.set _ZL29rocblas_internal_gemmt_kernelIiLi16ELi32ELi8ELc84ELc78ELc76ELb0ELb0EdPKdPKS1_PKPdEviT_T9_T10_S7_lS9_S7_lS8_T11_S7_li.private_seg_size, 0
	.set _ZL29rocblas_internal_gemmt_kernelIiLi16ELi32ELi8ELc84ELc78ELc76ELb0ELb0EdPKdPKS1_PKPdEviT_T9_T10_S7_lS9_S7_lS8_T11_S7_li.uses_vcc, 1
	.set _ZL29rocblas_internal_gemmt_kernelIiLi16ELi32ELi8ELc84ELc78ELc76ELb0ELb0EdPKdPKS1_PKPdEviT_T9_T10_S7_lS9_S7_lS8_T11_S7_li.uses_flat_scratch, 0
	.set _ZL29rocblas_internal_gemmt_kernelIiLi16ELi32ELi8ELc84ELc78ELc76ELb0ELb0EdPKdPKS1_PKPdEviT_T9_T10_S7_lS9_S7_lS8_T11_S7_li.has_dyn_sized_stack, 0
	.set _ZL29rocblas_internal_gemmt_kernelIiLi16ELi32ELi8ELc84ELc78ELc76ELb0ELb0EdPKdPKS1_PKPdEviT_T9_T10_S7_lS9_S7_lS8_T11_S7_li.has_recursion, 0
	.set _ZL29rocblas_internal_gemmt_kernelIiLi16ELi32ELi8ELc84ELc78ELc76ELb0ELb0EdPKdPKS1_PKPdEviT_T9_T10_S7_lS9_S7_lS8_T11_S7_li.has_indirect_call, 0
	.section	.AMDGPU.csdata,"",@progbits
; Kernel info:
; codeLenInByte = 1316
; TotalNumSgprs: 35
; NumVgprs: 52
; NumAgprs: 0
; TotalNumVgprs: 52
; ScratchSize: 0
; MemoryBound: 0
; FloatMode: 240
; IeeeMode: 1
; LDSByteSize: 4096 bytes/workgroup (compile time only)
; SGPRBlocks: 4
; VGPRBlocks: 6
; NumSGPRsForWavesPerEU: 35
; NumVGPRsForWavesPerEU: 52
; AccumOffset: 52
; Occupancy: 8
; WaveLimiterHint : 1
; COMPUTE_PGM_RSRC2:SCRATCH_EN: 0
; COMPUTE_PGM_RSRC2:USER_SGPR: 2
; COMPUTE_PGM_RSRC2:TRAP_HANDLER: 0
; COMPUTE_PGM_RSRC2:TGID_X_EN: 1
; COMPUTE_PGM_RSRC2:TGID_Y_EN: 1
; COMPUTE_PGM_RSRC2:TGID_Z_EN: 1
; COMPUTE_PGM_RSRC2:TIDIG_COMP_CNT: 1
; COMPUTE_PGM_RSRC3_GFX90A:ACCUM_OFFSET: 12
; COMPUTE_PGM_RSRC3_GFX90A:TG_SPLIT: 0
	.section	.text._ZL29rocblas_internal_gemmt_kernelIiLi16ELi32ELi8ELc84ELc84ELc76ELb0ELb0EdPKdPKS1_PKPdEviT_T9_T10_S7_lS9_S7_lS8_T11_S7_li,"axG",@progbits,_ZL29rocblas_internal_gemmt_kernelIiLi16ELi32ELi8ELc84ELc84ELc76ELb0ELb0EdPKdPKS1_PKPdEviT_T9_T10_S7_lS9_S7_lS8_T11_S7_li,comdat
	.globl	_ZL29rocblas_internal_gemmt_kernelIiLi16ELi32ELi8ELc84ELc84ELc76ELb0ELb0EdPKdPKS1_PKPdEviT_T9_T10_S7_lS9_S7_lS8_T11_S7_li ; -- Begin function _ZL29rocblas_internal_gemmt_kernelIiLi16ELi32ELi8ELc84ELc84ELc76ELb0ELb0EdPKdPKS1_PKPdEviT_T9_T10_S7_lS9_S7_lS8_T11_S7_li
	.p2align	8
	.type	_ZL29rocblas_internal_gemmt_kernelIiLi16ELi32ELi8ELc84ELc84ELc76ELb0ELb0EdPKdPKS1_PKPdEviT_T9_T10_S7_lS9_S7_lS8_T11_S7_li,@function
_ZL29rocblas_internal_gemmt_kernelIiLi16ELi32ELi8ELc84ELc84ELc76ELb0ELb0EdPKdPKS1_PKPdEviT_T9_T10_S7_lS9_S7_lS8_T11_S7_li: ; @_ZL29rocblas_internal_gemmt_kernelIiLi16ELi32ELi8ELc84ELc84ELc76ELb0ELb0EdPKdPKS1_PKPdEviT_T9_T10_S7_lS9_S7_lS8_T11_S7_li
; %bb.0:
	s_load_dwordx4 s[8:11], s[0:1], 0x38
	s_load_dwordx4 s[12:15], s[0:1], 0x8
	s_waitcnt lgkmcnt(0)
	s_load_dwordx2 s[16:17], s[10:11], 0x0
	s_load_dwordx2 s[20:21], s[0:1], 0x0
	;; [unrolled: 1-line block ×3, first 2 shown]
	s_waitcnt lgkmcnt(0)
	v_cmp_neq_f64_e64 s[6:7], s[16:17], 1.0
	s_and_b64 vcc, exec, s[6:7]
	s_cbranch_vccnz .LBB337_2
; %bb.1:
	s_cmp_lg_u32 s21, 0
	s_cselect_b64 s[6:7], -1, 0
	v_cmp_neq_f64_e64 s[10:11], s[18:19], 0
	s_and_b64 s[6:7], s[6:7], s[10:11]
.LBB337_2:
	s_andn2_b64 vcc, exec, s[6:7]
	s_cbranch_vccnz .LBB337_26
; %bb.3:
	s_load_dwordx2 s[10:11], s[0:1], 0x48
	s_mov_b32 s5, 0
	s_lshl_b64 s[6:7], s[4:5], 3
	v_and_b32_e32 v12, 0x3ff, v0
	v_bfe_u32 v13, v0, 10, 10
	s_waitcnt lgkmcnt(0)
	s_add_u32 s10, s10, s6
	s_addc_u32 s11, s11, s7
	s_load_dwordx2 s[10:11], s[10:11], 0x0
	s_lshl_b32 s4, s2, 5
	s_lshl_b32 s12, s3, 5
	s_cmp_lt_i32 s21, 1
	v_cmp_eq_f64_e64 s[2:3], s[18:19], 0
	s_cselect_b64 s[22:23], -1, 0
	s_or_b64 s[2:3], s[2:3], s[22:23]
	v_mov_b64_e32 v[6:7], 0
	s_and_b64 vcc, exec, s[2:3]
	v_mov_b64_e32 v[4:5], 0
	v_mov_b64_e32 v[2:3], 0
	v_mov_b64_e32 v[0:1], 0
	s_cbranch_vccnz .LBB337_10
; %bb.4:
	s_load_dword s13, s[0:1], 0x18
	s_load_dword s22, s[0:1], 0x30
	s_load_dwordx4 s[24:27], s[0:1], 0x20
	v_lshl_add_u32 v1, v13, 4, v12
	v_and_b32_e32 v3, 31, v1
	v_lshrrev_b32_e32 v15, 5, v1
	s_waitcnt lgkmcnt(0)
	s_ashr_i32 s23, s22, 31
	v_lshrrev_b32_e32 v2, 3, v1
	v_or_b32_e32 v1, s4, v3
	s_add_u32 s2, s26, s6
	v_and_b32_e32 v14, 7, v12
	s_addc_u32 s3, s27, s7
	v_cmp_gt_i32_e32 vcc, s20, v1
	v_lshlrev_b32_e32 v1, 3, v3
	s_load_dwordx2 s[26:27], s[2:3], 0x0
	s_add_u32 s2, s14, s6
	v_lshl_or_b32 v16, v15, 8, v1
	v_lshlrev_b32_e32 v1, 3, v14
	v_add_u32_e32 v0, s12, v2
	s_addc_u32 s3, s15, s7
	v_lshl_or_b32 v1, v2, 6, v1
	v_mov_b32_e32 v2, 0x800
	s_load_dwordx2 s[6:7], s[2:3], 0x0
	v_lshl_add_u32 v19, v13, 6, v2
	v_add_u32_e32 v2, s4, v3
	v_mad_i64_i32 v[2:3], s[14:15], s13, v2, 0
	s_lshl_b64 s[14:15], s[24:25], 3
	s_nop 0
	v_lshl_add_u64 v[2:3], v[2:3], 3, s[14:15]
	v_lshlrev_b32_e32 v4, 3, v15
	v_mov_b32_e32 v5, 0
	v_lshl_add_u64 v[2:3], v[2:3], 0, v[4:5]
	s_waitcnt lgkmcnt(0)
	v_lshl_add_u64 v[8:9], s[6:7], 0, v[2:3]
	v_mad_i64_i32 v[2:3], s[6:7], s22, v14, 0
	s_lshl_b64 s[6:7], s[8:9], 3
	v_add_u32_e32 v17, 0x800, v1
	v_ashrrev_i32_e32 v1, 31, v0
	v_lshl_add_u64 v[2:3], v[2:3], 3, s[6:7]
	v_cmp_gt_i32_e64 s[2:3], s20, v0
	v_lshl_add_u64 v[0:1], v[0:1], 3, v[2:3]
	v_lshlrev_b32_e32 v18, 3, v12
	v_lshl_add_u64 v[10:11], s[26:27], 0, v[0:1]
	s_lshl_b64 s[8:9], s[22:23], 6
	v_mov_b64_e32 v[0:1], 0
	v_mov_b64_e32 v[2:3], 0
	;; [unrolled: 1-line block ×4, first 2 shown]
	s_branch .LBB337_6
.LBB337_5:                              ;   in Loop: Header=BB337_6 Depth=1
	s_or_b64 exec, exec, s[6:7]
	s_waitcnt vmcnt(0) lgkmcnt(0)
	ds_write_b64 v17, v[20:21]
	s_waitcnt lgkmcnt(0)
	s_barrier
	ds_read2_b64 v[20:23], v18 offset1:16
	ds_read_b128 v[24:27], v19
	ds_read_b128 v[28:31], v19 offset:16
	ds_read_b128 v[32:35], v19 offset:32
	ds_read_b128 v[36:39], v19 offset:48
	ds_read_b128 v[40:43], v19 offset:1024
	ds_read2_b64 v[44:47], v18 offset0:32 offset1:48
	s_waitcnt lgkmcnt(5)
	v_fmac_f64_e32 v[6:7], v[20:21], v[24:25]
	v_fmac_f64_e32 v[4:5], v[22:23], v[24:25]
	ds_read_b128 v[48:51], v19 offset:1040
	s_waitcnt lgkmcnt(2)
	v_fmac_f64_e32 v[2:3], v[20:21], v[40:41]
	v_fmac_f64_e32 v[0:1], v[22:23], v[40:41]
	ds_read2_b64 v[20:23], v18 offset0:64 offset1:80
	s_waitcnt lgkmcnt(2)
	v_fmac_f64_e32 v[6:7], v[44:45], v[26:27]
	v_fmac_f64_e32 v[4:5], v[46:47], v[26:27]
	ds_read2_b64 v[24:27], v18 offset0:96 offset1:112
	v_fmac_f64_e32 v[2:3], v[44:45], v[42:43]
	v_fmac_f64_e32 v[0:1], v[46:47], v[42:43]
	s_waitcnt lgkmcnt(1)
	v_fmac_f64_e32 v[6:7], v[20:21], v[28:29]
	v_fmac_f64_e32 v[4:5], v[22:23], v[28:29]
	ds_read_b128 v[40:43], v19 offset:1072
	v_fmac_f64_e32 v[2:3], v[20:21], v[48:49]
	v_fmac_f64_e32 v[0:1], v[22:23], v[48:49]
	s_waitcnt lgkmcnt(1)
	v_fmac_f64_e32 v[6:7], v[24:25], v[30:31]
	ds_read2_b64 v[20:23], v18 offset0:128 offset1:144
	v_fmac_f64_e32 v[4:5], v[26:27], v[30:31]
	v_fmac_f64_e32 v[2:3], v[24:25], v[50:51]
	;; [unrolled: 1-line block ×3, first 2 shown]
	ds_read_b128 v[24:27], v19 offset:1056
	ds_read2_b64 v[28:31], v18 offset0:160 offset1:176
	s_waitcnt lgkmcnt(2)
	v_fmac_f64_e32 v[6:7], v[20:21], v[32:33]
	v_fmac_f64_e32 v[4:5], v[22:23], v[32:33]
	s_add_i32 s5, s5, 8
	s_waitcnt lgkmcnt(1)
	v_fmac_f64_e32 v[2:3], v[20:21], v[24:25]
	v_fmac_f64_e32 v[0:1], v[22:23], v[24:25]
	ds_read2_b64 v[20:23], v18 offset0:192 offset1:208
	s_waitcnt lgkmcnt(1)
	v_fmac_f64_e32 v[2:3], v[28:29], v[26:27]
	v_fmac_f64_e32 v[0:1], v[30:31], v[26:27]
	ds_read2_b64 v[24:27], v18 offset0:224 offset1:240
	v_fmac_f64_e32 v[6:7], v[28:29], v[34:35]
	v_fmac_f64_e32 v[4:5], v[30:31], v[34:35]
	s_waitcnt lgkmcnt(1)
	v_fmac_f64_e32 v[6:7], v[20:21], v[36:37]
	v_fmac_f64_e32 v[4:5], v[22:23], v[36:37]
	;; [unrolled: 1-line block ×4, first 2 shown]
	s_waitcnt lgkmcnt(0)
	v_fmac_f64_e32 v[6:7], v[24:25], v[38:39]
	v_fmac_f64_e32 v[4:5], v[26:27], v[38:39]
	;; [unrolled: 1-line block ×4, first 2 shown]
	v_lshl_add_u64 v[8:9], v[8:9], 0, 64
	s_cmp_lt_i32 s5, s21
	v_lshl_add_u64 v[10:11], v[10:11], 0, s[8:9]
	s_barrier
	s_cbranch_scc0 .LBB337_10
.LBB337_6:                              ; =>This Inner Loop Header: Depth=1
	v_add_u32_e32 v20, s5, v15
	v_cmp_gt_i32_e64 s[6:7], s21, v20
	s_and_b64 s[14:15], vcc, s[6:7]
	v_mov_b64_e32 v[20:21], 0
	s_and_saveexec_b64 s[6:7], s[14:15]
	s_cbranch_execz .LBB337_8
; %bb.7:                                ;   in Loop: Header=BB337_6 Depth=1
	flat_load_dwordx2 v[20:21], v[8:9]
.LBB337_8:                              ;   in Loop: Header=BB337_6 Depth=1
	s_or_b64 exec, exec, s[6:7]
	s_waitcnt vmcnt(0) lgkmcnt(0)
	ds_write_b64 v16, v[20:21]
	v_add_u32_e32 v20, s5, v14
	v_cmp_gt_i32_e64 s[6:7], s21, v20
	s_and_b64 s[14:15], s[6:7], s[2:3]
	v_mov_b64_e32 v[20:21], 0
	s_and_saveexec_b64 s[6:7], s[14:15]
	s_cbranch_execz .LBB337_5
; %bb.9:                                ;   in Loop: Header=BB337_6 Depth=1
	flat_load_dwordx2 v[20:21], v[10:11]
	s_branch .LBB337_5
.LBB337_10:
	s_load_dwordx2 s[2:3], s[0:1], 0x58
	s_load_dword s13, s[0:1], 0x50
	v_add_u32_e32 v14, s12, v13
	v_add_u32_e32 v8, s4, v12
	v_cmp_le_i32_e32 vcc, v14, v8
	s_waitcnt lgkmcnt(0)
	s_lshl_b64 s[0:1], s[2:3], 3
	s_add_u32 s6, s10, s0
	s_addc_u32 s7, s11, s1
	v_mad_i64_i32 v[10:11], s[0:1], v14, s13, 0
	v_cmp_neq_f64_e64 s[0:1], s[16:17], 0
	v_cmp_gt_i32_e64 s[2:3], s20, v8
	v_lshl_add_u64 v[10:11], v[10:11], 3, s[6:7]
	v_cndmask_b32_e64 v12, 0, 1, s[0:1]
	s_and_b64 s[8:9], vcc, s[2:3]
	v_ashrrev_i32_e32 v9, 31, v8
	v_cmp_ne_u32_e64 s[0:1], 1, v12
	s_and_saveexec_b64 s[4:5], s[8:9]
	s_cbranch_execz .LBB337_14
; %bb.11:
	v_mul_f64 v[6:7], s[18:19], v[6:7]
	s_and_b64 vcc, exec, s[0:1]
	v_lshl_add_u64 v[12:13], v[8:9], 3, v[10:11]
	s_cbranch_vccnz .LBB337_13
; %bb.12:
	flat_load_dwordx2 v[16:17], v[12:13]
	s_waitcnt vmcnt(0) lgkmcnt(0)
	v_fmac_f64_e32 v[6:7], s[16:17], v[16:17]
.LBB337_13:
	flat_store_dwordx2 v[12:13], v[6:7]
.LBB337_14:
	s_or_b64 exec, exec, s[4:5]
	v_add_u32_e32 v6, 16, v8
	v_cmp_le_i32_e32 vcc, v14, v6
	v_cmp_gt_i32_e64 s[4:5], s20, v6
	s_and_b64 s[10:11], vcc, s[4:5]
	v_ashrrev_i32_e32 v7, 31, v6
	s_and_saveexec_b64 s[8:9], s[10:11]
	s_cbranch_execz .LBB337_18
; %bb.15:
	v_mul_f64 v[4:5], s[18:19], v[4:5]
	s_and_b64 vcc, exec, s[0:1]
	v_lshl_add_u64 v[10:11], v[6:7], 3, v[10:11]
	s_cbranch_vccnz .LBB337_17
; %bb.16:
	flat_load_dwordx2 v[12:13], v[10:11]
	s_waitcnt vmcnt(0) lgkmcnt(0)
	v_fmac_f64_e32 v[4:5], s[16:17], v[12:13]
.LBB337_17:
	flat_store_dwordx2 v[10:11], v[4:5]
.LBB337_18:
	s_or_b64 exec, exec, s[8:9]
	v_add_u32_e32 v10, 16, v14
	v_mad_i64_i32 v[4:5], s[8:9], v10, s13, 0
	v_cmp_le_i32_e32 vcc, v10, v8
	v_lshl_add_u64 v[4:5], v[4:5], 3, s[6:7]
	s_and_b64 s[6:7], vcc, s[2:3]
	s_and_saveexec_b64 s[2:3], s[6:7]
	s_cbranch_execz .LBB337_22
; %bb.19:
	v_mul_f64 v[2:3], s[18:19], v[2:3]
	s_and_b64 vcc, exec, s[0:1]
	v_lshl_add_u64 v[8:9], v[8:9], 3, v[4:5]
	s_cbranch_vccnz .LBB337_21
; %bb.20:
	flat_load_dwordx2 v[12:13], v[8:9]
	s_waitcnt vmcnt(0) lgkmcnt(0)
	v_fmac_f64_e32 v[2:3], s[16:17], v[12:13]
.LBB337_21:
	flat_store_dwordx2 v[8:9], v[2:3]
.LBB337_22:
	s_or_b64 exec, exec, s[2:3]
	v_cmp_le_i32_e32 vcc, v10, v6
	s_and_b64 s[2:3], vcc, s[4:5]
	s_and_saveexec_b64 s[4:5], s[2:3]
	s_cbranch_execz .LBB337_26
; %bb.23:
	v_mul_f64 v[0:1], s[18:19], v[0:1]
	s_and_b64 vcc, exec, s[0:1]
	v_lshl_add_u64 v[2:3], v[6:7], 3, v[4:5]
	s_cbranch_vccnz .LBB337_25
; %bb.24:
	flat_load_dwordx2 v[4:5], v[2:3]
	s_waitcnt vmcnt(0) lgkmcnt(0)
	v_fmac_f64_e32 v[0:1], s[16:17], v[4:5]
.LBB337_25:
	flat_store_dwordx2 v[2:3], v[0:1]
.LBB337_26:
	s_endpgm
	.section	.rodata,"a",@progbits
	.p2align	6, 0x0
	.amdhsa_kernel _ZL29rocblas_internal_gemmt_kernelIiLi16ELi32ELi8ELc84ELc84ELc76ELb0ELb0EdPKdPKS1_PKPdEviT_T9_T10_S7_lS9_S7_lS8_T11_S7_li
		.amdhsa_group_segment_fixed_size 4096
		.amdhsa_private_segment_fixed_size 0
		.amdhsa_kernarg_size 100
		.amdhsa_user_sgpr_count 2
		.amdhsa_user_sgpr_dispatch_ptr 0
		.amdhsa_user_sgpr_queue_ptr 0
		.amdhsa_user_sgpr_kernarg_segment_ptr 1
		.amdhsa_user_sgpr_dispatch_id 0
		.amdhsa_user_sgpr_kernarg_preload_length 0
		.amdhsa_user_sgpr_kernarg_preload_offset 0
		.amdhsa_user_sgpr_private_segment_size 0
		.amdhsa_uses_dynamic_stack 0
		.amdhsa_enable_private_segment 0
		.amdhsa_system_sgpr_workgroup_id_x 1
		.amdhsa_system_sgpr_workgroup_id_y 1
		.amdhsa_system_sgpr_workgroup_id_z 1
		.amdhsa_system_sgpr_workgroup_info 0
		.amdhsa_system_vgpr_workitem_id 1
		.amdhsa_next_free_vgpr 52
		.amdhsa_next_free_sgpr 28
		.amdhsa_accum_offset 52
		.amdhsa_reserve_vcc 1
		.amdhsa_float_round_mode_32 0
		.amdhsa_float_round_mode_16_64 0
		.amdhsa_float_denorm_mode_32 3
		.amdhsa_float_denorm_mode_16_64 3
		.amdhsa_dx10_clamp 1
		.amdhsa_ieee_mode 1
		.amdhsa_fp16_overflow 0
		.amdhsa_tg_split 0
		.amdhsa_exception_fp_ieee_invalid_op 0
		.amdhsa_exception_fp_denorm_src 0
		.amdhsa_exception_fp_ieee_div_zero 0
		.amdhsa_exception_fp_ieee_overflow 0
		.amdhsa_exception_fp_ieee_underflow 0
		.amdhsa_exception_fp_ieee_inexact 0
		.amdhsa_exception_int_div_zero 0
	.end_amdhsa_kernel
	.section	.text._ZL29rocblas_internal_gemmt_kernelIiLi16ELi32ELi8ELc84ELc84ELc76ELb0ELb0EdPKdPKS1_PKPdEviT_T9_T10_S7_lS9_S7_lS8_T11_S7_li,"axG",@progbits,_ZL29rocblas_internal_gemmt_kernelIiLi16ELi32ELi8ELc84ELc84ELc76ELb0ELb0EdPKdPKS1_PKPdEviT_T9_T10_S7_lS9_S7_lS8_T11_S7_li,comdat
.Lfunc_end337:
	.size	_ZL29rocblas_internal_gemmt_kernelIiLi16ELi32ELi8ELc84ELc84ELc76ELb0ELb0EdPKdPKS1_PKPdEviT_T9_T10_S7_lS9_S7_lS8_T11_S7_li, .Lfunc_end337-_ZL29rocblas_internal_gemmt_kernelIiLi16ELi32ELi8ELc84ELc84ELc76ELb0ELb0EdPKdPKS1_PKPdEviT_T9_T10_S7_lS9_S7_lS8_T11_S7_li
                                        ; -- End function
	.set _ZL29rocblas_internal_gemmt_kernelIiLi16ELi32ELi8ELc84ELc84ELc76ELb0ELb0EdPKdPKS1_PKPdEviT_T9_T10_S7_lS9_S7_lS8_T11_S7_li.num_vgpr, 52
	.set _ZL29rocblas_internal_gemmt_kernelIiLi16ELi32ELi8ELc84ELc84ELc76ELb0ELb0EdPKdPKS1_PKPdEviT_T9_T10_S7_lS9_S7_lS8_T11_S7_li.num_agpr, 0
	.set _ZL29rocblas_internal_gemmt_kernelIiLi16ELi32ELi8ELc84ELc84ELc76ELb0ELb0EdPKdPKS1_PKPdEviT_T9_T10_S7_lS9_S7_lS8_T11_S7_li.numbered_sgpr, 28
	.set _ZL29rocblas_internal_gemmt_kernelIiLi16ELi32ELi8ELc84ELc84ELc76ELb0ELb0EdPKdPKS1_PKPdEviT_T9_T10_S7_lS9_S7_lS8_T11_S7_li.num_named_barrier, 0
	.set _ZL29rocblas_internal_gemmt_kernelIiLi16ELi32ELi8ELc84ELc84ELc76ELb0ELb0EdPKdPKS1_PKPdEviT_T9_T10_S7_lS9_S7_lS8_T11_S7_li.private_seg_size, 0
	.set _ZL29rocblas_internal_gemmt_kernelIiLi16ELi32ELi8ELc84ELc84ELc76ELb0ELb0EdPKdPKS1_PKPdEviT_T9_T10_S7_lS9_S7_lS8_T11_S7_li.uses_vcc, 1
	.set _ZL29rocblas_internal_gemmt_kernelIiLi16ELi32ELi8ELc84ELc84ELc76ELb0ELb0EdPKdPKS1_PKPdEviT_T9_T10_S7_lS9_S7_lS8_T11_S7_li.uses_flat_scratch, 0
	.set _ZL29rocblas_internal_gemmt_kernelIiLi16ELi32ELi8ELc84ELc84ELc76ELb0ELb0EdPKdPKS1_PKPdEviT_T9_T10_S7_lS9_S7_lS8_T11_S7_li.has_dyn_sized_stack, 0
	.set _ZL29rocblas_internal_gemmt_kernelIiLi16ELi32ELi8ELc84ELc84ELc76ELb0ELb0EdPKdPKS1_PKPdEviT_T9_T10_S7_lS9_S7_lS8_T11_S7_li.has_recursion, 0
	.set _ZL29rocblas_internal_gemmt_kernelIiLi16ELi32ELi8ELc84ELc84ELc76ELb0ELb0EdPKdPKS1_PKPdEviT_T9_T10_S7_lS9_S7_lS8_T11_S7_li.has_indirect_call, 0
	.section	.AMDGPU.csdata,"",@progbits
; Kernel info:
; codeLenInByte = 1320
; TotalNumSgprs: 34
; NumVgprs: 52
; NumAgprs: 0
; TotalNumVgprs: 52
; ScratchSize: 0
; MemoryBound: 0
; FloatMode: 240
; IeeeMode: 1
; LDSByteSize: 4096 bytes/workgroup (compile time only)
; SGPRBlocks: 4
; VGPRBlocks: 6
; NumSGPRsForWavesPerEU: 34
; NumVGPRsForWavesPerEU: 52
; AccumOffset: 52
; Occupancy: 8
; WaveLimiterHint : 1
; COMPUTE_PGM_RSRC2:SCRATCH_EN: 0
; COMPUTE_PGM_RSRC2:USER_SGPR: 2
; COMPUTE_PGM_RSRC2:TRAP_HANDLER: 0
; COMPUTE_PGM_RSRC2:TGID_X_EN: 1
; COMPUTE_PGM_RSRC2:TGID_Y_EN: 1
; COMPUTE_PGM_RSRC2:TGID_Z_EN: 1
; COMPUTE_PGM_RSRC2:TIDIG_COMP_CNT: 1
; COMPUTE_PGM_RSRC3_GFX90A:ACCUM_OFFSET: 12
; COMPUTE_PGM_RSRC3_GFX90A:TG_SPLIT: 0
	.section	.text._ZL29rocblas_internal_gemmt_kernelIiLi16ELi32ELi8ELc84ELc67ELc76ELb0ELb0EdPKdPKS1_PKPdEviT_T9_T10_S7_lS9_S7_lS8_T11_S7_li,"axG",@progbits,_ZL29rocblas_internal_gemmt_kernelIiLi16ELi32ELi8ELc84ELc67ELc76ELb0ELb0EdPKdPKS1_PKPdEviT_T9_T10_S7_lS9_S7_lS8_T11_S7_li,comdat
	.globl	_ZL29rocblas_internal_gemmt_kernelIiLi16ELi32ELi8ELc84ELc67ELc76ELb0ELb0EdPKdPKS1_PKPdEviT_T9_T10_S7_lS9_S7_lS8_T11_S7_li ; -- Begin function _ZL29rocblas_internal_gemmt_kernelIiLi16ELi32ELi8ELc84ELc67ELc76ELb0ELb0EdPKdPKS1_PKPdEviT_T9_T10_S7_lS9_S7_lS8_T11_S7_li
	.p2align	8
	.type	_ZL29rocblas_internal_gemmt_kernelIiLi16ELi32ELi8ELc84ELc67ELc76ELb0ELb0EdPKdPKS1_PKPdEviT_T9_T10_S7_lS9_S7_lS8_T11_S7_li,@function
_ZL29rocblas_internal_gemmt_kernelIiLi16ELi32ELi8ELc84ELc67ELc76ELb0ELb0EdPKdPKS1_PKPdEviT_T9_T10_S7_lS9_S7_lS8_T11_S7_li: ; @_ZL29rocblas_internal_gemmt_kernelIiLi16ELi32ELi8ELc84ELc67ELc76ELb0ELb0EdPKdPKS1_PKPdEviT_T9_T10_S7_lS9_S7_lS8_T11_S7_li
; %bb.0:
	s_load_dwordx4 s[8:11], s[0:1], 0x38
	s_load_dwordx4 s[12:15], s[0:1], 0x8
	s_waitcnt lgkmcnt(0)
	s_load_dwordx2 s[16:17], s[10:11], 0x0
	s_load_dwordx2 s[20:21], s[0:1], 0x0
	;; [unrolled: 1-line block ×3, first 2 shown]
	s_waitcnt lgkmcnt(0)
	v_cmp_neq_f64_e64 s[6:7], s[16:17], 1.0
	s_and_b64 vcc, exec, s[6:7]
	s_cbranch_vccnz .LBB338_2
; %bb.1:
	s_cmp_lg_u32 s21, 0
	s_cselect_b64 s[6:7], -1, 0
	v_cmp_neq_f64_e64 s[10:11], s[18:19], 0
	s_and_b64 s[6:7], s[6:7], s[10:11]
.LBB338_2:
	s_andn2_b64 vcc, exec, s[6:7]
	s_cbranch_vccnz .LBB338_26
; %bb.3:
	s_load_dwordx2 s[10:11], s[0:1], 0x48
	s_mov_b32 s5, 0
	s_lshl_b64 s[6:7], s[4:5], 3
	v_and_b32_e32 v12, 0x3ff, v0
	v_bfe_u32 v13, v0, 10, 10
	s_waitcnt lgkmcnt(0)
	s_add_u32 s10, s10, s6
	s_addc_u32 s11, s11, s7
	s_load_dwordx2 s[10:11], s[10:11], 0x0
	s_lshl_b32 s4, s2, 5
	s_lshl_b32 s12, s3, 5
	s_cmp_lt_i32 s21, 1
	v_cmp_eq_f64_e64 s[2:3], s[18:19], 0
	s_cselect_b64 s[22:23], -1, 0
	s_or_b64 s[2:3], s[2:3], s[22:23]
	v_mov_b64_e32 v[6:7], 0
	s_and_b64 vcc, exec, s[2:3]
	v_mov_b64_e32 v[4:5], 0
	v_mov_b64_e32 v[2:3], 0
	v_mov_b64_e32 v[0:1], 0
	s_cbranch_vccnz .LBB338_10
; %bb.4:
	s_load_dword s13, s[0:1], 0x18
	s_load_dword s22, s[0:1], 0x30
	s_load_dwordx4 s[24:27], s[0:1], 0x20
	v_lshl_add_u32 v1, v13, 4, v12
	v_and_b32_e32 v3, 31, v1
	v_lshrrev_b32_e32 v15, 5, v1
	s_waitcnt lgkmcnt(0)
	s_ashr_i32 s23, s22, 31
	v_lshrrev_b32_e32 v2, 3, v1
	v_or_b32_e32 v1, s4, v3
	s_add_u32 s2, s26, s6
	v_and_b32_e32 v14, 7, v12
	s_addc_u32 s3, s27, s7
	v_cmp_gt_i32_e32 vcc, s20, v1
	v_lshlrev_b32_e32 v1, 3, v3
	s_load_dwordx2 s[26:27], s[2:3], 0x0
	s_add_u32 s2, s14, s6
	v_lshl_or_b32 v16, v15, 8, v1
	v_lshlrev_b32_e32 v1, 3, v14
	v_add_u32_e32 v0, s12, v2
	s_addc_u32 s3, s15, s7
	v_lshl_or_b32 v1, v2, 6, v1
	v_mov_b32_e32 v2, 0x800
	s_load_dwordx2 s[6:7], s[2:3], 0x0
	v_lshl_add_u32 v19, v13, 6, v2
	v_add_u32_e32 v2, s4, v3
	v_mad_i64_i32 v[2:3], s[14:15], s13, v2, 0
	s_lshl_b64 s[14:15], s[24:25], 3
	s_nop 0
	v_lshl_add_u64 v[2:3], v[2:3], 3, s[14:15]
	v_lshlrev_b32_e32 v4, 3, v15
	v_mov_b32_e32 v5, 0
	v_lshl_add_u64 v[2:3], v[2:3], 0, v[4:5]
	s_waitcnt lgkmcnt(0)
	v_lshl_add_u64 v[8:9], s[6:7], 0, v[2:3]
	v_mad_i64_i32 v[2:3], s[6:7], s22, v14, 0
	s_lshl_b64 s[6:7], s[8:9], 3
	v_add_u32_e32 v17, 0x800, v1
	v_ashrrev_i32_e32 v1, 31, v0
	v_lshl_add_u64 v[2:3], v[2:3], 3, s[6:7]
	v_cmp_gt_i32_e64 s[2:3], s20, v0
	v_lshl_add_u64 v[0:1], v[0:1], 3, v[2:3]
	v_lshlrev_b32_e32 v18, 3, v12
	v_lshl_add_u64 v[10:11], s[26:27], 0, v[0:1]
	s_lshl_b64 s[8:9], s[22:23], 6
	v_mov_b64_e32 v[0:1], 0
	v_mov_b64_e32 v[2:3], 0
	;; [unrolled: 1-line block ×4, first 2 shown]
	s_branch .LBB338_6
.LBB338_5:                              ;   in Loop: Header=BB338_6 Depth=1
	s_or_b64 exec, exec, s[6:7]
	s_waitcnt vmcnt(0) lgkmcnt(0)
	ds_write_b64 v17, v[20:21]
	s_waitcnt lgkmcnt(0)
	s_barrier
	ds_read2_b64 v[20:23], v18 offset1:16
	ds_read_b128 v[24:27], v19
	ds_read_b128 v[28:31], v19 offset:16
	ds_read_b128 v[32:35], v19 offset:32
	;; [unrolled: 1-line block ×4, first 2 shown]
	ds_read2_b64 v[44:47], v18 offset0:32 offset1:48
	s_waitcnt lgkmcnt(5)
	v_fmac_f64_e32 v[6:7], v[20:21], v[24:25]
	v_fmac_f64_e32 v[4:5], v[22:23], v[24:25]
	ds_read_b128 v[48:51], v19 offset:1040
	s_waitcnt lgkmcnt(2)
	v_fmac_f64_e32 v[2:3], v[20:21], v[40:41]
	v_fmac_f64_e32 v[0:1], v[22:23], v[40:41]
	ds_read2_b64 v[20:23], v18 offset0:64 offset1:80
	s_waitcnt lgkmcnt(2)
	v_fmac_f64_e32 v[6:7], v[44:45], v[26:27]
	v_fmac_f64_e32 v[4:5], v[46:47], v[26:27]
	ds_read2_b64 v[24:27], v18 offset0:96 offset1:112
	v_fmac_f64_e32 v[2:3], v[44:45], v[42:43]
	v_fmac_f64_e32 v[0:1], v[46:47], v[42:43]
	s_waitcnt lgkmcnt(1)
	v_fmac_f64_e32 v[6:7], v[20:21], v[28:29]
	v_fmac_f64_e32 v[4:5], v[22:23], v[28:29]
	ds_read_b128 v[40:43], v19 offset:1072
	v_fmac_f64_e32 v[2:3], v[20:21], v[48:49]
	v_fmac_f64_e32 v[0:1], v[22:23], v[48:49]
	s_waitcnt lgkmcnt(1)
	v_fmac_f64_e32 v[6:7], v[24:25], v[30:31]
	ds_read2_b64 v[20:23], v18 offset0:128 offset1:144
	v_fmac_f64_e32 v[4:5], v[26:27], v[30:31]
	v_fmac_f64_e32 v[2:3], v[24:25], v[50:51]
	;; [unrolled: 1-line block ×3, first 2 shown]
	ds_read_b128 v[24:27], v19 offset:1056
	ds_read2_b64 v[28:31], v18 offset0:160 offset1:176
	s_waitcnt lgkmcnt(2)
	v_fmac_f64_e32 v[6:7], v[20:21], v[32:33]
	v_fmac_f64_e32 v[4:5], v[22:23], v[32:33]
	s_add_i32 s5, s5, 8
	s_waitcnt lgkmcnt(1)
	v_fmac_f64_e32 v[2:3], v[20:21], v[24:25]
	v_fmac_f64_e32 v[0:1], v[22:23], v[24:25]
	ds_read2_b64 v[20:23], v18 offset0:192 offset1:208
	s_waitcnt lgkmcnt(1)
	v_fmac_f64_e32 v[2:3], v[28:29], v[26:27]
	v_fmac_f64_e32 v[0:1], v[30:31], v[26:27]
	ds_read2_b64 v[24:27], v18 offset0:224 offset1:240
	v_fmac_f64_e32 v[6:7], v[28:29], v[34:35]
	v_fmac_f64_e32 v[4:5], v[30:31], v[34:35]
	s_waitcnt lgkmcnt(1)
	v_fmac_f64_e32 v[6:7], v[20:21], v[36:37]
	v_fmac_f64_e32 v[4:5], v[22:23], v[36:37]
	;; [unrolled: 1-line block ×4, first 2 shown]
	s_waitcnt lgkmcnt(0)
	v_fmac_f64_e32 v[6:7], v[24:25], v[38:39]
	v_fmac_f64_e32 v[4:5], v[26:27], v[38:39]
	;; [unrolled: 1-line block ×4, first 2 shown]
	v_lshl_add_u64 v[8:9], v[8:9], 0, 64
	s_cmp_lt_i32 s5, s21
	v_lshl_add_u64 v[10:11], v[10:11], 0, s[8:9]
	s_barrier
	s_cbranch_scc0 .LBB338_10
.LBB338_6:                              ; =>This Inner Loop Header: Depth=1
	v_add_u32_e32 v20, s5, v15
	v_cmp_gt_i32_e64 s[6:7], s21, v20
	s_and_b64 s[14:15], vcc, s[6:7]
	v_mov_b64_e32 v[20:21], 0
	s_and_saveexec_b64 s[6:7], s[14:15]
	s_cbranch_execz .LBB338_8
; %bb.7:                                ;   in Loop: Header=BB338_6 Depth=1
	flat_load_dwordx2 v[20:21], v[8:9]
.LBB338_8:                              ;   in Loop: Header=BB338_6 Depth=1
	s_or_b64 exec, exec, s[6:7]
	s_waitcnt vmcnt(0) lgkmcnt(0)
	ds_write_b64 v16, v[20:21]
	v_add_u32_e32 v20, s5, v14
	v_cmp_gt_i32_e64 s[6:7], s21, v20
	s_and_b64 s[14:15], s[6:7], s[2:3]
	v_mov_b64_e32 v[20:21], 0
	s_and_saveexec_b64 s[6:7], s[14:15]
	s_cbranch_execz .LBB338_5
; %bb.9:                                ;   in Loop: Header=BB338_6 Depth=1
	flat_load_dwordx2 v[20:21], v[10:11]
	s_branch .LBB338_5
.LBB338_10:
	s_load_dwordx2 s[2:3], s[0:1], 0x58
	s_load_dword s13, s[0:1], 0x50
	v_add_u32_e32 v14, s12, v13
	v_add_u32_e32 v8, s4, v12
	v_cmp_le_i32_e32 vcc, v14, v8
	s_waitcnt lgkmcnt(0)
	s_lshl_b64 s[0:1], s[2:3], 3
	s_add_u32 s6, s10, s0
	s_addc_u32 s7, s11, s1
	v_mad_i64_i32 v[10:11], s[0:1], v14, s13, 0
	v_cmp_neq_f64_e64 s[0:1], s[16:17], 0
	v_cmp_gt_i32_e64 s[2:3], s20, v8
	v_lshl_add_u64 v[10:11], v[10:11], 3, s[6:7]
	v_cndmask_b32_e64 v12, 0, 1, s[0:1]
	s_and_b64 s[8:9], vcc, s[2:3]
	v_ashrrev_i32_e32 v9, 31, v8
	v_cmp_ne_u32_e64 s[0:1], 1, v12
	s_and_saveexec_b64 s[4:5], s[8:9]
	s_cbranch_execz .LBB338_14
; %bb.11:
	v_mul_f64 v[6:7], s[18:19], v[6:7]
	s_and_b64 vcc, exec, s[0:1]
	v_lshl_add_u64 v[12:13], v[8:9], 3, v[10:11]
	s_cbranch_vccnz .LBB338_13
; %bb.12:
	flat_load_dwordx2 v[16:17], v[12:13]
	s_waitcnt vmcnt(0) lgkmcnt(0)
	v_fmac_f64_e32 v[6:7], s[16:17], v[16:17]
.LBB338_13:
	flat_store_dwordx2 v[12:13], v[6:7]
.LBB338_14:
	s_or_b64 exec, exec, s[4:5]
	v_add_u32_e32 v6, 16, v8
	v_cmp_le_i32_e32 vcc, v14, v6
	v_cmp_gt_i32_e64 s[4:5], s20, v6
	s_and_b64 s[10:11], vcc, s[4:5]
	v_ashrrev_i32_e32 v7, 31, v6
	s_and_saveexec_b64 s[8:9], s[10:11]
	s_cbranch_execz .LBB338_18
; %bb.15:
	v_mul_f64 v[4:5], s[18:19], v[4:5]
	s_and_b64 vcc, exec, s[0:1]
	v_lshl_add_u64 v[10:11], v[6:7], 3, v[10:11]
	s_cbranch_vccnz .LBB338_17
; %bb.16:
	flat_load_dwordx2 v[12:13], v[10:11]
	s_waitcnt vmcnt(0) lgkmcnt(0)
	v_fmac_f64_e32 v[4:5], s[16:17], v[12:13]
.LBB338_17:
	flat_store_dwordx2 v[10:11], v[4:5]
.LBB338_18:
	s_or_b64 exec, exec, s[8:9]
	v_add_u32_e32 v10, 16, v14
	v_mad_i64_i32 v[4:5], s[8:9], v10, s13, 0
	v_cmp_le_i32_e32 vcc, v10, v8
	v_lshl_add_u64 v[4:5], v[4:5], 3, s[6:7]
	s_and_b64 s[6:7], vcc, s[2:3]
	s_and_saveexec_b64 s[2:3], s[6:7]
	s_cbranch_execz .LBB338_22
; %bb.19:
	v_mul_f64 v[2:3], s[18:19], v[2:3]
	s_and_b64 vcc, exec, s[0:1]
	v_lshl_add_u64 v[8:9], v[8:9], 3, v[4:5]
	s_cbranch_vccnz .LBB338_21
; %bb.20:
	flat_load_dwordx2 v[12:13], v[8:9]
	s_waitcnt vmcnt(0) lgkmcnt(0)
	v_fmac_f64_e32 v[2:3], s[16:17], v[12:13]
.LBB338_21:
	flat_store_dwordx2 v[8:9], v[2:3]
.LBB338_22:
	s_or_b64 exec, exec, s[2:3]
	v_cmp_le_i32_e32 vcc, v10, v6
	s_and_b64 s[2:3], vcc, s[4:5]
	s_and_saveexec_b64 s[4:5], s[2:3]
	s_cbranch_execz .LBB338_26
; %bb.23:
	v_mul_f64 v[0:1], s[18:19], v[0:1]
	s_and_b64 vcc, exec, s[0:1]
	v_lshl_add_u64 v[2:3], v[6:7], 3, v[4:5]
	s_cbranch_vccnz .LBB338_25
; %bb.24:
	flat_load_dwordx2 v[4:5], v[2:3]
	s_waitcnt vmcnt(0) lgkmcnt(0)
	v_fmac_f64_e32 v[0:1], s[16:17], v[4:5]
.LBB338_25:
	flat_store_dwordx2 v[2:3], v[0:1]
.LBB338_26:
	s_endpgm
	.section	.rodata,"a",@progbits
	.p2align	6, 0x0
	.amdhsa_kernel _ZL29rocblas_internal_gemmt_kernelIiLi16ELi32ELi8ELc84ELc67ELc76ELb0ELb0EdPKdPKS1_PKPdEviT_T9_T10_S7_lS9_S7_lS8_T11_S7_li
		.amdhsa_group_segment_fixed_size 4096
		.amdhsa_private_segment_fixed_size 0
		.amdhsa_kernarg_size 100
		.amdhsa_user_sgpr_count 2
		.amdhsa_user_sgpr_dispatch_ptr 0
		.amdhsa_user_sgpr_queue_ptr 0
		.amdhsa_user_sgpr_kernarg_segment_ptr 1
		.amdhsa_user_sgpr_dispatch_id 0
		.amdhsa_user_sgpr_kernarg_preload_length 0
		.amdhsa_user_sgpr_kernarg_preload_offset 0
		.amdhsa_user_sgpr_private_segment_size 0
		.amdhsa_uses_dynamic_stack 0
		.amdhsa_enable_private_segment 0
		.amdhsa_system_sgpr_workgroup_id_x 1
		.amdhsa_system_sgpr_workgroup_id_y 1
		.amdhsa_system_sgpr_workgroup_id_z 1
		.amdhsa_system_sgpr_workgroup_info 0
		.amdhsa_system_vgpr_workitem_id 1
		.amdhsa_next_free_vgpr 52
		.amdhsa_next_free_sgpr 28
		.amdhsa_accum_offset 52
		.amdhsa_reserve_vcc 1
		.amdhsa_float_round_mode_32 0
		.amdhsa_float_round_mode_16_64 0
		.amdhsa_float_denorm_mode_32 3
		.amdhsa_float_denorm_mode_16_64 3
		.amdhsa_dx10_clamp 1
		.amdhsa_ieee_mode 1
		.amdhsa_fp16_overflow 0
		.amdhsa_tg_split 0
		.amdhsa_exception_fp_ieee_invalid_op 0
		.amdhsa_exception_fp_denorm_src 0
		.amdhsa_exception_fp_ieee_div_zero 0
		.amdhsa_exception_fp_ieee_overflow 0
		.amdhsa_exception_fp_ieee_underflow 0
		.amdhsa_exception_fp_ieee_inexact 0
		.amdhsa_exception_int_div_zero 0
	.end_amdhsa_kernel
	.section	.text._ZL29rocblas_internal_gemmt_kernelIiLi16ELi32ELi8ELc84ELc67ELc76ELb0ELb0EdPKdPKS1_PKPdEviT_T9_T10_S7_lS9_S7_lS8_T11_S7_li,"axG",@progbits,_ZL29rocblas_internal_gemmt_kernelIiLi16ELi32ELi8ELc84ELc67ELc76ELb0ELb0EdPKdPKS1_PKPdEviT_T9_T10_S7_lS9_S7_lS8_T11_S7_li,comdat
.Lfunc_end338:
	.size	_ZL29rocblas_internal_gemmt_kernelIiLi16ELi32ELi8ELc84ELc67ELc76ELb0ELb0EdPKdPKS1_PKPdEviT_T9_T10_S7_lS9_S7_lS8_T11_S7_li, .Lfunc_end338-_ZL29rocblas_internal_gemmt_kernelIiLi16ELi32ELi8ELc84ELc67ELc76ELb0ELb0EdPKdPKS1_PKPdEviT_T9_T10_S7_lS9_S7_lS8_T11_S7_li
                                        ; -- End function
	.set _ZL29rocblas_internal_gemmt_kernelIiLi16ELi32ELi8ELc84ELc67ELc76ELb0ELb0EdPKdPKS1_PKPdEviT_T9_T10_S7_lS9_S7_lS8_T11_S7_li.num_vgpr, 52
	.set _ZL29rocblas_internal_gemmt_kernelIiLi16ELi32ELi8ELc84ELc67ELc76ELb0ELb0EdPKdPKS1_PKPdEviT_T9_T10_S7_lS9_S7_lS8_T11_S7_li.num_agpr, 0
	.set _ZL29rocblas_internal_gemmt_kernelIiLi16ELi32ELi8ELc84ELc67ELc76ELb0ELb0EdPKdPKS1_PKPdEviT_T9_T10_S7_lS9_S7_lS8_T11_S7_li.numbered_sgpr, 28
	.set _ZL29rocblas_internal_gemmt_kernelIiLi16ELi32ELi8ELc84ELc67ELc76ELb0ELb0EdPKdPKS1_PKPdEviT_T9_T10_S7_lS9_S7_lS8_T11_S7_li.num_named_barrier, 0
	.set _ZL29rocblas_internal_gemmt_kernelIiLi16ELi32ELi8ELc84ELc67ELc76ELb0ELb0EdPKdPKS1_PKPdEviT_T9_T10_S7_lS9_S7_lS8_T11_S7_li.private_seg_size, 0
	.set _ZL29rocblas_internal_gemmt_kernelIiLi16ELi32ELi8ELc84ELc67ELc76ELb0ELb0EdPKdPKS1_PKPdEviT_T9_T10_S7_lS9_S7_lS8_T11_S7_li.uses_vcc, 1
	.set _ZL29rocblas_internal_gemmt_kernelIiLi16ELi32ELi8ELc84ELc67ELc76ELb0ELb0EdPKdPKS1_PKPdEviT_T9_T10_S7_lS9_S7_lS8_T11_S7_li.uses_flat_scratch, 0
	.set _ZL29rocblas_internal_gemmt_kernelIiLi16ELi32ELi8ELc84ELc67ELc76ELb0ELb0EdPKdPKS1_PKPdEviT_T9_T10_S7_lS9_S7_lS8_T11_S7_li.has_dyn_sized_stack, 0
	.set _ZL29rocblas_internal_gemmt_kernelIiLi16ELi32ELi8ELc84ELc67ELc76ELb0ELb0EdPKdPKS1_PKPdEviT_T9_T10_S7_lS9_S7_lS8_T11_S7_li.has_recursion, 0
	.set _ZL29rocblas_internal_gemmt_kernelIiLi16ELi32ELi8ELc84ELc67ELc76ELb0ELb0EdPKdPKS1_PKPdEviT_T9_T10_S7_lS9_S7_lS8_T11_S7_li.has_indirect_call, 0
	.section	.AMDGPU.csdata,"",@progbits
; Kernel info:
; codeLenInByte = 1320
; TotalNumSgprs: 34
; NumVgprs: 52
; NumAgprs: 0
; TotalNumVgprs: 52
; ScratchSize: 0
; MemoryBound: 0
; FloatMode: 240
; IeeeMode: 1
; LDSByteSize: 4096 bytes/workgroup (compile time only)
; SGPRBlocks: 4
; VGPRBlocks: 6
; NumSGPRsForWavesPerEU: 34
; NumVGPRsForWavesPerEU: 52
; AccumOffset: 52
; Occupancy: 8
; WaveLimiterHint : 1
; COMPUTE_PGM_RSRC2:SCRATCH_EN: 0
; COMPUTE_PGM_RSRC2:USER_SGPR: 2
; COMPUTE_PGM_RSRC2:TRAP_HANDLER: 0
; COMPUTE_PGM_RSRC2:TGID_X_EN: 1
; COMPUTE_PGM_RSRC2:TGID_Y_EN: 1
; COMPUTE_PGM_RSRC2:TGID_Z_EN: 1
; COMPUTE_PGM_RSRC2:TIDIG_COMP_CNT: 1
; COMPUTE_PGM_RSRC3_GFX90A:ACCUM_OFFSET: 12
; COMPUTE_PGM_RSRC3_GFX90A:TG_SPLIT: 0
	.section	.text._ZL29rocblas_internal_gemmt_kernelIiLi16ELi32ELi8ELc67ELc78ELc76ELb0ELb0EdPKdPKS1_PKPdEviT_T9_T10_S7_lS9_S7_lS8_T11_S7_li,"axG",@progbits,_ZL29rocblas_internal_gemmt_kernelIiLi16ELi32ELi8ELc67ELc78ELc76ELb0ELb0EdPKdPKS1_PKPdEviT_T9_T10_S7_lS9_S7_lS8_T11_S7_li,comdat
	.globl	_ZL29rocblas_internal_gemmt_kernelIiLi16ELi32ELi8ELc67ELc78ELc76ELb0ELb0EdPKdPKS1_PKPdEviT_T9_T10_S7_lS9_S7_lS8_T11_S7_li ; -- Begin function _ZL29rocblas_internal_gemmt_kernelIiLi16ELi32ELi8ELc67ELc78ELc76ELb0ELb0EdPKdPKS1_PKPdEviT_T9_T10_S7_lS9_S7_lS8_T11_S7_li
	.p2align	8
	.type	_ZL29rocblas_internal_gemmt_kernelIiLi16ELi32ELi8ELc67ELc78ELc76ELb0ELb0EdPKdPKS1_PKPdEviT_T9_T10_S7_lS9_S7_lS8_T11_S7_li,@function
_ZL29rocblas_internal_gemmt_kernelIiLi16ELi32ELi8ELc67ELc78ELc76ELb0ELb0EdPKdPKS1_PKPdEviT_T9_T10_S7_lS9_S7_lS8_T11_S7_li: ; @_ZL29rocblas_internal_gemmt_kernelIiLi16ELi32ELi8ELc67ELc78ELc76ELb0ELb0EdPKdPKS1_PKPdEviT_T9_T10_S7_lS9_S7_lS8_T11_S7_li
; %bb.0:
	s_load_dwordx4 s[8:11], s[0:1], 0x38
	s_load_dwordx4 s[12:15], s[0:1], 0x8
	s_waitcnt lgkmcnt(0)
	s_load_dwordx2 s[16:17], s[10:11], 0x0
	s_load_dwordx2 s[20:21], s[0:1], 0x0
	;; [unrolled: 1-line block ×3, first 2 shown]
	s_waitcnt lgkmcnt(0)
	v_cmp_neq_f64_e64 s[6:7], s[16:17], 1.0
	s_and_b64 vcc, exec, s[6:7]
	s_cbranch_vccnz .LBB339_2
; %bb.1:
	s_cmp_lg_u32 s21, 0
	s_cselect_b64 s[6:7], -1, 0
	v_cmp_neq_f64_e64 s[10:11], s[18:19], 0
	s_and_b64 s[6:7], s[6:7], s[10:11]
.LBB339_2:
	s_andn2_b64 vcc, exec, s[6:7]
	s_cbranch_vccnz .LBB339_26
; %bb.3:
	s_load_dwordx2 s[10:11], s[0:1], 0x48
	s_mov_b32 s5, 0
	s_lshl_b64 s[6:7], s[4:5], 3
	v_and_b32_e32 v12, 0x3ff, v0
	v_bfe_u32 v13, v0, 10, 10
	s_waitcnt lgkmcnt(0)
	s_add_u32 s10, s10, s6
	s_addc_u32 s11, s11, s7
	s_load_dwordx2 s[10:11], s[10:11], 0x0
	s_lshl_b32 s4, s2, 5
	s_lshl_b32 s12, s3, 5
	s_cmp_lt_i32 s21, 1
	v_cmp_eq_f64_e64 s[2:3], s[18:19], 0
	s_cselect_b64 s[22:23], -1, 0
	s_or_b64 s[2:3], s[2:3], s[22:23]
	v_mov_b64_e32 v[6:7], 0
	s_and_b64 vcc, exec, s[2:3]
	v_mov_b64_e32 v[4:5], 0
	v_mov_b64_e32 v[2:3], 0
	;; [unrolled: 1-line block ×3, first 2 shown]
	s_cbranch_vccnz .LBB339_10
; %bb.4:
	s_load_dword s13, s[0:1], 0x18
	s_load_dwordx4 s[24:27], s[0:1], 0x20
	s_load_dword s28, s[0:1], 0x30
	v_lshl_add_u32 v0, v13, 4, v12
	v_and_b32_e32 v2, 31, v0
	v_lshrrev_b32_e32 v15, 5, v0
	v_lshrrev_b32_e32 v1, 3, v0
	v_or_b32_e32 v0, s4, v2
	v_and_b32_e32 v14, 7, v12
	s_waitcnt lgkmcnt(0)
	s_add_u32 s2, s26, s6
	v_cmp_gt_i32_e32 vcc, s20, v0
	v_lshlrev_b32_e32 v0, 3, v2
	s_addc_u32 s3, s27, s7
	v_lshl_or_b32 v16, v15, 8, v0
	v_lshlrev_b32_e32 v0, 3, v14
	v_add_u32_e32 v6, s12, v1
	s_load_dwordx2 s[22:23], s[2:3], 0x0
	s_add_u32 s2, s14, s6
	v_lshl_or_b32 v1, v1, 6, v0
	s_addc_u32 s3, s15, s7
	v_add_u32_e32 v17, 0x800, v1
	v_mov_b32_e32 v1, 0x800
	s_load_dwordx2 s[6:7], s[2:3], 0x0
	v_lshl_add_u32 v19, v13, 6, v1
	v_add_u32_e32 v1, s4, v2
	v_mad_i64_i32 v[2:3], s[14:15], s13, v1, 0
	s_lshl_b64 s[14:15], s[24:25], 3
	s_nop 0
	v_lshl_add_u64 v[2:3], v[2:3], 3, s[14:15]
	v_lshlrev_b32_e32 v4, 3, v15
	v_mov_b32_e32 v5, 0
	v_lshl_add_u64 v[2:3], v[2:3], 0, v[4:5]
	s_waitcnt lgkmcnt(0)
	v_lshl_add_u64 v[8:9], s[6:7], 0, v[2:3]
	v_mad_i64_i32 v[2:3], s[6:7], s28, v6, 0
	s_lshl_b64 s[6:7], s[8:9], 3
	s_nop 0
	v_lshl_add_u64 v[2:3], v[2:3], 3, s[6:7]
	v_mov_b32_e32 v1, v5
	v_lshl_add_u64 v[0:1], v[2:3], 0, v[0:1]
	v_cmp_gt_i32_e64 s[2:3], s20, v6
	v_lshlrev_b32_e32 v18, 3, v12
	v_lshl_add_u64 v[10:11], s[22:23], 0, v[0:1]
	v_mov_b64_e32 v[0:1], 0
	v_mov_b64_e32 v[2:3], 0
	;; [unrolled: 1-line block ×4, first 2 shown]
	s_branch .LBB339_6
.LBB339_5:                              ;   in Loop: Header=BB339_6 Depth=1
	s_or_b64 exec, exec, s[6:7]
	s_waitcnt vmcnt(0) lgkmcnt(0)
	ds_write_b64 v17, v[20:21]
	s_waitcnt lgkmcnt(0)
	s_barrier
	ds_read2_b64 v[20:23], v18 offset1:16
	ds_read_b128 v[24:27], v19
	ds_read_b128 v[28:31], v19 offset:16
	ds_read_b128 v[32:35], v19 offset:32
	;; [unrolled: 1-line block ×4, first 2 shown]
	ds_read2_b64 v[44:47], v18 offset0:32 offset1:48
	s_waitcnt lgkmcnt(5)
	v_fmac_f64_e32 v[6:7], v[20:21], v[24:25]
	v_fmac_f64_e32 v[4:5], v[22:23], v[24:25]
	ds_read_b128 v[48:51], v19 offset:1040
	s_waitcnt lgkmcnt(2)
	v_fmac_f64_e32 v[2:3], v[20:21], v[40:41]
	v_fmac_f64_e32 v[0:1], v[22:23], v[40:41]
	ds_read2_b64 v[20:23], v18 offset0:64 offset1:80
	s_waitcnt lgkmcnt(2)
	v_fmac_f64_e32 v[6:7], v[44:45], v[26:27]
	v_fmac_f64_e32 v[4:5], v[46:47], v[26:27]
	ds_read2_b64 v[24:27], v18 offset0:96 offset1:112
	v_fmac_f64_e32 v[2:3], v[44:45], v[42:43]
	v_fmac_f64_e32 v[0:1], v[46:47], v[42:43]
	s_waitcnt lgkmcnt(1)
	v_fmac_f64_e32 v[6:7], v[20:21], v[28:29]
	v_fmac_f64_e32 v[4:5], v[22:23], v[28:29]
	ds_read_b128 v[40:43], v19 offset:1072
	v_fmac_f64_e32 v[2:3], v[20:21], v[48:49]
	v_fmac_f64_e32 v[0:1], v[22:23], v[48:49]
	s_waitcnt lgkmcnt(1)
	v_fmac_f64_e32 v[6:7], v[24:25], v[30:31]
	ds_read2_b64 v[20:23], v18 offset0:128 offset1:144
	v_fmac_f64_e32 v[4:5], v[26:27], v[30:31]
	v_fmac_f64_e32 v[2:3], v[24:25], v[50:51]
	;; [unrolled: 1-line block ×3, first 2 shown]
	ds_read_b128 v[24:27], v19 offset:1056
	ds_read2_b64 v[28:31], v18 offset0:160 offset1:176
	s_waitcnt lgkmcnt(2)
	v_fmac_f64_e32 v[6:7], v[20:21], v[32:33]
	v_fmac_f64_e32 v[4:5], v[22:23], v[32:33]
	s_add_i32 s5, s5, 8
	s_waitcnt lgkmcnt(1)
	v_fmac_f64_e32 v[2:3], v[20:21], v[24:25]
	v_fmac_f64_e32 v[0:1], v[22:23], v[24:25]
	ds_read2_b64 v[20:23], v18 offset0:192 offset1:208
	s_waitcnt lgkmcnt(1)
	v_fmac_f64_e32 v[2:3], v[28:29], v[26:27]
	v_fmac_f64_e32 v[0:1], v[30:31], v[26:27]
	ds_read2_b64 v[24:27], v18 offset0:224 offset1:240
	v_fmac_f64_e32 v[6:7], v[28:29], v[34:35]
	v_fmac_f64_e32 v[4:5], v[30:31], v[34:35]
	s_waitcnt lgkmcnt(1)
	v_fmac_f64_e32 v[6:7], v[20:21], v[36:37]
	v_fmac_f64_e32 v[4:5], v[22:23], v[36:37]
	;; [unrolled: 1-line block ×4, first 2 shown]
	s_waitcnt lgkmcnt(0)
	v_fmac_f64_e32 v[6:7], v[24:25], v[38:39]
	v_fmac_f64_e32 v[4:5], v[26:27], v[38:39]
	;; [unrolled: 1-line block ×4, first 2 shown]
	v_lshl_add_u64 v[8:9], v[8:9], 0, 64
	s_cmp_lt_i32 s5, s21
	v_lshl_add_u64 v[10:11], v[10:11], 0, 64
	s_barrier
	s_cbranch_scc0 .LBB339_10
.LBB339_6:                              ; =>This Inner Loop Header: Depth=1
	v_add_u32_e32 v20, s5, v15
	v_cmp_gt_i32_e64 s[6:7], s21, v20
	s_and_b64 s[8:9], vcc, s[6:7]
	v_mov_b64_e32 v[20:21], 0
	s_and_saveexec_b64 s[6:7], s[8:9]
	s_cbranch_execz .LBB339_8
; %bb.7:                                ;   in Loop: Header=BB339_6 Depth=1
	flat_load_dwordx2 v[20:21], v[8:9]
.LBB339_8:                              ;   in Loop: Header=BB339_6 Depth=1
	s_or_b64 exec, exec, s[6:7]
	s_waitcnt vmcnt(0) lgkmcnt(0)
	ds_write_b64 v16, v[20:21]
	v_add_u32_e32 v20, s5, v14
	v_cmp_gt_i32_e64 s[6:7], s21, v20
	s_and_b64 s[8:9], s[6:7], s[2:3]
	v_mov_b64_e32 v[20:21], 0
	s_and_saveexec_b64 s[6:7], s[8:9]
	s_cbranch_execz .LBB339_5
; %bb.9:                                ;   in Loop: Header=BB339_6 Depth=1
	flat_load_dwordx2 v[20:21], v[10:11]
	s_branch .LBB339_5
.LBB339_10:
	s_load_dwordx2 s[2:3], s[0:1], 0x58
	s_load_dword s13, s[0:1], 0x50
	v_add_u32_e32 v14, s12, v13
	v_add_u32_e32 v8, s4, v12
	v_cmp_le_i32_e32 vcc, v14, v8
	s_waitcnt lgkmcnt(0)
	s_lshl_b64 s[0:1], s[2:3], 3
	s_add_u32 s6, s10, s0
	s_addc_u32 s7, s11, s1
	v_mad_i64_i32 v[10:11], s[0:1], v14, s13, 0
	v_cmp_neq_f64_e64 s[0:1], s[16:17], 0
	v_cmp_gt_i32_e64 s[2:3], s20, v8
	v_lshl_add_u64 v[10:11], v[10:11], 3, s[6:7]
	v_cndmask_b32_e64 v12, 0, 1, s[0:1]
	s_and_b64 s[8:9], vcc, s[2:3]
	v_ashrrev_i32_e32 v9, 31, v8
	v_cmp_ne_u32_e64 s[0:1], 1, v12
	s_and_saveexec_b64 s[4:5], s[8:9]
	s_cbranch_execz .LBB339_14
; %bb.11:
	v_mul_f64 v[6:7], s[18:19], v[6:7]
	s_and_b64 vcc, exec, s[0:1]
	v_lshl_add_u64 v[12:13], v[8:9], 3, v[10:11]
	s_cbranch_vccnz .LBB339_13
; %bb.12:
	flat_load_dwordx2 v[16:17], v[12:13]
	s_waitcnt vmcnt(0) lgkmcnt(0)
	v_fmac_f64_e32 v[6:7], s[16:17], v[16:17]
.LBB339_13:
	flat_store_dwordx2 v[12:13], v[6:7]
.LBB339_14:
	s_or_b64 exec, exec, s[4:5]
	v_add_u32_e32 v6, 16, v8
	v_cmp_le_i32_e32 vcc, v14, v6
	v_cmp_gt_i32_e64 s[4:5], s20, v6
	s_and_b64 s[10:11], vcc, s[4:5]
	v_ashrrev_i32_e32 v7, 31, v6
	s_and_saveexec_b64 s[8:9], s[10:11]
	s_cbranch_execz .LBB339_18
; %bb.15:
	v_mul_f64 v[4:5], s[18:19], v[4:5]
	s_and_b64 vcc, exec, s[0:1]
	v_lshl_add_u64 v[10:11], v[6:7], 3, v[10:11]
	s_cbranch_vccnz .LBB339_17
; %bb.16:
	flat_load_dwordx2 v[12:13], v[10:11]
	s_waitcnt vmcnt(0) lgkmcnt(0)
	v_fmac_f64_e32 v[4:5], s[16:17], v[12:13]
.LBB339_17:
	flat_store_dwordx2 v[10:11], v[4:5]
.LBB339_18:
	s_or_b64 exec, exec, s[8:9]
	v_add_u32_e32 v10, 16, v14
	v_mad_i64_i32 v[4:5], s[8:9], v10, s13, 0
	v_cmp_le_i32_e32 vcc, v10, v8
	v_lshl_add_u64 v[4:5], v[4:5], 3, s[6:7]
	s_and_b64 s[6:7], vcc, s[2:3]
	s_and_saveexec_b64 s[2:3], s[6:7]
	s_cbranch_execz .LBB339_22
; %bb.19:
	v_mul_f64 v[2:3], s[18:19], v[2:3]
	s_and_b64 vcc, exec, s[0:1]
	v_lshl_add_u64 v[8:9], v[8:9], 3, v[4:5]
	s_cbranch_vccnz .LBB339_21
; %bb.20:
	flat_load_dwordx2 v[12:13], v[8:9]
	s_waitcnt vmcnt(0) lgkmcnt(0)
	v_fmac_f64_e32 v[2:3], s[16:17], v[12:13]
.LBB339_21:
	flat_store_dwordx2 v[8:9], v[2:3]
.LBB339_22:
	s_or_b64 exec, exec, s[2:3]
	v_cmp_le_i32_e32 vcc, v10, v6
	s_and_b64 s[2:3], vcc, s[4:5]
	s_and_saveexec_b64 s[4:5], s[2:3]
	s_cbranch_execz .LBB339_26
; %bb.23:
	v_mul_f64 v[0:1], s[18:19], v[0:1]
	s_and_b64 vcc, exec, s[0:1]
	v_lshl_add_u64 v[2:3], v[6:7], 3, v[4:5]
	s_cbranch_vccnz .LBB339_25
; %bb.24:
	flat_load_dwordx2 v[4:5], v[2:3]
	s_waitcnt vmcnt(0) lgkmcnt(0)
	v_fmac_f64_e32 v[0:1], s[16:17], v[4:5]
.LBB339_25:
	flat_store_dwordx2 v[2:3], v[0:1]
.LBB339_26:
	s_endpgm
	.section	.rodata,"a",@progbits
	.p2align	6, 0x0
	.amdhsa_kernel _ZL29rocblas_internal_gemmt_kernelIiLi16ELi32ELi8ELc67ELc78ELc76ELb0ELb0EdPKdPKS1_PKPdEviT_T9_T10_S7_lS9_S7_lS8_T11_S7_li
		.amdhsa_group_segment_fixed_size 4096
		.amdhsa_private_segment_fixed_size 0
		.amdhsa_kernarg_size 100
		.amdhsa_user_sgpr_count 2
		.amdhsa_user_sgpr_dispatch_ptr 0
		.amdhsa_user_sgpr_queue_ptr 0
		.amdhsa_user_sgpr_kernarg_segment_ptr 1
		.amdhsa_user_sgpr_dispatch_id 0
		.amdhsa_user_sgpr_kernarg_preload_length 0
		.amdhsa_user_sgpr_kernarg_preload_offset 0
		.amdhsa_user_sgpr_private_segment_size 0
		.amdhsa_uses_dynamic_stack 0
		.amdhsa_enable_private_segment 0
		.amdhsa_system_sgpr_workgroup_id_x 1
		.amdhsa_system_sgpr_workgroup_id_y 1
		.amdhsa_system_sgpr_workgroup_id_z 1
		.amdhsa_system_sgpr_workgroup_info 0
		.amdhsa_system_vgpr_workitem_id 1
		.amdhsa_next_free_vgpr 52
		.amdhsa_next_free_sgpr 29
		.amdhsa_accum_offset 52
		.amdhsa_reserve_vcc 1
		.amdhsa_float_round_mode_32 0
		.amdhsa_float_round_mode_16_64 0
		.amdhsa_float_denorm_mode_32 3
		.amdhsa_float_denorm_mode_16_64 3
		.amdhsa_dx10_clamp 1
		.amdhsa_ieee_mode 1
		.amdhsa_fp16_overflow 0
		.amdhsa_tg_split 0
		.amdhsa_exception_fp_ieee_invalid_op 0
		.amdhsa_exception_fp_denorm_src 0
		.amdhsa_exception_fp_ieee_div_zero 0
		.amdhsa_exception_fp_ieee_overflow 0
		.amdhsa_exception_fp_ieee_underflow 0
		.amdhsa_exception_fp_ieee_inexact 0
		.amdhsa_exception_int_div_zero 0
	.end_amdhsa_kernel
	.section	.text._ZL29rocblas_internal_gemmt_kernelIiLi16ELi32ELi8ELc67ELc78ELc76ELb0ELb0EdPKdPKS1_PKPdEviT_T9_T10_S7_lS9_S7_lS8_T11_S7_li,"axG",@progbits,_ZL29rocblas_internal_gemmt_kernelIiLi16ELi32ELi8ELc67ELc78ELc76ELb0ELb0EdPKdPKS1_PKPdEviT_T9_T10_S7_lS9_S7_lS8_T11_S7_li,comdat
.Lfunc_end339:
	.size	_ZL29rocblas_internal_gemmt_kernelIiLi16ELi32ELi8ELc67ELc78ELc76ELb0ELb0EdPKdPKS1_PKPdEviT_T9_T10_S7_lS9_S7_lS8_T11_S7_li, .Lfunc_end339-_ZL29rocblas_internal_gemmt_kernelIiLi16ELi32ELi8ELc67ELc78ELc76ELb0ELb0EdPKdPKS1_PKPdEviT_T9_T10_S7_lS9_S7_lS8_T11_S7_li
                                        ; -- End function
	.set _ZL29rocblas_internal_gemmt_kernelIiLi16ELi32ELi8ELc67ELc78ELc76ELb0ELb0EdPKdPKS1_PKPdEviT_T9_T10_S7_lS9_S7_lS8_T11_S7_li.num_vgpr, 52
	.set _ZL29rocblas_internal_gemmt_kernelIiLi16ELi32ELi8ELc67ELc78ELc76ELb0ELb0EdPKdPKS1_PKPdEviT_T9_T10_S7_lS9_S7_lS8_T11_S7_li.num_agpr, 0
	.set _ZL29rocblas_internal_gemmt_kernelIiLi16ELi32ELi8ELc67ELc78ELc76ELb0ELb0EdPKdPKS1_PKPdEviT_T9_T10_S7_lS9_S7_lS8_T11_S7_li.numbered_sgpr, 29
	.set _ZL29rocblas_internal_gemmt_kernelIiLi16ELi32ELi8ELc67ELc78ELc76ELb0ELb0EdPKdPKS1_PKPdEviT_T9_T10_S7_lS9_S7_lS8_T11_S7_li.num_named_barrier, 0
	.set _ZL29rocblas_internal_gemmt_kernelIiLi16ELi32ELi8ELc67ELc78ELc76ELb0ELb0EdPKdPKS1_PKPdEviT_T9_T10_S7_lS9_S7_lS8_T11_S7_li.private_seg_size, 0
	.set _ZL29rocblas_internal_gemmt_kernelIiLi16ELi32ELi8ELc67ELc78ELc76ELb0ELb0EdPKdPKS1_PKPdEviT_T9_T10_S7_lS9_S7_lS8_T11_S7_li.uses_vcc, 1
	.set _ZL29rocblas_internal_gemmt_kernelIiLi16ELi32ELi8ELc67ELc78ELc76ELb0ELb0EdPKdPKS1_PKPdEviT_T9_T10_S7_lS9_S7_lS8_T11_S7_li.uses_flat_scratch, 0
	.set _ZL29rocblas_internal_gemmt_kernelIiLi16ELi32ELi8ELc67ELc78ELc76ELb0ELb0EdPKdPKS1_PKPdEviT_T9_T10_S7_lS9_S7_lS8_T11_S7_li.has_dyn_sized_stack, 0
	.set _ZL29rocblas_internal_gemmt_kernelIiLi16ELi32ELi8ELc67ELc78ELc76ELb0ELb0EdPKdPKS1_PKPdEviT_T9_T10_S7_lS9_S7_lS8_T11_S7_li.has_recursion, 0
	.set _ZL29rocblas_internal_gemmt_kernelIiLi16ELi32ELi8ELc67ELc78ELc76ELb0ELb0EdPKdPKS1_PKPdEviT_T9_T10_S7_lS9_S7_lS8_T11_S7_li.has_indirect_call, 0
	.section	.AMDGPU.csdata,"",@progbits
; Kernel info:
; codeLenInByte = 1316
; TotalNumSgprs: 35
; NumVgprs: 52
; NumAgprs: 0
; TotalNumVgprs: 52
; ScratchSize: 0
; MemoryBound: 0
; FloatMode: 240
; IeeeMode: 1
; LDSByteSize: 4096 bytes/workgroup (compile time only)
; SGPRBlocks: 4
; VGPRBlocks: 6
; NumSGPRsForWavesPerEU: 35
; NumVGPRsForWavesPerEU: 52
; AccumOffset: 52
; Occupancy: 8
; WaveLimiterHint : 1
; COMPUTE_PGM_RSRC2:SCRATCH_EN: 0
; COMPUTE_PGM_RSRC2:USER_SGPR: 2
; COMPUTE_PGM_RSRC2:TRAP_HANDLER: 0
; COMPUTE_PGM_RSRC2:TGID_X_EN: 1
; COMPUTE_PGM_RSRC2:TGID_Y_EN: 1
; COMPUTE_PGM_RSRC2:TGID_Z_EN: 1
; COMPUTE_PGM_RSRC2:TIDIG_COMP_CNT: 1
; COMPUTE_PGM_RSRC3_GFX90A:ACCUM_OFFSET: 12
; COMPUTE_PGM_RSRC3_GFX90A:TG_SPLIT: 0
	.section	.text._ZL29rocblas_internal_gemmt_kernelIiLi16ELi32ELi8ELc67ELc84ELc76ELb0ELb0EdPKdPKS1_PKPdEviT_T9_T10_S7_lS9_S7_lS8_T11_S7_li,"axG",@progbits,_ZL29rocblas_internal_gemmt_kernelIiLi16ELi32ELi8ELc67ELc84ELc76ELb0ELb0EdPKdPKS1_PKPdEviT_T9_T10_S7_lS9_S7_lS8_T11_S7_li,comdat
	.globl	_ZL29rocblas_internal_gemmt_kernelIiLi16ELi32ELi8ELc67ELc84ELc76ELb0ELb0EdPKdPKS1_PKPdEviT_T9_T10_S7_lS9_S7_lS8_T11_S7_li ; -- Begin function _ZL29rocblas_internal_gemmt_kernelIiLi16ELi32ELi8ELc67ELc84ELc76ELb0ELb0EdPKdPKS1_PKPdEviT_T9_T10_S7_lS9_S7_lS8_T11_S7_li
	.p2align	8
	.type	_ZL29rocblas_internal_gemmt_kernelIiLi16ELi32ELi8ELc67ELc84ELc76ELb0ELb0EdPKdPKS1_PKPdEviT_T9_T10_S7_lS9_S7_lS8_T11_S7_li,@function
_ZL29rocblas_internal_gemmt_kernelIiLi16ELi32ELi8ELc67ELc84ELc76ELb0ELb0EdPKdPKS1_PKPdEviT_T9_T10_S7_lS9_S7_lS8_T11_S7_li: ; @_ZL29rocblas_internal_gemmt_kernelIiLi16ELi32ELi8ELc67ELc84ELc76ELb0ELb0EdPKdPKS1_PKPdEviT_T9_T10_S7_lS9_S7_lS8_T11_S7_li
; %bb.0:
	s_load_dwordx4 s[8:11], s[0:1], 0x38
	s_load_dwordx4 s[12:15], s[0:1], 0x8
	s_waitcnt lgkmcnt(0)
	s_load_dwordx2 s[16:17], s[10:11], 0x0
	s_load_dwordx2 s[20:21], s[0:1], 0x0
	;; [unrolled: 1-line block ×3, first 2 shown]
	s_waitcnt lgkmcnt(0)
	v_cmp_neq_f64_e64 s[6:7], s[16:17], 1.0
	s_and_b64 vcc, exec, s[6:7]
	s_cbranch_vccnz .LBB340_2
; %bb.1:
	s_cmp_lg_u32 s21, 0
	s_cselect_b64 s[6:7], -1, 0
	v_cmp_neq_f64_e64 s[10:11], s[18:19], 0
	s_and_b64 s[6:7], s[6:7], s[10:11]
.LBB340_2:
	s_andn2_b64 vcc, exec, s[6:7]
	s_cbranch_vccnz .LBB340_26
; %bb.3:
	s_load_dwordx2 s[10:11], s[0:1], 0x48
	s_mov_b32 s5, 0
	s_lshl_b64 s[6:7], s[4:5], 3
	v_and_b32_e32 v12, 0x3ff, v0
	v_bfe_u32 v13, v0, 10, 10
	s_waitcnt lgkmcnt(0)
	s_add_u32 s10, s10, s6
	s_addc_u32 s11, s11, s7
	s_load_dwordx2 s[10:11], s[10:11], 0x0
	s_lshl_b32 s4, s2, 5
	s_lshl_b32 s12, s3, 5
	s_cmp_lt_i32 s21, 1
	v_cmp_eq_f64_e64 s[2:3], s[18:19], 0
	s_cselect_b64 s[22:23], -1, 0
	s_or_b64 s[2:3], s[2:3], s[22:23]
	v_mov_b64_e32 v[6:7], 0
	s_and_b64 vcc, exec, s[2:3]
	v_mov_b64_e32 v[4:5], 0
	v_mov_b64_e32 v[2:3], 0
	v_mov_b64_e32 v[0:1], 0
	s_cbranch_vccnz .LBB340_10
; %bb.4:
	s_load_dword s13, s[0:1], 0x18
	s_load_dword s22, s[0:1], 0x30
	s_load_dwordx4 s[24:27], s[0:1], 0x20
	v_lshl_add_u32 v1, v13, 4, v12
	v_and_b32_e32 v3, 31, v1
	v_lshrrev_b32_e32 v15, 5, v1
	s_waitcnt lgkmcnt(0)
	s_ashr_i32 s23, s22, 31
	v_lshrrev_b32_e32 v2, 3, v1
	v_or_b32_e32 v1, s4, v3
	s_add_u32 s2, s26, s6
	v_and_b32_e32 v14, 7, v12
	s_addc_u32 s3, s27, s7
	v_cmp_gt_i32_e32 vcc, s20, v1
	v_lshlrev_b32_e32 v1, 3, v3
	s_load_dwordx2 s[26:27], s[2:3], 0x0
	s_add_u32 s2, s14, s6
	v_lshl_or_b32 v16, v15, 8, v1
	v_lshlrev_b32_e32 v1, 3, v14
	v_add_u32_e32 v0, s12, v2
	s_addc_u32 s3, s15, s7
	v_lshl_or_b32 v1, v2, 6, v1
	v_mov_b32_e32 v2, 0x800
	s_load_dwordx2 s[6:7], s[2:3], 0x0
	v_lshl_add_u32 v19, v13, 6, v2
	v_add_u32_e32 v2, s4, v3
	v_mad_i64_i32 v[2:3], s[14:15], s13, v2, 0
	s_lshl_b64 s[14:15], s[24:25], 3
	s_nop 0
	v_lshl_add_u64 v[2:3], v[2:3], 3, s[14:15]
	v_lshlrev_b32_e32 v4, 3, v15
	v_mov_b32_e32 v5, 0
	v_lshl_add_u64 v[2:3], v[2:3], 0, v[4:5]
	s_waitcnt lgkmcnt(0)
	v_lshl_add_u64 v[8:9], s[6:7], 0, v[2:3]
	v_mad_i64_i32 v[2:3], s[6:7], s22, v14, 0
	s_lshl_b64 s[6:7], s[8:9], 3
	v_add_u32_e32 v17, 0x800, v1
	v_ashrrev_i32_e32 v1, 31, v0
	v_lshl_add_u64 v[2:3], v[2:3], 3, s[6:7]
	v_cmp_gt_i32_e64 s[2:3], s20, v0
	v_lshl_add_u64 v[0:1], v[0:1], 3, v[2:3]
	v_lshlrev_b32_e32 v18, 3, v12
	v_lshl_add_u64 v[10:11], s[26:27], 0, v[0:1]
	s_lshl_b64 s[8:9], s[22:23], 6
	v_mov_b64_e32 v[0:1], 0
	v_mov_b64_e32 v[2:3], 0
	;; [unrolled: 1-line block ×4, first 2 shown]
	s_branch .LBB340_6
.LBB340_5:                              ;   in Loop: Header=BB340_6 Depth=1
	s_or_b64 exec, exec, s[6:7]
	s_waitcnt vmcnt(0) lgkmcnt(0)
	ds_write_b64 v17, v[20:21]
	s_waitcnt lgkmcnt(0)
	s_barrier
	ds_read2_b64 v[20:23], v18 offset1:16
	ds_read_b128 v[24:27], v19
	ds_read_b128 v[28:31], v19 offset:16
	ds_read_b128 v[32:35], v19 offset:32
	;; [unrolled: 1-line block ×4, first 2 shown]
	ds_read2_b64 v[44:47], v18 offset0:32 offset1:48
	s_waitcnt lgkmcnt(5)
	v_fmac_f64_e32 v[6:7], v[20:21], v[24:25]
	v_fmac_f64_e32 v[4:5], v[22:23], v[24:25]
	ds_read_b128 v[48:51], v19 offset:1040
	s_waitcnt lgkmcnt(2)
	v_fmac_f64_e32 v[2:3], v[20:21], v[40:41]
	v_fmac_f64_e32 v[0:1], v[22:23], v[40:41]
	ds_read2_b64 v[20:23], v18 offset0:64 offset1:80
	s_waitcnt lgkmcnt(2)
	v_fmac_f64_e32 v[6:7], v[44:45], v[26:27]
	v_fmac_f64_e32 v[4:5], v[46:47], v[26:27]
	ds_read2_b64 v[24:27], v18 offset0:96 offset1:112
	v_fmac_f64_e32 v[2:3], v[44:45], v[42:43]
	v_fmac_f64_e32 v[0:1], v[46:47], v[42:43]
	s_waitcnt lgkmcnt(1)
	v_fmac_f64_e32 v[6:7], v[20:21], v[28:29]
	v_fmac_f64_e32 v[4:5], v[22:23], v[28:29]
	ds_read_b128 v[40:43], v19 offset:1072
	v_fmac_f64_e32 v[2:3], v[20:21], v[48:49]
	v_fmac_f64_e32 v[0:1], v[22:23], v[48:49]
	s_waitcnt lgkmcnt(1)
	v_fmac_f64_e32 v[6:7], v[24:25], v[30:31]
	ds_read2_b64 v[20:23], v18 offset0:128 offset1:144
	v_fmac_f64_e32 v[4:5], v[26:27], v[30:31]
	v_fmac_f64_e32 v[2:3], v[24:25], v[50:51]
	;; [unrolled: 1-line block ×3, first 2 shown]
	ds_read_b128 v[24:27], v19 offset:1056
	ds_read2_b64 v[28:31], v18 offset0:160 offset1:176
	s_waitcnt lgkmcnt(2)
	v_fmac_f64_e32 v[6:7], v[20:21], v[32:33]
	v_fmac_f64_e32 v[4:5], v[22:23], v[32:33]
	s_add_i32 s5, s5, 8
	s_waitcnt lgkmcnt(1)
	v_fmac_f64_e32 v[2:3], v[20:21], v[24:25]
	v_fmac_f64_e32 v[0:1], v[22:23], v[24:25]
	ds_read2_b64 v[20:23], v18 offset0:192 offset1:208
	s_waitcnt lgkmcnt(1)
	v_fmac_f64_e32 v[2:3], v[28:29], v[26:27]
	v_fmac_f64_e32 v[0:1], v[30:31], v[26:27]
	ds_read2_b64 v[24:27], v18 offset0:224 offset1:240
	v_fmac_f64_e32 v[6:7], v[28:29], v[34:35]
	v_fmac_f64_e32 v[4:5], v[30:31], v[34:35]
	s_waitcnt lgkmcnt(1)
	v_fmac_f64_e32 v[6:7], v[20:21], v[36:37]
	v_fmac_f64_e32 v[4:5], v[22:23], v[36:37]
	;; [unrolled: 1-line block ×4, first 2 shown]
	s_waitcnt lgkmcnt(0)
	v_fmac_f64_e32 v[6:7], v[24:25], v[38:39]
	v_fmac_f64_e32 v[4:5], v[26:27], v[38:39]
	;; [unrolled: 1-line block ×4, first 2 shown]
	v_lshl_add_u64 v[8:9], v[8:9], 0, 64
	s_cmp_lt_i32 s5, s21
	v_lshl_add_u64 v[10:11], v[10:11], 0, s[8:9]
	s_barrier
	s_cbranch_scc0 .LBB340_10
.LBB340_6:                              ; =>This Inner Loop Header: Depth=1
	v_add_u32_e32 v20, s5, v15
	v_cmp_gt_i32_e64 s[6:7], s21, v20
	s_and_b64 s[14:15], vcc, s[6:7]
	v_mov_b64_e32 v[20:21], 0
	s_and_saveexec_b64 s[6:7], s[14:15]
	s_cbranch_execz .LBB340_8
; %bb.7:                                ;   in Loop: Header=BB340_6 Depth=1
	flat_load_dwordx2 v[20:21], v[8:9]
.LBB340_8:                              ;   in Loop: Header=BB340_6 Depth=1
	s_or_b64 exec, exec, s[6:7]
	s_waitcnt vmcnt(0) lgkmcnt(0)
	ds_write_b64 v16, v[20:21]
	v_add_u32_e32 v20, s5, v14
	v_cmp_gt_i32_e64 s[6:7], s21, v20
	s_and_b64 s[14:15], s[6:7], s[2:3]
	v_mov_b64_e32 v[20:21], 0
	s_and_saveexec_b64 s[6:7], s[14:15]
	s_cbranch_execz .LBB340_5
; %bb.9:                                ;   in Loop: Header=BB340_6 Depth=1
	flat_load_dwordx2 v[20:21], v[10:11]
	s_branch .LBB340_5
.LBB340_10:
	s_load_dwordx2 s[2:3], s[0:1], 0x58
	s_load_dword s13, s[0:1], 0x50
	v_add_u32_e32 v14, s12, v13
	v_add_u32_e32 v8, s4, v12
	v_cmp_le_i32_e32 vcc, v14, v8
	s_waitcnt lgkmcnt(0)
	s_lshl_b64 s[0:1], s[2:3], 3
	s_add_u32 s6, s10, s0
	s_addc_u32 s7, s11, s1
	v_mad_i64_i32 v[10:11], s[0:1], v14, s13, 0
	v_cmp_neq_f64_e64 s[0:1], s[16:17], 0
	v_cmp_gt_i32_e64 s[2:3], s20, v8
	v_lshl_add_u64 v[10:11], v[10:11], 3, s[6:7]
	v_cndmask_b32_e64 v12, 0, 1, s[0:1]
	s_and_b64 s[8:9], vcc, s[2:3]
	v_ashrrev_i32_e32 v9, 31, v8
	v_cmp_ne_u32_e64 s[0:1], 1, v12
	s_and_saveexec_b64 s[4:5], s[8:9]
	s_cbranch_execz .LBB340_14
; %bb.11:
	v_mul_f64 v[6:7], s[18:19], v[6:7]
	s_and_b64 vcc, exec, s[0:1]
	v_lshl_add_u64 v[12:13], v[8:9], 3, v[10:11]
	s_cbranch_vccnz .LBB340_13
; %bb.12:
	flat_load_dwordx2 v[16:17], v[12:13]
	s_waitcnt vmcnt(0) lgkmcnt(0)
	v_fmac_f64_e32 v[6:7], s[16:17], v[16:17]
.LBB340_13:
	flat_store_dwordx2 v[12:13], v[6:7]
.LBB340_14:
	s_or_b64 exec, exec, s[4:5]
	v_add_u32_e32 v6, 16, v8
	v_cmp_le_i32_e32 vcc, v14, v6
	v_cmp_gt_i32_e64 s[4:5], s20, v6
	s_and_b64 s[10:11], vcc, s[4:5]
	v_ashrrev_i32_e32 v7, 31, v6
	s_and_saveexec_b64 s[8:9], s[10:11]
	s_cbranch_execz .LBB340_18
; %bb.15:
	v_mul_f64 v[4:5], s[18:19], v[4:5]
	s_and_b64 vcc, exec, s[0:1]
	v_lshl_add_u64 v[10:11], v[6:7], 3, v[10:11]
	s_cbranch_vccnz .LBB340_17
; %bb.16:
	flat_load_dwordx2 v[12:13], v[10:11]
	s_waitcnt vmcnt(0) lgkmcnt(0)
	v_fmac_f64_e32 v[4:5], s[16:17], v[12:13]
.LBB340_17:
	flat_store_dwordx2 v[10:11], v[4:5]
.LBB340_18:
	s_or_b64 exec, exec, s[8:9]
	v_add_u32_e32 v10, 16, v14
	v_mad_i64_i32 v[4:5], s[8:9], v10, s13, 0
	v_cmp_le_i32_e32 vcc, v10, v8
	v_lshl_add_u64 v[4:5], v[4:5], 3, s[6:7]
	s_and_b64 s[6:7], vcc, s[2:3]
	s_and_saveexec_b64 s[2:3], s[6:7]
	s_cbranch_execz .LBB340_22
; %bb.19:
	v_mul_f64 v[2:3], s[18:19], v[2:3]
	s_and_b64 vcc, exec, s[0:1]
	v_lshl_add_u64 v[8:9], v[8:9], 3, v[4:5]
	s_cbranch_vccnz .LBB340_21
; %bb.20:
	flat_load_dwordx2 v[12:13], v[8:9]
	s_waitcnt vmcnt(0) lgkmcnt(0)
	v_fmac_f64_e32 v[2:3], s[16:17], v[12:13]
.LBB340_21:
	flat_store_dwordx2 v[8:9], v[2:3]
.LBB340_22:
	s_or_b64 exec, exec, s[2:3]
	v_cmp_le_i32_e32 vcc, v10, v6
	s_and_b64 s[2:3], vcc, s[4:5]
	s_and_saveexec_b64 s[4:5], s[2:3]
	s_cbranch_execz .LBB340_26
; %bb.23:
	v_mul_f64 v[0:1], s[18:19], v[0:1]
	s_and_b64 vcc, exec, s[0:1]
	v_lshl_add_u64 v[2:3], v[6:7], 3, v[4:5]
	s_cbranch_vccnz .LBB340_25
; %bb.24:
	flat_load_dwordx2 v[4:5], v[2:3]
	s_waitcnt vmcnt(0) lgkmcnt(0)
	v_fmac_f64_e32 v[0:1], s[16:17], v[4:5]
.LBB340_25:
	flat_store_dwordx2 v[2:3], v[0:1]
.LBB340_26:
	s_endpgm
	.section	.rodata,"a",@progbits
	.p2align	6, 0x0
	.amdhsa_kernel _ZL29rocblas_internal_gemmt_kernelIiLi16ELi32ELi8ELc67ELc84ELc76ELb0ELb0EdPKdPKS1_PKPdEviT_T9_T10_S7_lS9_S7_lS8_T11_S7_li
		.amdhsa_group_segment_fixed_size 4096
		.amdhsa_private_segment_fixed_size 0
		.amdhsa_kernarg_size 100
		.amdhsa_user_sgpr_count 2
		.amdhsa_user_sgpr_dispatch_ptr 0
		.amdhsa_user_sgpr_queue_ptr 0
		.amdhsa_user_sgpr_kernarg_segment_ptr 1
		.amdhsa_user_sgpr_dispatch_id 0
		.amdhsa_user_sgpr_kernarg_preload_length 0
		.amdhsa_user_sgpr_kernarg_preload_offset 0
		.amdhsa_user_sgpr_private_segment_size 0
		.amdhsa_uses_dynamic_stack 0
		.amdhsa_enable_private_segment 0
		.amdhsa_system_sgpr_workgroup_id_x 1
		.amdhsa_system_sgpr_workgroup_id_y 1
		.amdhsa_system_sgpr_workgroup_id_z 1
		.amdhsa_system_sgpr_workgroup_info 0
		.amdhsa_system_vgpr_workitem_id 1
		.amdhsa_next_free_vgpr 52
		.amdhsa_next_free_sgpr 28
		.amdhsa_accum_offset 52
		.amdhsa_reserve_vcc 1
		.amdhsa_float_round_mode_32 0
		.amdhsa_float_round_mode_16_64 0
		.amdhsa_float_denorm_mode_32 3
		.amdhsa_float_denorm_mode_16_64 3
		.amdhsa_dx10_clamp 1
		.amdhsa_ieee_mode 1
		.amdhsa_fp16_overflow 0
		.amdhsa_tg_split 0
		.amdhsa_exception_fp_ieee_invalid_op 0
		.amdhsa_exception_fp_denorm_src 0
		.amdhsa_exception_fp_ieee_div_zero 0
		.amdhsa_exception_fp_ieee_overflow 0
		.amdhsa_exception_fp_ieee_underflow 0
		.amdhsa_exception_fp_ieee_inexact 0
		.amdhsa_exception_int_div_zero 0
	.end_amdhsa_kernel
	.section	.text._ZL29rocblas_internal_gemmt_kernelIiLi16ELi32ELi8ELc67ELc84ELc76ELb0ELb0EdPKdPKS1_PKPdEviT_T9_T10_S7_lS9_S7_lS8_T11_S7_li,"axG",@progbits,_ZL29rocblas_internal_gemmt_kernelIiLi16ELi32ELi8ELc67ELc84ELc76ELb0ELb0EdPKdPKS1_PKPdEviT_T9_T10_S7_lS9_S7_lS8_T11_S7_li,comdat
.Lfunc_end340:
	.size	_ZL29rocblas_internal_gemmt_kernelIiLi16ELi32ELi8ELc67ELc84ELc76ELb0ELb0EdPKdPKS1_PKPdEviT_T9_T10_S7_lS9_S7_lS8_T11_S7_li, .Lfunc_end340-_ZL29rocblas_internal_gemmt_kernelIiLi16ELi32ELi8ELc67ELc84ELc76ELb0ELb0EdPKdPKS1_PKPdEviT_T9_T10_S7_lS9_S7_lS8_T11_S7_li
                                        ; -- End function
	.set _ZL29rocblas_internal_gemmt_kernelIiLi16ELi32ELi8ELc67ELc84ELc76ELb0ELb0EdPKdPKS1_PKPdEviT_T9_T10_S7_lS9_S7_lS8_T11_S7_li.num_vgpr, 52
	.set _ZL29rocblas_internal_gemmt_kernelIiLi16ELi32ELi8ELc67ELc84ELc76ELb0ELb0EdPKdPKS1_PKPdEviT_T9_T10_S7_lS9_S7_lS8_T11_S7_li.num_agpr, 0
	.set _ZL29rocblas_internal_gemmt_kernelIiLi16ELi32ELi8ELc67ELc84ELc76ELb0ELb0EdPKdPKS1_PKPdEviT_T9_T10_S7_lS9_S7_lS8_T11_S7_li.numbered_sgpr, 28
	.set _ZL29rocblas_internal_gemmt_kernelIiLi16ELi32ELi8ELc67ELc84ELc76ELb0ELb0EdPKdPKS1_PKPdEviT_T9_T10_S7_lS9_S7_lS8_T11_S7_li.num_named_barrier, 0
	.set _ZL29rocblas_internal_gemmt_kernelIiLi16ELi32ELi8ELc67ELc84ELc76ELb0ELb0EdPKdPKS1_PKPdEviT_T9_T10_S7_lS9_S7_lS8_T11_S7_li.private_seg_size, 0
	.set _ZL29rocblas_internal_gemmt_kernelIiLi16ELi32ELi8ELc67ELc84ELc76ELb0ELb0EdPKdPKS1_PKPdEviT_T9_T10_S7_lS9_S7_lS8_T11_S7_li.uses_vcc, 1
	.set _ZL29rocblas_internal_gemmt_kernelIiLi16ELi32ELi8ELc67ELc84ELc76ELb0ELb0EdPKdPKS1_PKPdEviT_T9_T10_S7_lS9_S7_lS8_T11_S7_li.uses_flat_scratch, 0
	.set _ZL29rocblas_internal_gemmt_kernelIiLi16ELi32ELi8ELc67ELc84ELc76ELb0ELb0EdPKdPKS1_PKPdEviT_T9_T10_S7_lS9_S7_lS8_T11_S7_li.has_dyn_sized_stack, 0
	.set _ZL29rocblas_internal_gemmt_kernelIiLi16ELi32ELi8ELc67ELc84ELc76ELb0ELb0EdPKdPKS1_PKPdEviT_T9_T10_S7_lS9_S7_lS8_T11_S7_li.has_recursion, 0
	.set _ZL29rocblas_internal_gemmt_kernelIiLi16ELi32ELi8ELc67ELc84ELc76ELb0ELb0EdPKdPKS1_PKPdEviT_T9_T10_S7_lS9_S7_lS8_T11_S7_li.has_indirect_call, 0
	.section	.AMDGPU.csdata,"",@progbits
; Kernel info:
; codeLenInByte = 1320
; TotalNumSgprs: 34
; NumVgprs: 52
; NumAgprs: 0
; TotalNumVgprs: 52
; ScratchSize: 0
; MemoryBound: 0
; FloatMode: 240
; IeeeMode: 1
; LDSByteSize: 4096 bytes/workgroup (compile time only)
; SGPRBlocks: 4
; VGPRBlocks: 6
; NumSGPRsForWavesPerEU: 34
; NumVGPRsForWavesPerEU: 52
; AccumOffset: 52
; Occupancy: 8
; WaveLimiterHint : 1
; COMPUTE_PGM_RSRC2:SCRATCH_EN: 0
; COMPUTE_PGM_RSRC2:USER_SGPR: 2
; COMPUTE_PGM_RSRC2:TRAP_HANDLER: 0
; COMPUTE_PGM_RSRC2:TGID_X_EN: 1
; COMPUTE_PGM_RSRC2:TGID_Y_EN: 1
; COMPUTE_PGM_RSRC2:TGID_Z_EN: 1
; COMPUTE_PGM_RSRC2:TIDIG_COMP_CNT: 1
; COMPUTE_PGM_RSRC3_GFX90A:ACCUM_OFFSET: 12
; COMPUTE_PGM_RSRC3_GFX90A:TG_SPLIT: 0
	.section	.text._ZL29rocblas_internal_gemmt_kernelIiLi16ELi32ELi8ELc67ELc67ELc76ELb0ELb0EdPKdPKS1_PKPdEviT_T9_T10_S7_lS9_S7_lS8_T11_S7_li,"axG",@progbits,_ZL29rocblas_internal_gemmt_kernelIiLi16ELi32ELi8ELc67ELc67ELc76ELb0ELb0EdPKdPKS1_PKPdEviT_T9_T10_S7_lS9_S7_lS8_T11_S7_li,comdat
	.globl	_ZL29rocblas_internal_gemmt_kernelIiLi16ELi32ELi8ELc67ELc67ELc76ELb0ELb0EdPKdPKS1_PKPdEviT_T9_T10_S7_lS9_S7_lS8_T11_S7_li ; -- Begin function _ZL29rocblas_internal_gemmt_kernelIiLi16ELi32ELi8ELc67ELc67ELc76ELb0ELb0EdPKdPKS1_PKPdEviT_T9_T10_S7_lS9_S7_lS8_T11_S7_li
	.p2align	8
	.type	_ZL29rocblas_internal_gemmt_kernelIiLi16ELi32ELi8ELc67ELc67ELc76ELb0ELb0EdPKdPKS1_PKPdEviT_T9_T10_S7_lS9_S7_lS8_T11_S7_li,@function
_ZL29rocblas_internal_gemmt_kernelIiLi16ELi32ELi8ELc67ELc67ELc76ELb0ELb0EdPKdPKS1_PKPdEviT_T9_T10_S7_lS9_S7_lS8_T11_S7_li: ; @_ZL29rocblas_internal_gemmt_kernelIiLi16ELi32ELi8ELc67ELc67ELc76ELb0ELb0EdPKdPKS1_PKPdEviT_T9_T10_S7_lS9_S7_lS8_T11_S7_li
; %bb.0:
	s_load_dwordx4 s[8:11], s[0:1], 0x38
	s_load_dwordx4 s[12:15], s[0:1], 0x8
	s_waitcnt lgkmcnt(0)
	s_load_dwordx2 s[16:17], s[10:11], 0x0
	s_load_dwordx2 s[20:21], s[0:1], 0x0
	;; [unrolled: 1-line block ×3, first 2 shown]
	s_waitcnt lgkmcnt(0)
	v_cmp_neq_f64_e64 s[6:7], s[16:17], 1.0
	s_and_b64 vcc, exec, s[6:7]
	s_cbranch_vccnz .LBB341_2
; %bb.1:
	s_cmp_lg_u32 s21, 0
	s_cselect_b64 s[6:7], -1, 0
	v_cmp_neq_f64_e64 s[10:11], s[18:19], 0
	s_and_b64 s[6:7], s[6:7], s[10:11]
.LBB341_2:
	s_andn2_b64 vcc, exec, s[6:7]
	s_cbranch_vccnz .LBB341_26
; %bb.3:
	s_load_dwordx2 s[10:11], s[0:1], 0x48
	s_mov_b32 s5, 0
	s_lshl_b64 s[6:7], s[4:5], 3
	v_and_b32_e32 v12, 0x3ff, v0
	v_bfe_u32 v13, v0, 10, 10
	s_waitcnt lgkmcnt(0)
	s_add_u32 s10, s10, s6
	s_addc_u32 s11, s11, s7
	s_load_dwordx2 s[10:11], s[10:11], 0x0
	s_lshl_b32 s4, s2, 5
	s_lshl_b32 s12, s3, 5
	s_cmp_lt_i32 s21, 1
	v_cmp_eq_f64_e64 s[2:3], s[18:19], 0
	s_cselect_b64 s[22:23], -1, 0
	s_or_b64 s[2:3], s[2:3], s[22:23]
	v_mov_b64_e32 v[6:7], 0
	s_and_b64 vcc, exec, s[2:3]
	v_mov_b64_e32 v[4:5], 0
	v_mov_b64_e32 v[2:3], 0
	;; [unrolled: 1-line block ×3, first 2 shown]
	s_cbranch_vccnz .LBB341_10
; %bb.4:
	s_load_dword s13, s[0:1], 0x18
	s_load_dword s22, s[0:1], 0x30
	s_load_dwordx4 s[24:27], s[0:1], 0x20
	v_lshl_add_u32 v1, v13, 4, v12
	v_and_b32_e32 v3, 31, v1
	v_lshrrev_b32_e32 v15, 5, v1
	s_waitcnt lgkmcnt(0)
	s_ashr_i32 s23, s22, 31
	v_lshrrev_b32_e32 v2, 3, v1
	v_or_b32_e32 v1, s4, v3
	s_add_u32 s2, s26, s6
	v_and_b32_e32 v14, 7, v12
	s_addc_u32 s3, s27, s7
	v_cmp_gt_i32_e32 vcc, s20, v1
	v_lshlrev_b32_e32 v1, 3, v3
	s_load_dwordx2 s[26:27], s[2:3], 0x0
	s_add_u32 s2, s14, s6
	v_lshl_or_b32 v16, v15, 8, v1
	v_lshlrev_b32_e32 v1, 3, v14
	v_add_u32_e32 v0, s12, v2
	s_addc_u32 s3, s15, s7
	v_lshl_or_b32 v1, v2, 6, v1
	v_mov_b32_e32 v2, 0x800
	s_load_dwordx2 s[6:7], s[2:3], 0x0
	v_lshl_add_u32 v19, v13, 6, v2
	v_add_u32_e32 v2, s4, v3
	v_mad_i64_i32 v[2:3], s[14:15], s13, v2, 0
	s_lshl_b64 s[14:15], s[24:25], 3
	s_nop 0
	v_lshl_add_u64 v[2:3], v[2:3], 3, s[14:15]
	v_lshlrev_b32_e32 v4, 3, v15
	v_mov_b32_e32 v5, 0
	v_lshl_add_u64 v[2:3], v[2:3], 0, v[4:5]
	s_waitcnt lgkmcnt(0)
	v_lshl_add_u64 v[8:9], s[6:7], 0, v[2:3]
	v_mad_i64_i32 v[2:3], s[6:7], s22, v14, 0
	s_lshl_b64 s[6:7], s[8:9], 3
	v_add_u32_e32 v17, 0x800, v1
	v_ashrrev_i32_e32 v1, 31, v0
	v_lshl_add_u64 v[2:3], v[2:3], 3, s[6:7]
	v_cmp_gt_i32_e64 s[2:3], s20, v0
	v_lshl_add_u64 v[0:1], v[0:1], 3, v[2:3]
	v_lshlrev_b32_e32 v18, 3, v12
	v_lshl_add_u64 v[10:11], s[26:27], 0, v[0:1]
	s_lshl_b64 s[8:9], s[22:23], 6
	v_mov_b64_e32 v[0:1], 0
	v_mov_b64_e32 v[2:3], 0
	;; [unrolled: 1-line block ×4, first 2 shown]
	s_branch .LBB341_6
.LBB341_5:                              ;   in Loop: Header=BB341_6 Depth=1
	s_or_b64 exec, exec, s[6:7]
	s_waitcnt vmcnt(0) lgkmcnt(0)
	ds_write_b64 v17, v[20:21]
	s_waitcnt lgkmcnt(0)
	s_barrier
	ds_read2_b64 v[20:23], v18 offset1:16
	ds_read_b128 v[24:27], v19
	ds_read_b128 v[28:31], v19 offset:16
	ds_read_b128 v[32:35], v19 offset:32
	;; [unrolled: 1-line block ×4, first 2 shown]
	ds_read2_b64 v[44:47], v18 offset0:32 offset1:48
	s_waitcnt lgkmcnt(5)
	v_fmac_f64_e32 v[6:7], v[20:21], v[24:25]
	v_fmac_f64_e32 v[4:5], v[22:23], v[24:25]
	ds_read_b128 v[48:51], v19 offset:1040
	s_waitcnt lgkmcnt(2)
	v_fmac_f64_e32 v[2:3], v[20:21], v[40:41]
	v_fmac_f64_e32 v[0:1], v[22:23], v[40:41]
	ds_read2_b64 v[20:23], v18 offset0:64 offset1:80
	s_waitcnt lgkmcnt(2)
	v_fmac_f64_e32 v[6:7], v[44:45], v[26:27]
	v_fmac_f64_e32 v[4:5], v[46:47], v[26:27]
	ds_read2_b64 v[24:27], v18 offset0:96 offset1:112
	v_fmac_f64_e32 v[2:3], v[44:45], v[42:43]
	v_fmac_f64_e32 v[0:1], v[46:47], v[42:43]
	s_waitcnt lgkmcnt(1)
	v_fmac_f64_e32 v[6:7], v[20:21], v[28:29]
	v_fmac_f64_e32 v[4:5], v[22:23], v[28:29]
	ds_read_b128 v[40:43], v19 offset:1072
	v_fmac_f64_e32 v[2:3], v[20:21], v[48:49]
	v_fmac_f64_e32 v[0:1], v[22:23], v[48:49]
	s_waitcnt lgkmcnt(1)
	v_fmac_f64_e32 v[6:7], v[24:25], v[30:31]
	ds_read2_b64 v[20:23], v18 offset0:128 offset1:144
	v_fmac_f64_e32 v[4:5], v[26:27], v[30:31]
	v_fmac_f64_e32 v[2:3], v[24:25], v[50:51]
	;; [unrolled: 1-line block ×3, first 2 shown]
	ds_read_b128 v[24:27], v19 offset:1056
	ds_read2_b64 v[28:31], v18 offset0:160 offset1:176
	s_waitcnt lgkmcnt(2)
	v_fmac_f64_e32 v[6:7], v[20:21], v[32:33]
	v_fmac_f64_e32 v[4:5], v[22:23], v[32:33]
	s_add_i32 s5, s5, 8
	s_waitcnt lgkmcnt(1)
	v_fmac_f64_e32 v[2:3], v[20:21], v[24:25]
	v_fmac_f64_e32 v[0:1], v[22:23], v[24:25]
	ds_read2_b64 v[20:23], v18 offset0:192 offset1:208
	s_waitcnt lgkmcnt(1)
	v_fmac_f64_e32 v[2:3], v[28:29], v[26:27]
	v_fmac_f64_e32 v[0:1], v[30:31], v[26:27]
	ds_read2_b64 v[24:27], v18 offset0:224 offset1:240
	v_fmac_f64_e32 v[6:7], v[28:29], v[34:35]
	v_fmac_f64_e32 v[4:5], v[30:31], v[34:35]
	s_waitcnt lgkmcnt(1)
	v_fmac_f64_e32 v[6:7], v[20:21], v[36:37]
	v_fmac_f64_e32 v[4:5], v[22:23], v[36:37]
	;; [unrolled: 1-line block ×4, first 2 shown]
	s_waitcnt lgkmcnt(0)
	v_fmac_f64_e32 v[6:7], v[24:25], v[38:39]
	v_fmac_f64_e32 v[4:5], v[26:27], v[38:39]
	;; [unrolled: 1-line block ×4, first 2 shown]
	v_lshl_add_u64 v[8:9], v[8:9], 0, 64
	s_cmp_lt_i32 s5, s21
	v_lshl_add_u64 v[10:11], v[10:11], 0, s[8:9]
	s_barrier
	s_cbranch_scc0 .LBB341_10
.LBB341_6:                              ; =>This Inner Loop Header: Depth=1
	v_add_u32_e32 v20, s5, v15
	v_cmp_gt_i32_e64 s[6:7], s21, v20
	s_and_b64 s[14:15], vcc, s[6:7]
	v_mov_b64_e32 v[20:21], 0
	s_and_saveexec_b64 s[6:7], s[14:15]
	s_cbranch_execz .LBB341_8
; %bb.7:                                ;   in Loop: Header=BB341_6 Depth=1
	flat_load_dwordx2 v[20:21], v[8:9]
.LBB341_8:                              ;   in Loop: Header=BB341_6 Depth=1
	s_or_b64 exec, exec, s[6:7]
	s_waitcnt vmcnt(0) lgkmcnt(0)
	ds_write_b64 v16, v[20:21]
	v_add_u32_e32 v20, s5, v14
	v_cmp_gt_i32_e64 s[6:7], s21, v20
	s_and_b64 s[14:15], s[6:7], s[2:3]
	v_mov_b64_e32 v[20:21], 0
	s_and_saveexec_b64 s[6:7], s[14:15]
	s_cbranch_execz .LBB341_5
; %bb.9:                                ;   in Loop: Header=BB341_6 Depth=1
	flat_load_dwordx2 v[20:21], v[10:11]
	s_branch .LBB341_5
.LBB341_10:
	s_load_dwordx2 s[2:3], s[0:1], 0x58
	s_load_dword s13, s[0:1], 0x50
	v_add_u32_e32 v14, s12, v13
	v_add_u32_e32 v8, s4, v12
	v_cmp_le_i32_e32 vcc, v14, v8
	s_waitcnt lgkmcnt(0)
	s_lshl_b64 s[0:1], s[2:3], 3
	s_add_u32 s6, s10, s0
	s_addc_u32 s7, s11, s1
	v_mad_i64_i32 v[10:11], s[0:1], v14, s13, 0
	v_cmp_neq_f64_e64 s[0:1], s[16:17], 0
	v_cmp_gt_i32_e64 s[2:3], s20, v8
	v_lshl_add_u64 v[10:11], v[10:11], 3, s[6:7]
	v_cndmask_b32_e64 v12, 0, 1, s[0:1]
	s_and_b64 s[8:9], vcc, s[2:3]
	v_ashrrev_i32_e32 v9, 31, v8
	v_cmp_ne_u32_e64 s[0:1], 1, v12
	s_and_saveexec_b64 s[4:5], s[8:9]
	s_cbranch_execz .LBB341_14
; %bb.11:
	v_mul_f64 v[6:7], s[18:19], v[6:7]
	s_and_b64 vcc, exec, s[0:1]
	v_lshl_add_u64 v[12:13], v[8:9], 3, v[10:11]
	s_cbranch_vccnz .LBB341_13
; %bb.12:
	flat_load_dwordx2 v[16:17], v[12:13]
	s_waitcnt vmcnt(0) lgkmcnt(0)
	v_fmac_f64_e32 v[6:7], s[16:17], v[16:17]
.LBB341_13:
	flat_store_dwordx2 v[12:13], v[6:7]
.LBB341_14:
	s_or_b64 exec, exec, s[4:5]
	v_add_u32_e32 v6, 16, v8
	v_cmp_le_i32_e32 vcc, v14, v6
	v_cmp_gt_i32_e64 s[4:5], s20, v6
	s_and_b64 s[10:11], vcc, s[4:5]
	v_ashrrev_i32_e32 v7, 31, v6
	s_and_saveexec_b64 s[8:9], s[10:11]
	s_cbranch_execz .LBB341_18
; %bb.15:
	v_mul_f64 v[4:5], s[18:19], v[4:5]
	s_and_b64 vcc, exec, s[0:1]
	v_lshl_add_u64 v[10:11], v[6:7], 3, v[10:11]
	s_cbranch_vccnz .LBB341_17
; %bb.16:
	flat_load_dwordx2 v[12:13], v[10:11]
	s_waitcnt vmcnt(0) lgkmcnt(0)
	v_fmac_f64_e32 v[4:5], s[16:17], v[12:13]
.LBB341_17:
	flat_store_dwordx2 v[10:11], v[4:5]
.LBB341_18:
	s_or_b64 exec, exec, s[8:9]
	v_add_u32_e32 v10, 16, v14
	v_mad_i64_i32 v[4:5], s[8:9], v10, s13, 0
	v_cmp_le_i32_e32 vcc, v10, v8
	v_lshl_add_u64 v[4:5], v[4:5], 3, s[6:7]
	s_and_b64 s[6:7], vcc, s[2:3]
	s_and_saveexec_b64 s[2:3], s[6:7]
	s_cbranch_execz .LBB341_22
; %bb.19:
	v_mul_f64 v[2:3], s[18:19], v[2:3]
	s_and_b64 vcc, exec, s[0:1]
	v_lshl_add_u64 v[8:9], v[8:9], 3, v[4:5]
	s_cbranch_vccnz .LBB341_21
; %bb.20:
	flat_load_dwordx2 v[12:13], v[8:9]
	s_waitcnt vmcnt(0) lgkmcnt(0)
	v_fmac_f64_e32 v[2:3], s[16:17], v[12:13]
.LBB341_21:
	flat_store_dwordx2 v[8:9], v[2:3]
.LBB341_22:
	s_or_b64 exec, exec, s[2:3]
	v_cmp_le_i32_e32 vcc, v10, v6
	s_and_b64 s[2:3], vcc, s[4:5]
	s_and_saveexec_b64 s[4:5], s[2:3]
	s_cbranch_execz .LBB341_26
; %bb.23:
	v_mul_f64 v[0:1], s[18:19], v[0:1]
	s_and_b64 vcc, exec, s[0:1]
	v_lshl_add_u64 v[2:3], v[6:7], 3, v[4:5]
	s_cbranch_vccnz .LBB341_25
; %bb.24:
	flat_load_dwordx2 v[4:5], v[2:3]
	s_waitcnt vmcnt(0) lgkmcnt(0)
	v_fmac_f64_e32 v[0:1], s[16:17], v[4:5]
.LBB341_25:
	flat_store_dwordx2 v[2:3], v[0:1]
.LBB341_26:
	s_endpgm
	.section	.rodata,"a",@progbits
	.p2align	6, 0x0
	.amdhsa_kernel _ZL29rocblas_internal_gemmt_kernelIiLi16ELi32ELi8ELc67ELc67ELc76ELb0ELb0EdPKdPKS1_PKPdEviT_T9_T10_S7_lS9_S7_lS8_T11_S7_li
		.amdhsa_group_segment_fixed_size 4096
		.amdhsa_private_segment_fixed_size 0
		.amdhsa_kernarg_size 100
		.amdhsa_user_sgpr_count 2
		.amdhsa_user_sgpr_dispatch_ptr 0
		.amdhsa_user_sgpr_queue_ptr 0
		.amdhsa_user_sgpr_kernarg_segment_ptr 1
		.amdhsa_user_sgpr_dispatch_id 0
		.amdhsa_user_sgpr_kernarg_preload_length 0
		.amdhsa_user_sgpr_kernarg_preload_offset 0
		.amdhsa_user_sgpr_private_segment_size 0
		.amdhsa_uses_dynamic_stack 0
		.amdhsa_enable_private_segment 0
		.amdhsa_system_sgpr_workgroup_id_x 1
		.amdhsa_system_sgpr_workgroup_id_y 1
		.amdhsa_system_sgpr_workgroup_id_z 1
		.amdhsa_system_sgpr_workgroup_info 0
		.amdhsa_system_vgpr_workitem_id 1
		.amdhsa_next_free_vgpr 52
		.amdhsa_next_free_sgpr 28
		.amdhsa_accum_offset 52
		.amdhsa_reserve_vcc 1
		.amdhsa_float_round_mode_32 0
		.amdhsa_float_round_mode_16_64 0
		.amdhsa_float_denorm_mode_32 3
		.amdhsa_float_denorm_mode_16_64 3
		.amdhsa_dx10_clamp 1
		.amdhsa_ieee_mode 1
		.amdhsa_fp16_overflow 0
		.amdhsa_tg_split 0
		.amdhsa_exception_fp_ieee_invalid_op 0
		.amdhsa_exception_fp_denorm_src 0
		.amdhsa_exception_fp_ieee_div_zero 0
		.amdhsa_exception_fp_ieee_overflow 0
		.amdhsa_exception_fp_ieee_underflow 0
		.amdhsa_exception_fp_ieee_inexact 0
		.amdhsa_exception_int_div_zero 0
	.end_amdhsa_kernel
	.section	.text._ZL29rocblas_internal_gemmt_kernelIiLi16ELi32ELi8ELc67ELc67ELc76ELb0ELb0EdPKdPKS1_PKPdEviT_T9_T10_S7_lS9_S7_lS8_T11_S7_li,"axG",@progbits,_ZL29rocblas_internal_gemmt_kernelIiLi16ELi32ELi8ELc67ELc67ELc76ELb0ELb0EdPKdPKS1_PKPdEviT_T9_T10_S7_lS9_S7_lS8_T11_S7_li,comdat
.Lfunc_end341:
	.size	_ZL29rocblas_internal_gemmt_kernelIiLi16ELi32ELi8ELc67ELc67ELc76ELb0ELb0EdPKdPKS1_PKPdEviT_T9_T10_S7_lS9_S7_lS8_T11_S7_li, .Lfunc_end341-_ZL29rocblas_internal_gemmt_kernelIiLi16ELi32ELi8ELc67ELc67ELc76ELb0ELb0EdPKdPKS1_PKPdEviT_T9_T10_S7_lS9_S7_lS8_T11_S7_li
                                        ; -- End function
	.set _ZL29rocblas_internal_gemmt_kernelIiLi16ELi32ELi8ELc67ELc67ELc76ELb0ELb0EdPKdPKS1_PKPdEviT_T9_T10_S7_lS9_S7_lS8_T11_S7_li.num_vgpr, 52
	.set _ZL29rocblas_internal_gemmt_kernelIiLi16ELi32ELi8ELc67ELc67ELc76ELb0ELb0EdPKdPKS1_PKPdEviT_T9_T10_S7_lS9_S7_lS8_T11_S7_li.num_agpr, 0
	.set _ZL29rocblas_internal_gemmt_kernelIiLi16ELi32ELi8ELc67ELc67ELc76ELb0ELb0EdPKdPKS1_PKPdEviT_T9_T10_S7_lS9_S7_lS8_T11_S7_li.numbered_sgpr, 28
	.set _ZL29rocblas_internal_gemmt_kernelIiLi16ELi32ELi8ELc67ELc67ELc76ELb0ELb0EdPKdPKS1_PKPdEviT_T9_T10_S7_lS9_S7_lS8_T11_S7_li.num_named_barrier, 0
	.set _ZL29rocblas_internal_gemmt_kernelIiLi16ELi32ELi8ELc67ELc67ELc76ELb0ELb0EdPKdPKS1_PKPdEviT_T9_T10_S7_lS9_S7_lS8_T11_S7_li.private_seg_size, 0
	.set _ZL29rocblas_internal_gemmt_kernelIiLi16ELi32ELi8ELc67ELc67ELc76ELb0ELb0EdPKdPKS1_PKPdEviT_T9_T10_S7_lS9_S7_lS8_T11_S7_li.uses_vcc, 1
	.set _ZL29rocblas_internal_gemmt_kernelIiLi16ELi32ELi8ELc67ELc67ELc76ELb0ELb0EdPKdPKS1_PKPdEviT_T9_T10_S7_lS9_S7_lS8_T11_S7_li.uses_flat_scratch, 0
	.set _ZL29rocblas_internal_gemmt_kernelIiLi16ELi32ELi8ELc67ELc67ELc76ELb0ELb0EdPKdPKS1_PKPdEviT_T9_T10_S7_lS9_S7_lS8_T11_S7_li.has_dyn_sized_stack, 0
	.set _ZL29rocblas_internal_gemmt_kernelIiLi16ELi32ELi8ELc67ELc67ELc76ELb0ELb0EdPKdPKS1_PKPdEviT_T9_T10_S7_lS9_S7_lS8_T11_S7_li.has_recursion, 0
	.set _ZL29rocblas_internal_gemmt_kernelIiLi16ELi32ELi8ELc67ELc67ELc76ELb0ELb0EdPKdPKS1_PKPdEviT_T9_T10_S7_lS9_S7_lS8_T11_S7_li.has_indirect_call, 0
	.section	.AMDGPU.csdata,"",@progbits
; Kernel info:
; codeLenInByte = 1320
; TotalNumSgprs: 34
; NumVgprs: 52
; NumAgprs: 0
; TotalNumVgprs: 52
; ScratchSize: 0
; MemoryBound: 0
; FloatMode: 240
; IeeeMode: 1
; LDSByteSize: 4096 bytes/workgroup (compile time only)
; SGPRBlocks: 4
; VGPRBlocks: 6
; NumSGPRsForWavesPerEU: 34
; NumVGPRsForWavesPerEU: 52
; AccumOffset: 52
; Occupancy: 8
; WaveLimiterHint : 1
; COMPUTE_PGM_RSRC2:SCRATCH_EN: 0
; COMPUTE_PGM_RSRC2:USER_SGPR: 2
; COMPUTE_PGM_RSRC2:TRAP_HANDLER: 0
; COMPUTE_PGM_RSRC2:TGID_X_EN: 1
; COMPUTE_PGM_RSRC2:TGID_Y_EN: 1
; COMPUTE_PGM_RSRC2:TGID_Z_EN: 1
; COMPUTE_PGM_RSRC2:TIDIG_COMP_CNT: 1
; COMPUTE_PGM_RSRC3_GFX90A:ACCUM_OFFSET: 12
; COMPUTE_PGM_RSRC3_GFX90A:TG_SPLIT: 0
	.section	.text._ZL29rocblas_internal_gemmt_kernelIiLi16ELi32ELi8ELc78ELc78ELc85ELb0ELb0EddPKPKdPKPdEviT_T9_T10_S7_lS9_S7_lS8_T11_S7_li,"axG",@progbits,_ZL29rocblas_internal_gemmt_kernelIiLi16ELi32ELi8ELc78ELc78ELc85ELb0ELb0EddPKPKdPKPdEviT_T9_T10_S7_lS9_S7_lS8_T11_S7_li,comdat
	.globl	_ZL29rocblas_internal_gemmt_kernelIiLi16ELi32ELi8ELc78ELc78ELc85ELb0ELb0EddPKPKdPKPdEviT_T9_T10_S7_lS9_S7_lS8_T11_S7_li ; -- Begin function _ZL29rocblas_internal_gemmt_kernelIiLi16ELi32ELi8ELc78ELc78ELc85ELb0ELb0EddPKPKdPKPdEviT_T9_T10_S7_lS9_S7_lS8_T11_S7_li
	.p2align	8
	.type	_ZL29rocblas_internal_gemmt_kernelIiLi16ELi32ELi8ELc78ELc78ELc85ELb0ELb0EddPKPKdPKPdEviT_T9_T10_S7_lS9_S7_lS8_T11_S7_li,@function
_ZL29rocblas_internal_gemmt_kernelIiLi16ELi32ELi8ELc78ELc78ELc85ELb0ELb0EddPKPKdPKPdEviT_T9_T10_S7_lS9_S7_lS8_T11_S7_li: ; @_ZL29rocblas_internal_gemmt_kernelIiLi16ELi32ELi8ELc78ELc78ELc85ELb0ELb0EddPKPKdPKPdEviT_T9_T10_S7_lS9_S7_lS8_T11_S7_li
; %bb.0:
	s_load_dwordx4 s[8:11], s[0:1], 0x38
	s_load_dwordx2 s[16:17], s[0:1], 0x0
	s_load_dwordx4 s[12:15], s[0:1], 0x8
	s_waitcnt lgkmcnt(0)
	v_cmp_neq_f64_e64 s[6:7], s[10:11], 1.0
	s_and_b64 vcc, exec, s[6:7]
	s_cbranch_vccnz .LBB342_2
; %bb.1:
	s_cmp_lg_u32 s17, 0
	s_cselect_b64 s[6:7], -1, 0
	v_cmp_neq_f64_e64 s[18:19], s[12:13], 0
	s_and_b64 s[6:7], s[6:7], s[18:19]
.LBB342_2:
	s_andn2_b64 vcc, exec, s[6:7]
	s_cbranch_vccnz .LBB342_26
; %bb.3:
	s_load_dwordx2 s[18:19], s[0:1], 0x48
	s_mov_b32 s5, 0
	s_lshl_b64 s[6:7], s[4:5], 3
	v_and_b32_e32 v12, 0x3ff, v0
	v_bfe_u32 v13, v0, 10, 10
	s_waitcnt lgkmcnt(0)
	s_add_u32 s18, s18, s6
	s_addc_u32 s19, s19, s7
	s_load_dwordx2 s[18:19], s[18:19], 0x0
	s_lshl_b32 s4, s2, 5
	s_lshl_b32 s20, s3, 5
	s_cmp_lt_i32 s17, 1
	v_cmp_eq_f64_e64 s[2:3], s[12:13], 0
	s_cselect_b64 s[22:23], -1, 0
	s_or_b64 s[2:3], s[2:3], s[22:23]
	v_mov_b64_e32 v[6:7], 0
	s_and_b64 vcc, exec, s[2:3]
	v_mov_b64_e32 v[4:5], 0
	v_mov_b64_e32 v[2:3], 0
	;; [unrolled: 1-line block ×3, first 2 shown]
	s_cbranch_vccnz .LBB342_10
; %bb.4:
	s_load_dword s22, s[0:1], 0x18
	s_load_dwordx4 s[24:27], s[0:1], 0x20
	s_load_dword s21, s[0:1], 0x30
	v_lshl_add_u32 v0, v13, 4, v12
	v_lshrrev_b32_e32 v15, 5, v0
	v_and_b32_e32 v4, 31, v0
	s_waitcnt lgkmcnt(0)
	s_ashr_i32 s23, s22, 31
	s_add_u32 s2, s26, s6
	s_addc_u32 s3, s27, s7
	s_load_dwordx2 s[26:27], s[2:3], 0x0
	s_add_u32 s2, s14, s6
	s_addc_u32 s3, s15, s7
	s_load_dwordx2 s[6:7], s[2:3], 0x0
	v_lshrrev_b32_e32 v1, 3, v0
	v_or_b32_e32 v0, s4, v4
	v_mad_i64_i32 v[2:3], s[14:15], v15, s22, 0
	v_cmp_gt_i32_e32 vcc, s16, v0
	v_lshlrev_b32_e32 v0, 3, v4
	s_lshl_b64 s[14:15], s[24:25], 3
	v_add_u32_e32 v4, s4, v4
	v_and_b32_e32 v14, 7, v12
	v_lshl_add_u64 v[2:3], v[2:3], 3, s[14:15]
	v_ashrrev_i32_e32 v5, 31, v4
	v_add_u32_e32 v6, s20, v1
	v_lshl_or_b32 v16, v15, 8, v0
	v_lshlrev_b32_e32 v0, 3, v14
	v_lshl_add_u64 v[2:3], v[4:5], 3, v[2:3]
	v_lshl_or_b32 v1, v1, 6, v0
	s_waitcnt lgkmcnt(0)
	v_lshl_add_u64 v[8:9], s[6:7], 0, v[2:3]
	v_mad_i64_i32 v[2:3], s[6:7], s21, v6, 0
	v_add_u32_e32 v17, 0x800, v1
	v_mov_b32_e32 v1, 0x800
	s_lshl_b64 s[6:7], s[8:9], 3
	v_lshl_add_u32 v19, v13, 6, v1
	v_lshl_add_u64 v[2:3], v[2:3], 3, s[6:7]
	v_mov_b32_e32 v1, 0
	v_lshl_add_u64 v[0:1], v[2:3], 0, v[0:1]
	v_cmp_gt_i32_e64 s[2:3], s16, v6
	v_lshlrev_b32_e32 v18, 3, v12
	s_lshl_b64 s[14:15], s[22:23], 6
	v_lshl_add_u64 v[10:11], s[26:27], 0, v[0:1]
	v_mov_b64_e32 v[0:1], 0
	v_mov_b64_e32 v[2:3], 0
	;; [unrolled: 1-line block ×4, first 2 shown]
	s_branch .LBB342_6
.LBB342_5:                              ;   in Loop: Header=BB342_6 Depth=1
	s_or_b64 exec, exec, s[6:7]
	s_waitcnt vmcnt(0) lgkmcnt(0)
	ds_write_b64 v17, v[20:21]
	s_waitcnt lgkmcnt(0)
	s_barrier
	ds_read2_b64 v[20:23], v18 offset1:16
	ds_read_b128 v[24:27], v19
	ds_read_b128 v[28:31], v19 offset:16
	ds_read_b128 v[32:35], v19 offset:32
	;; [unrolled: 1-line block ×4, first 2 shown]
	ds_read2_b64 v[44:47], v18 offset0:32 offset1:48
	s_waitcnt lgkmcnt(5)
	v_fmac_f64_e32 v[6:7], v[20:21], v[24:25]
	v_fmac_f64_e32 v[4:5], v[22:23], v[24:25]
	ds_read_b128 v[48:51], v19 offset:1040
	s_waitcnt lgkmcnt(2)
	v_fmac_f64_e32 v[2:3], v[20:21], v[40:41]
	v_fmac_f64_e32 v[0:1], v[22:23], v[40:41]
	ds_read2_b64 v[20:23], v18 offset0:64 offset1:80
	s_waitcnt lgkmcnt(2)
	v_fmac_f64_e32 v[6:7], v[44:45], v[26:27]
	v_fmac_f64_e32 v[4:5], v[46:47], v[26:27]
	ds_read2_b64 v[24:27], v18 offset0:96 offset1:112
	v_fmac_f64_e32 v[2:3], v[44:45], v[42:43]
	v_fmac_f64_e32 v[0:1], v[46:47], v[42:43]
	s_waitcnt lgkmcnt(1)
	v_fmac_f64_e32 v[6:7], v[20:21], v[28:29]
	v_fmac_f64_e32 v[4:5], v[22:23], v[28:29]
	ds_read_b128 v[40:43], v19 offset:1072
	v_fmac_f64_e32 v[2:3], v[20:21], v[48:49]
	v_fmac_f64_e32 v[0:1], v[22:23], v[48:49]
	s_waitcnt lgkmcnt(1)
	v_fmac_f64_e32 v[6:7], v[24:25], v[30:31]
	ds_read2_b64 v[20:23], v18 offset0:128 offset1:144
	v_fmac_f64_e32 v[4:5], v[26:27], v[30:31]
	v_fmac_f64_e32 v[2:3], v[24:25], v[50:51]
	;; [unrolled: 1-line block ×3, first 2 shown]
	ds_read_b128 v[24:27], v19 offset:1056
	ds_read2_b64 v[28:31], v18 offset0:160 offset1:176
	s_waitcnt lgkmcnt(2)
	v_fmac_f64_e32 v[6:7], v[20:21], v[32:33]
	v_fmac_f64_e32 v[4:5], v[22:23], v[32:33]
	s_add_i32 s5, s5, 8
	s_waitcnt lgkmcnt(1)
	v_fmac_f64_e32 v[2:3], v[20:21], v[24:25]
	v_fmac_f64_e32 v[0:1], v[22:23], v[24:25]
	ds_read2_b64 v[20:23], v18 offset0:192 offset1:208
	s_waitcnt lgkmcnt(1)
	v_fmac_f64_e32 v[2:3], v[28:29], v[26:27]
	v_fmac_f64_e32 v[0:1], v[30:31], v[26:27]
	ds_read2_b64 v[24:27], v18 offset0:224 offset1:240
	v_fmac_f64_e32 v[6:7], v[28:29], v[34:35]
	v_fmac_f64_e32 v[4:5], v[30:31], v[34:35]
	s_waitcnt lgkmcnt(1)
	v_fmac_f64_e32 v[6:7], v[20:21], v[36:37]
	v_fmac_f64_e32 v[4:5], v[22:23], v[36:37]
	;; [unrolled: 1-line block ×4, first 2 shown]
	s_waitcnt lgkmcnt(0)
	v_fmac_f64_e32 v[6:7], v[24:25], v[38:39]
	v_fmac_f64_e32 v[4:5], v[26:27], v[38:39]
	;; [unrolled: 1-line block ×4, first 2 shown]
	v_lshl_add_u64 v[8:9], v[8:9], 0, s[14:15]
	s_cmp_lt_i32 s5, s17
	v_lshl_add_u64 v[10:11], v[10:11], 0, 64
	s_barrier
	s_cbranch_scc0 .LBB342_10
.LBB342_6:                              ; =>This Inner Loop Header: Depth=1
	v_add_u32_e32 v20, s5, v15
	v_cmp_gt_i32_e64 s[6:7], s17, v20
	s_and_b64 s[8:9], vcc, s[6:7]
	v_mov_b64_e32 v[20:21], 0
	s_and_saveexec_b64 s[6:7], s[8:9]
	s_cbranch_execz .LBB342_8
; %bb.7:                                ;   in Loop: Header=BB342_6 Depth=1
	flat_load_dwordx2 v[20:21], v[8:9]
.LBB342_8:                              ;   in Loop: Header=BB342_6 Depth=1
	s_or_b64 exec, exec, s[6:7]
	s_waitcnt vmcnt(0) lgkmcnt(0)
	ds_write_b64 v16, v[20:21]
	v_add_u32_e32 v20, s5, v14
	v_cmp_gt_i32_e64 s[6:7], s17, v20
	s_and_b64 s[8:9], s[6:7], s[2:3]
	v_mov_b64_e32 v[20:21], 0
	s_and_saveexec_b64 s[6:7], s[8:9]
	s_cbranch_execz .LBB342_5
; %bb.9:                                ;   in Loop: Header=BB342_6 Depth=1
	flat_load_dwordx2 v[20:21], v[10:11]
	s_branch .LBB342_5
.LBB342_10:
	s_load_dwordx2 s[6:7], s[0:1], 0x58
	s_load_dword s8, s[0:1], 0x50
	v_add_u32_e32 v8, s4, v12
	v_add_u32_e32 v14, s20, v13
	v_cmp_gt_i32_e64 s[2:3], s16, v14
	s_waitcnt lgkmcnt(0)
	s_lshl_b64 s[0:1], s[6:7], 3
	s_add_u32 s4, s18, s0
	s_addc_u32 s5, s19, s1
	v_mad_i64_i32 v[10:11], s[0:1], v14, s8, 0
	v_cmp_neq_f64_e64 s[0:1], s[10:11], 0
	v_cmp_le_i32_e32 vcc, v8, v14
	v_lshl_add_u64 v[10:11], v[10:11], 3, s[4:5]
	v_cndmask_b32_e64 v12, 0, 1, s[0:1]
	s_and_b64 s[14:15], s[2:3], vcc
	v_ashrrev_i32_e32 v9, 31, v8
	v_cmp_ne_u32_e64 s[0:1], 1, v12
	s_and_saveexec_b64 s[6:7], s[14:15]
	s_cbranch_execz .LBB342_14
; %bb.11:
	v_mul_f64 v[6:7], s[12:13], v[6:7]
	s_and_b64 vcc, exec, s[0:1]
	v_lshl_add_u64 v[12:13], v[8:9], 3, v[10:11]
	s_cbranch_vccnz .LBB342_13
; %bb.12:
	flat_load_dwordx2 v[16:17], v[12:13]
	s_waitcnt vmcnt(0) lgkmcnt(0)
	v_fmac_f64_e32 v[6:7], s[10:11], v[16:17]
.LBB342_13:
	flat_store_dwordx2 v[12:13], v[6:7]
.LBB342_14:
	s_or_b64 exec, exec, s[6:7]
	v_add_u32_e32 v6, 16, v8
	v_cmp_le_i32_e32 vcc, v6, v14
	s_and_b64 s[6:7], s[2:3], vcc
	v_ashrrev_i32_e32 v7, 31, v6
	s_and_saveexec_b64 s[2:3], s[6:7]
	s_cbranch_execz .LBB342_18
; %bb.15:
	v_mul_f64 v[4:5], s[12:13], v[4:5]
	s_and_b64 vcc, exec, s[0:1]
	v_lshl_add_u64 v[10:11], v[6:7], 3, v[10:11]
	s_cbranch_vccnz .LBB342_17
; %bb.16:
	flat_load_dwordx2 v[12:13], v[10:11]
	s_waitcnt vmcnt(0) lgkmcnt(0)
	v_fmac_f64_e32 v[4:5], s[10:11], v[12:13]
.LBB342_17:
	flat_store_dwordx2 v[10:11], v[4:5]
.LBB342_18:
	s_or_b64 exec, exec, s[2:3]
	v_add_u32_e32 v10, 16, v14
	v_cmp_gt_i32_e64 s[2:3], s16, v10
	v_mad_i64_i32 v[4:5], s[6:7], v10, s8, 0
	v_cmp_le_i32_e32 vcc, v8, v10
	v_lshl_add_u64 v[4:5], v[4:5], 3, s[4:5]
	s_and_b64 s[6:7], s[2:3], vcc
	s_and_saveexec_b64 s[4:5], s[6:7]
	s_cbranch_execz .LBB342_22
; %bb.19:
	v_mul_f64 v[2:3], s[12:13], v[2:3]
	s_and_b64 vcc, exec, s[0:1]
	v_lshl_add_u64 v[8:9], v[8:9], 3, v[4:5]
	s_cbranch_vccnz .LBB342_21
; %bb.20:
	flat_load_dwordx2 v[12:13], v[8:9]
	s_waitcnt vmcnt(0) lgkmcnt(0)
	v_fmac_f64_e32 v[2:3], s[10:11], v[12:13]
.LBB342_21:
	flat_store_dwordx2 v[8:9], v[2:3]
.LBB342_22:
	s_or_b64 exec, exec, s[4:5]
	v_cmp_le_i32_e32 vcc, v6, v10
	s_and_b64 s[2:3], s[2:3], vcc
	s_and_saveexec_b64 s[4:5], s[2:3]
	s_cbranch_execz .LBB342_26
; %bb.23:
	v_mul_f64 v[0:1], s[12:13], v[0:1]
	s_and_b64 vcc, exec, s[0:1]
	v_lshl_add_u64 v[2:3], v[6:7], 3, v[4:5]
	s_cbranch_vccnz .LBB342_25
; %bb.24:
	flat_load_dwordx2 v[4:5], v[2:3]
	s_waitcnt vmcnt(0) lgkmcnt(0)
	v_fmac_f64_e32 v[0:1], s[10:11], v[4:5]
.LBB342_25:
	flat_store_dwordx2 v[2:3], v[0:1]
.LBB342_26:
	s_endpgm
	.section	.rodata,"a",@progbits
	.p2align	6, 0x0
	.amdhsa_kernel _ZL29rocblas_internal_gemmt_kernelIiLi16ELi32ELi8ELc78ELc78ELc85ELb0ELb0EddPKPKdPKPdEviT_T9_T10_S7_lS9_S7_lS8_T11_S7_li
		.amdhsa_group_segment_fixed_size 4096
		.amdhsa_private_segment_fixed_size 0
		.amdhsa_kernarg_size 100
		.amdhsa_user_sgpr_count 2
		.amdhsa_user_sgpr_dispatch_ptr 0
		.amdhsa_user_sgpr_queue_ptr 0
		.amdhsa_user_sgpr_kernarg_segment_ptr 1
		.amdhsa_user_sgpr_dispatch_id 0
		.amdhsa_user_sgpr_kernarg_preload_length 0
		.amdhsa_user_sgpr_kernarg_preload_offset 0
		.amdhsa_user_sgpr_private_segment_size 0
		.amdhsa_uses_dynamic_stack 0
		.amdhsa_enable_private_segment 0
		.amdhsa_system_sgpr_workgroup_id_x 1
		.amdhsa_system_sgpr_workgroup_id_y 1
		.amdhsa_system_sgpr_workgroup_id_z 1
		.amdhsa_system_sgpr_workgroup_info 0
		.amdhsa_system_vgpr_workitem_id 1
		.amdhsa_next_free_vgpr 52
		.amdhsa_next_free_sgpr 28
		.amdhsa_accum_offset 52
		.amdhsa_reserve_vcc 1
		.amdhsa_float_round_mode_32 0
		.amdhsa_float_round_mode_16_64 0
		.amdhsa_float_denorm_mode_32 3
		.amdhsa_float_denorm_mode_16_64 3
		.amdhsa_dx10_clamp 1
		.amdhsa_ieee_mode 1
		.amdhsa_fp16_overflow 0
		.amdhsa_tg_split 0
		.amdhsa_exception_fp_ieee_invalid_op 0
		.amdhsa_exception_fp_denorm_src 0
		.amdhsa_exception_fp_ieee_div_zero 0
		.amdhsa_exception_fp_ieee_overflow 0
		.amdhsa_exception_fp_ieee_underflow 0
		.amdhsa_exception_fp_ieee_inexact 0
		.amdhsa_exception_int_div_zero 0
	.end_amdhsa_kernel
	.section	.text._ZL29rocblas_internal_gemmt_kernelIiLi16ELi32ELi8ELc78ELc78ELc85ELb0ELb0EddPKPKdPKPdEviT_T9_T10_S7_lS9_S7_lS8_T11_S7_li,"axG",@progbits,_ZL29rocblas_internal_gemmt_kernelIiLi16ELi32ELi8ELc78ELc78ELc85ELb0ELb0EddPKPKdPKPdEviT_T9_T10_S7_lS9_S7_lS8_T11_S7_li,comdat
.Lfunc_end342:
	.size	_ZL29rocblas_internal_gemmt_kernelIiLi16ELi32ELi8ELc78ELc78ELc85ELb0ELb0EddPKPKdPKPdEviT_T9_T10_S7_lS9_S7_lS8_T11_S7_li, .Lfunc_end342-_ZL29rocblas_internal_gemmt_kernelIiLi16ELi32ELi8ELc78ELc78ELc85ELb0ELb0EddPKPKdPKPdEviT_T9_T10_S7_lS9_S7_lS8_T11_S7_li
                                        ; -- End function
	.set _ZL29rocblas_internal_gemmt_kernelIiLi16ELi32ELi8ELc78ELc78ELc85ELb0ELb0EddPKPKdPKPdEviT_T9_T10_S7_lS9_S7_lS8_T11_S7_li.num_vgpr, 52
	.set _ZL29rocblas_internal_gemmt_kernelIiLi16ELi32ELi8ELc78ELc78ELc85ELb0ELb0EddPKPKdPKPdEviT_T9_T10_S7_lS9_S7_lS8_T11_S7_li.num_agpr, 0
	.set _ZL29rocblas_internal_gemmt_kernelIiLi16ELi32ELi8ELc78ELc78ELc85ELb0ELb0EddPKPKdPKPdEviT_T9_T10_S7_lS9_S7_lS8_T11_S7_li.numbered_sgpr, 28
	.set _ZL29rocblas_internal_gemmt_kernelIiLi16ELi32ELi8ELc78ELc78ELc85ELb0ELb0EddPKPKdPKPdEviT_T9_T10_S7_lS9_S7_lS8_T11_S7_li.num_named_barrier, 0
	.set _ZL29rocblas_internal_gemmt_kernelIiLi16ELi32ELi8ELc78ELc78ELc85ELb0ELb0EddPKPKdPKPdEviT_T9_T10_S7_lS9_S7_lS8_T11_S7_li.private_seg_size, 0
	.set _ZL29rocblas_internal_gemmt_kernelIiLi16ELi32ELi8ELc78ELc78ELc85ELb0ELb0EddPKPKdPKPdEviT_T9_T10_S7_lS9_S7_lS8_T11_S7_li.uses_vcc, 1
	.set _ZL29rocblas_internal_gemmt_kernelIiLi16ELi32ELi8ELc78ELc78ELc85ELb0ELb0EddPKPKdPKPdEviT_T9_T10_S7_lS9_S7_lS8_T11_S7_li.uses_flat_scratch, 0
	.set _ZL29rocblas_internal_gemmt_kernelIiLi16ELi32ELi8ELc78ELc78ELc85ELb0ELb0EddPKPKdPKPdEviT_T9_T10_S7_lS9_S7_lS8_T11_S7_li.has_dyn_sized_stack, 0
	.set _ZL29rocblas_internal_gemmt_kernelIiLi16ELi32ELi8ELc78ELc78ELc85ELb0ELb0EddPKPKdPKPdEviT_T9_T10_S7_lS9_S7_lS8_T11_S7_li.has_recursion, 0
	.set _ZL29rocblas_internal_gemmt_kernelIiLi16ELi32ELi8ELc78ELc78ELc85ELb0ELb0EddPKPKdPKPdEviT_T9_T10_S7_lS9_S7_lS8_T11_S7_li.has_indirect_call, 0
	.section	.AMDGPU.csdata,"",@progbits
; Kernel info:
; codeLenInByte = 1292
; TotalNumSgprs: 34
; NumVgprs: 52
; NumAgprs: 0
; TotalNumVgprs: 52
; ScratchSize: 0
; MemoryBound: 0
; FloatMode: 240
; IeeeMode: 1
; LDSByteSize: 4096 bytes/workgroup (compile time only)
; SGPRBlocks: 4
; VGPRBlocks: 6
; NumSGPRsForWavesPerEU: 34
; NumVGPRsForWavesPerEU: 52
; AccumOffset: 52
; Occupancy: 8
; WaveLimiterHint : 1
; COMPUTE_PGM_RSRC2:SCRATCH_EN: 0
; COMPUTE_PGM_RSRC2:USER_SGPR: 2
; COMPUTE_PGM_RSRC2:TRAP_HANDLER: 0
; COMPUTE_PGM_RSRC2:TGID_X_EN: 1
; COMPUTE_PGM_RSRC2:TGID_Y_EN: 1
; COMPUTE_PGM_RSRC2:TGID_Z_EN: 1
; COMPUTE_PGM_RSRC2:TIDIG_COMP_CNT: 1
; COMPUTE_PGM_RSRC3_GFX90A:ACCUM_OFFSET: 12
; COMPUTE_PGM_RSRC3_GFX90A:TG_SPLIT: 0
	.section	.text._ZL29rocblas_internal_gemmt_kernelIiLi16ELi32ELi8ELc78ELc84ELc85ELb0ELb0EddPKPKdPKPdEviT_T9_T10_S7_lS9_S7_lS8_T11_S7_li,"axG",@progbits,_ZL29rocblas_internal_gemmt_kernelIiLi16ELi32ELi8ELc78ELc84ELc85ELb0ELb0EddPKPKdPKPdEviT_T9_T10_S7_lS9_S7_lS8_T11_S7_li,comdat
	.globl	_ZL29rocblas_internal_gemmt_kernelIiLi16ELi32ELi8ELc78ELc84ELc85ELb0ELb0EddPKPKdPKPdEviT_T9_T10_S7_lS9_S7_lS8_T11_S7_li ; -- Begin function _ZL29rocblas_internal_gemmt_kernelIiLi16ELi32ELi8ELc78ELc84ELc85ELb0ELb0EddPKPKdPKPdEviT_T9_T10_S7_lS9_S7_lS8_T11_S7_li
	.p2align	8
	.type	_ZL29rocblas_internal_gemmt_kernelIiLi16ELi32ELi8ELc78ELc84ELc85ELb0ELb0EddPKPKdPKPdEviT_T9_T10_S7_lS9_S7_lS8_T11_S7_li,@function
_ZL29rocblas_internal_gemmt_kernelIiLi16ELi32ELi8ELc78ELc84ELc85ELb0ELb0EddPKPKdPKPdEviT_T9_T10_S7_lS9_S7_lS8_T11_S7_li: ; @_ZL29rocblas_internal_gemmt_kernelIiLi16ELi32ELi8ELc78ELc84ELc85ELb0ELb0EddPKPKdPKPdEviT_T9_T10_S7_lS9_S7_lS8_T11_S7_li
; %bb.0:
	s_load_dwordx4 s[8:11], s[0:1], 0x38
	s_load_dwordx2 s[16:17], s[0:1], 0x0
	s_load_dwordx4 s[12:15], s[0:1], 0x8
	s_waitcnt lgkmcnt(0)
	v_cmp_neq_f64_e64 s[6:7], s[10:11], 1.0
	s_and_b64 vcc, exec, s[6:7]
	s_cbranch_vccnz .LBB343_2
; %bb.1:
	s_cmp_lg_u32 s17, 0
	s_cselect_b64 s[6:7], -1, 0
	v_cmp_neq_f64_e64 s[18:19], s[12:13], 0
	s_and_b64 s[6:7], s[6:7], s[18:19]
.LBB343_2:
	s_andn2_b64 vcc, exec, s[6:7]
	s_cbranch_vccnz .LBB343_26
; %bb.3:
	s_load_dwordx2 s[18:19], s[0:1], 0x48
	s_mov_b32 s5, 0
	s_lshl_b64 s[6:7], s[4:5], 3
	v_and_b32_e32 v12, 0x3ff, v0
	v_bfe_u32 v13, v0, 10, 10
	s_waitcnt lgkmcnt(0)
	s_add_u32 s18, s18, s6
	s_addc_u32 s19, s19, s7
	s_load_dwordx2 s[18:19], s[18:19], 0x0
	s_lshl_b32 s4, s2, 5
	s_lshl_b32 s20, s3, 5
	s_cmp_lt_i32 s17, 1
	v_cmp_eq_f64_e64 s[2:3], s[12:13], 0
	s_cselect_b64 s[22:23], -1, 0
	s_or_b64 s[2:3], s[2:3], s[22:23]
	v_mov_b64_e32 v[6:7], 0
	s_and_b64 vcc, exec, s[2:3]
	v_mov_b64_e32 v[4:5], 0
	v_mov_b64_e32 v[2:3], 0
	;; [unrolled: 1-line block ×3, first 2 shown]
	s_cbranch_vccnz .LBB343_10
; %bb.4:
	s_load_dword s22, s[0:1], 0x18
	s_load_dwordx4 s[24:27], s[0:1], 0x20
	s_load_dword s28, s[0:1], 0x30
	v_lshl_add_u32 v1, v13, 4, v12
	v_and_b32_e32 v4, 31, v1
	s_waitcnt lgkmcnt(0)
	s_ashr_i32 s23, s22, 31
	v_lshrrev_b32_e32 v15, 5, v1
	s_ashr_i32 s29, s28, 31
	s_add_u32 s2, s26, s6
	v_lshrrev_b32_e32 v2, 3, v1
	v_or_b32_e32 v1, s4, v4
	s_addc_u32 s3, s27, s7
	v_and_b32_e32 v14, 7, v12
	s_load_dwordx2 s[26:27], s[2:3], 0x0
	s_add_u32 s2, s14, s6
	v_cmp_gt_i32_e32 vcc, s16, v1
	v_lshlrev_b32_e32 v1, 3, v4
	s_addc_u32 s3, s15, s7
	v_lshl_or_b32 v16, v15, 8, v1
	v_lshlrev_b32_e32 v1, 3, v14
	v_add_u32_e32 v0, s20, v2
	s_load_dwordx2 s[6:7], s[2:3], 0x0
	v_lshl_or_b32 v1, v2, 6, v1
	v_mov_b32_e32 v2, 0x800
	v_lshl_add_u32 v19, v13, 6, v2
	v_mad_i64_i32 v[2:3], s[14:15], v15, s22, 0
	s_lshl_b64 s[14:15], s[24:25], 3
	v_add_u32_e32 v4, s4, v4
	v_lshl_add_u64 v[2:3], v[2:3], 3, s[14:15]
	v_ashrrev_i32_e32 v5, 31, v4
	v_lshl_add_u64 v[2:3], v[4:5], 3, v[2:3]
	s_waitcnt lgkmcnt(0)
	v_lshl_add_u64 v[8:9], s[6:7], 0, v[2:3]
	v_mad_i64_i32 v[2:3], s[6:7], s28, v14, 0
	s_lshl_b64 s[6:7], s[8:9], 3
	v_add_u32_e32 v17, 0x800, v1
	v_ashrrev_i32_e32 v1, 31, v0
	v_lshl_add_u64 v[2:3], v[2:3], 3, s[6:7]
	v_cmp_gt_i32_e64 s[2:3], s16, v0
	v_lshl_add_u64 v[0:1], v[0:1], 3, v[2:3]
	v_lshlrev_b32_e32 v18, 3, v12
	s_lshl_b64 s[14:15], s[22:23], 6
	v_lshl_add_u64 v[10:11], s[26:27], 0, v[0:1]
	s_lshl_b64 s[8:9], s[28:29], 6
	v_mov_b64_e32 v[0:1], 0
	v_mov_b64_e32 v[2:3], 0
	v_mov_b64_e32 v[4:5], 0
	v_mov_b64_e32 v[6:7], 0
	s_branch .LBB343_6
.LBB343_5:                              ;   in Loop: Header=BB343_6 Depth=1
	s_or_b64 exec, exec, s[6:7]
	s_waitcnt vmcnt(0) lgkmcnt(0)
	ds_write_b64 v17, v[20:21]
	s_waitcnt lgkmcnt(0)
	s_barrier
	ds_read2_b64 v[20:23], v18 offset1:16
	ds_read_b128 v[24:27], v19
	ds_read_b128 v[28:31], v19 offset:16
	ds_read_b128 v[32:35], v19 offset:32
	;; [unrolled: 1-line block ×4, first 2 shown]
	ds_read2_b64 v[44:47], v18 offset0:32 offset1:48
	s_waitcnt lgkmcnt(5)
	v_fmac_f64_e32 v[6:7], v[20:21], v[24:25]
	v_fmac_f64_e32 v[4:5], v[22:23], v[24:25]
	ds_read_b128 v[48:51], v19 offset:1040
	s_waitcnt lgkmcnt(2)
	v_fmac_f64_e32 v[2:3], v[20:21], v[40:41]
	v_fmac_f64_e32 v[0:1], v[22:23], v[40:41]
	ds_read2_b64 v[20:23], v18 offset0:64 offset1:80
	s_waitcnt lgkmcnt(2)
	v_fmac_f64_e32 v[6:7], v[44:45], v[26:27]
	v_fmac_f64_e32 v[4:5], v[46:47], v[26:27]
	ds_read2_b64 v[24:27], v18 offset0:96 offset1:112
	v_fmac_f64_e32 v[2:3], v[44:45], v[42:43]
	v_fmac_f64_e32 v[0:1], v[46:47], v[42:43]
	s_waitcnt lgkmcnt(1)
	v_fmac_f64_e32 v[6:7], v[20:21], v[28:29]
	v_fmac_f64_e32 v[4:5], v[22:23], v[28:29]
	ds_read_b128 v[40:43], v19 offset:1072
	v_fmac_f64_e32 v[2:3], v[20:21], v[48:49]
	v_fmac_f64_e32 v[0:1], v[22:23], v[48:49]
	s_waitcnt lgkmcnt(1)
	v_fmac_f64_e32 v[6:7], v[24:25], v[30:31]
	ds_read2_b64 v[20:23], v18 offset0:128 offset1:144
	v_fmac_f64_e32 v[4:5], v[26:27], v[30:31]
	v_fmac_f64_e32 v[2:3], v[24:25], v[50:51]
	;; [unrolled: 1-line block ×3, first 2 shown]
	ds_read_b128 v[24:27], v19 offset:1056
	ds_read2_b64 v[28:31], v18 offset0:160 offset1:176
	s_waitcnt lgkmcnt(2)
	v_fmac_f64_e32 v[6:7], v[20:21], v[32:33]
	v_fmac_f64_e32 v[4:5], v[22:23], v[32:33]
	s_add_i32 s5, s5, 8
	s_waitcnt lgkmcnt(1)
	v_fmac_f64_e32 v[2:3], v[20:21], v[24:25]
	v_fmac_f64_e32 v[0:1], v[22:23], v[24:25]
	ds_read2_b64 v[20:23], v18 offset0:192 offset1:208
	s_waitcnt lgkmcnt(1)
	v_fmac_f64_e32 v[2:3], v[28:29], v[26:27]
	v_fmac_f64_e32 v[0:1], v[30:31], v[26:27]
	ds_read2_b64 v[24:27], v18 offset0:224 offset1:240
	v_fmac_f64_e32 v[6:7], v[28:29], v[34:35]
	v_fmac_f64_e32 v[4:5], v[30:31], v[34:35]
	s_waitcnt lgkmcnt(1)
	v_fmac_f64_e32 v[6:7], v[20:21], v[36:37]
	v_fmac_f64_e32 v[4:5], v[22:23], v[36:37]
	;; [unrolled: 1-line block ×4, first 2 shown]
	s_waitcnt lgkmcnt(0)
	v_fmac_f64_e32 v[6:7], v[24:25], v[38:39]
	v_fmac_f64_e32 v[4:5], v[26:27], v[38:39]
	;; [unrolled: 1-line block ×4, first 2 shown]
	v_lshl_add_u64 v[8:9], v[8:9], 0, s[14:15]
	s_cmp_lt_i32 s5, s17
	v_lshl_add_u64 v[10:11], v[10:11], 0, s[8:9]
	s_barrier
	s_cbranch_scc0 .LBB343_10
.LBB343_6:                              ; =>This Inner Loop Header: Depth=1
	v_add_u32_e32 v20, s5, v15
	v_cmp_gt_i32_e64 s[6:7], s17, v20
	s_and_b64 s[22:23], vcc, s[6:7]
	v_mov_b64_e32 v[20:21], 0
	s_and_saveexec_b64 s[6:7], s[22:23]
	s_cbranch_execz .LBB343_8
; %bb.7:                                ;   in Loop: Header=BB343_6 Depth=1
	flat_load_dwordx2 v[20:21], v[8:9]
.LBB343_8:                              ;   in Loop: Header=BB343_6 Depth=1
	s_or_b64 exec, exec, s[6:7]
	s_waitcnt vmcnt(0) lgkmcnt(0)
	ds_write_b64 v16, v[20:21]
	v_add_u32_e32 v20, s5, v14
	v_cmp_gt_i32_e64 s[6:7], s17, v20
	s_and_b64 s[22:23], s[6:7], s[2:3]
	v_mov_b64_e32 v[20:21], 0
	s_and_saveexec_b64 s[6:7], s[22:23]
	s_cbranch_execz .LBB343_5
; %bb.9:                                ;   in Loop: Header=BB343_6 Depth=1
	flat_load_dwordx2 v[20:21], v[10:11]
	s_branch .LBB343_5
.LBB343_10:
	s_load_dwordx2 s[6:7], s[0:1], 0x58
	s_load_dword s8, s[0:1], 0x50
	v_add_u32_e32 v8, s4, v12
	v_add_u32_e32 v14, s20, v13
	v_cmp_gt_i32_e64 s[2:3], s16, v14
	s_waitcnt lgkmcnt(0)
	s_lshl_b64 s[0:1], s[6:7], 3
	s_add_u32 s4, s18, s0
	s_addc_u32 s5, s19, s1
	v_mad_i64_i32 v[10:11], s[0:1], v14, s8, 0
	v_cmp_neq_f64_e64 s[0:1], s[10:11], 0
	v_cmp_le_i32_e32 vcc, v8, v14
	v_lshl_add_u64 v[10:11], v[10:11], 3, s[4:5]
	v_cndmask_b32_e64 v12, 0, 1, s[0:1]
	s_and_b64 s[14:15], s[2:3], vcc
	v_ashrrev_i32_e32 v9, 31, v8
	v_cmp_ne_u32_e64 s[0:1], 1, v12
	s_and_saveexec_b64 s[6:7], s[14:15]
	s_cbranch_execz .LBB343_14
; %bb.11:
	v_mul_f64 v[6:7], s[12:13], v[6:7]
	s_and_b64 vcc, exec, s[0:1]
	v_lshl_add_u64 v[12:13], v[8:9], 3, v[10:11]
	s_cbranch_vccnz .LBB343_13
; %bb.12:
	flat_load_dwordx2 v[16:17], v[12:13]
	s_waitcnt vmcnt(0) lgkmcnt(0)
	v_fmac_f64_e32 v[6:7], s[10:11], v[16:17]
.LBB343_13:
	flat_store_dwordx2 v[12:13], v[6:7]
.LBB343_14:
	s_or_b64 exec, exec, s[6:7]
	v_add_u32_e32 v6, 16, v8
	v_cmp_le_i32_e32 vcc, v6, v14
	s_and_b64 s[6:7], s[2:3], vcc
	v_ashrrev_i32_e32 v7, 31, v6
	s_and_saveexec_b64 s[2:3], s[6:7]
	s_cbranch_execz .LBB343_18
; %bb.15:
	v_mul_f64 v[4:5], s[12:13], v[4:5]
	s_and_b64 vcc, exec, s[0:1]
	v_lshl_add_u64 v[10:11], v[6:7], 3, v[10:11]
	s_cbranch_vccnz .LBB343_17
; %bb.16:
	flat_load_dwordx2 v[12:13], v[10:11]
	s_waitcnt vmcnt(0) lgkmcnt(0)
	v_fmac_f64_e32 v[4:5], s[10:11], v[12:13]
.LBB343_17:
	flat_store_dwordx2 v[10:11], v[4:5]
.LBB343_18:
	s_or_b64 exec, exec, s[2:3]
	v_add_u32_e32 v10, 16, v14
	v_cmp_gt_i32_e64 s[2:3], s16, v10
	v_mad_i64_i32 v[4:5], s[6:7], v10, s8, 0
	v_cmp_le_i32_e32 vcc, v8, v10
	v_lshl_add_u64 v[4:5], v[4:5], 3, s[4:5]
	s_and_b64 s[6:7], s[2:3], vcc
	s_and_saveexec_b64 s[4:5], s[6:7]
	s_cbranch_execz .LBB343_22
; %bb.19:
	v_mul_f64 v[2:3], s[12:13], v[2:3]
	s_and_b64 vcc, exec, s[0:1]
	v_lshl_add_u64 v[8:9], v[8:9], 3, v[4:5]
	s_cbranch_vccnz .LBB343_21
; %bb.20:
	flat_load_dwordx2 v[12:13], v[8:9]
	s_waitcnt vmcnt(0) lgkmcnt(0)
	v_fmac_f64_e32 v[2:3], s[10:11], v[12:13]
.LBB343_21:
	flat_store_dwordx2 v[8:9], v[2:3]
.LBB343_22:
	s_or_b64 exec, exec, s[4:5]
	v_cmp_le_i32_e32 vcc, v6, v10
	s_and_b64 s[2:3], s[2:3], vcc
	s_and_saveexec_b64 s[4:5], s[2:3]
	s_cbranch_execz .LBB343_26
; %bb.23:
	v_mul_f64 v[0:1], s[12:13], v[0:1]
	s_and_b64 vcc, exec, s[0:1]
	v_lshl_add_u64 v[2:3], v[6:7], 3, v[4:5]
	s_cbranch_vccnz .LBB343_25
; %bb.24:
	flat_load_dwordx2 v[4:5], v[2:3]
	s_waitcnt vmcnt(0) lgkmcnt(0)
	v_fmac_f64_e32 v[0:1], s[10:11], v[4:5]
.LBB343_25:
	flat_store_dwordx2 v[2:3], v[0:1]
.LBB343_26:
	s_endpgm
	.section	.rodata,"a",@progbits
	.p2align	6, 0x0
	.amdhsa_kernel _ZL29rocblas_internal_gemmt_kernelIiLi16ELi32ELi8ELc78ELc84ELc85ELb0ELb0EddPKPKdPKPdEviT_T9_T10_S7_lS9_S7_lS8_T11_S7_li
		.amdhsa_group_segment_fixed_size 4096
		.amdhsa_private_segment_fixed_size 0
		.amdhsa_kernarg_size 100
		.amdhsa_user_sgpr_count 2
		.amdhsa_user_sgpr_dispatch_ptr 0
		.amdhsa_user_sgpr_queue_ptr 0
		.amdhsa_user_sgpr_kernarg_segment_ptr 1
		.amdhsa_user_sgpr_dispatch_id 0
		.amdhsa_user_sgpr_kernarg_preload_length 0
		.amdhsa_user_sgpr_kernarg_preload_offset 0
		.amdhsa_user_sgpr_private_segment_size 0
		.amdhsa_uses_dynamic_stack 0
		.amdhsa_enable_private_segment 0
		.amdhsa_system_sgpr_workgroup_id_x 1
		.amdhsa_system_sgpr_workgroup_id_y 1
		.amdhsa_system_sgpr_workgroup_id_z 1
		.amdhsa_system_sgpr_workgroup_info 0
		.amdhsa_system_vgpr_workitem_id 1
		.amdhsa_next_free_vgpr 52
		.amdhsa_next_free_sgpr 30
		.amdhsa_accum_offset 52
		.amdhsa_reserve_vcc 1
		.amdhsa_float_round_mode_32 0
		.amdhsa_float_round_mode_16_64 0
		.amdhsa_float_denorm_mode_32 3
		.amdhsa_float_denorm_mode_16_64 3
		.amdhsa_dx10_clamp 1
		.amdhsa_ieee_mode 1
		.amdhsa_fp16_overflow 0
		.amdhsa_tg_split 0
		.amdhsa_exception_fp_ieee_invalid_op 0
		.amdhsa_exception_fp_denorm_src 0
		.amdhsa_exception_fp_ieee_div_zero 0
		.amdhsa_exception_fp_ieee_overflow 0
		.amdhsa_exception_fp_ieee_underflow 0
		.amdhsa_exception_fp_ieee_inexact 0
		.amdhsa_exception_int_div_zero 0
	.end_amdhsa_kernel
	.section	.text._ZL29rocblas_internal_gemmt_kernelIiLi16ELi32ELi8ELc78ELc84ELc85ELb0ELb0EddPKPKdPKPdEviT_T9_T10_S7_lS9_S7_lS8_T11_S7_li,"axG",@progbits,_ZL29rocblas_internal_gemmt_kernelIiLi16ELi32ELi8ELc78ELc84ELc85ELb0ELb0EddPKPKdPKPdEviT_T9_T10_S7_lS9_S7_lS8_T11_S7_li,comdat
.Lfunc_end343:
	.size	_ZL29rocblas_internal_gemmt_kernelIiLi16ELi32ELi8ELc78ELc84ELc85ELb0ELb0EddPKPKdPKPdEviT_T9_T10_S7_lS9_S7_lS8_T11_S7_li, .Lfunc_end343-_ZL29rocblas_internal_gemmt_kernelIiLi16ELi32ELi8ELc78ELc84ELc85ELb0ELb0EddPKPKdPKPdEviT_T9_T10_S7_lS9_S7_lS8_T11_S7_li
                                        ; -- End function
	.set _ZL29rocblas_internal_gemmt_kernelIiLi16ELi32ELi8ELc78ELc84ELc85ELb0ELb0EddPKPKdPKPdEviT_T9_T10_S7_lS9_S7_lS8_T11_S7_li.num_vgpr, 52
	.set _ZL29rocblas_internal_gemmt_kernelIiLi16ELi32ELi8ELc78ELc84ELc85ELb0ELb0EddPKPKdPKPdEviT_T9_T10_S7_lS9_S7_lS8_T11_S7_li.num_agpr, 0
	.set _ZL29rocblas_internal_gemmt_kernelIiLi16ELi32ELi8ELc78ELc84ELc85ELb0ELb0EddPKPKdPKPdEviT_T9_T10_S7_lS9_S7_lS8_T11_S7_li.numbered_sgpr, 30
	.set _ZL29rocblas_internal_gemmt_kernelIiLi16ELi32ELi8ELc78ELc84ELc85ELb0ELb0EddPKPKdPKPdEviT_T9_T10_S7_lS9_S7_lS8_T11_S7_li.num_named_barrier, 0
	.set _ZL29rocblas_internal_gemmt_kernelIiLi16ELi32ELi8ELc78ELc84ELc85ELb0ELb0EddPKPKdPKPdEviT_T9_T10_S7_lS9_S7_lS8_T11_S7_li.private_seg_size, 0
	.set _ZL29rocblas_internal_gemmt_kernelIiLi16ELi32ELi8ELc78ELc84ELc85ELb0ELb0EddPKPKdPKPdEviT_T9_T10_S7_lS9_S7_lS8_T11_S7_li.uses_vcc, 1
	.set _ZL29rocblas_internal_gemmt_kernelIiLi16ELi32ELi8ELc78ELc84ELc85ELb0ELb0EddPKPKdPKPdEviT_T9_T10_S7_lS9_S7_lS8_T11_S7_li.uses_flat_scratch, 0
	.set _ZL29rocblas_internal_gemmt_kernelIiLi16ELi32ELi8ELc78ELc84ELc85ELb0ELb0EddPKPKdPKPdEviT_T9_T10_S7_lS9_S7_lS8_T11_S7_li.has_dyn_sized_stack, 0
	.set _ZL29rocblas_internal_gemmt_kernelIiLi16ELi32ELi8ELc78ELc84ELc85ELb0ELb0EddPKPKdPKPdEviT_T9_T10_S7_lS9_S7_lS8_T11_S7_li.has_recursion, 0
	.set _ZL29rocblas_internal_gemmt_kernelIiLi16ELi32ELi8ELc78ELc84ELc85ELb0ELb0EddPKPKdPKPdEviT_T9_T10_S7_lS9_S7_lS8_T11_S7_li.has_indirect_call, 0
	.section	.AMDGPU.csdata,"",@progbits
; Kernel info:
; codeLenInByte = 1300
; TotalNumSgprs: 36
; NumVgprs: 52
; NumAgprs: 0
; TotalNumVgprs: 52
; ScratchSize: 0
; MemoryBound: 0
; FloatMode: 240
; IeeeMode: 1
; LDSByteSize: 4096 bytes/workgroup (compile time only)
; SGPRBlocks: 4
; VGPRBlocks: 6
; NumSGPRsForWavesPerEU: 36
; NumVGPRsForWavesPerEU: 52
; AccumOffset: 52
; Occupancy: 8
; WaveLimiterHint : 1
; COMPUTE_PGM_RSRC2:SCRATCH_EN: 0
; COMPUTE_PGM_RSRC2:USER_SGPR: 2
; COMPUTE_PGM_RSRC2:TRAP_HANDLER: 0
; COMPUTE_PGM_RSRC2:TGID_X_EN: 1
; COMPUTE_PGM_RSRC2:TGID_Y_EN: 1
; COMPUTE_PGM_RSRC2:TGID_Z_EN: 1
; COMPUTE_PGM_RSRC2:TIDIG_COMP_CNT: 1
; COMPUTE_PGM_RSRC3_GFX90A:ACCUM_OFFSET: 12
; COMPUTE_PGM_RSRC3_GFX90A:TG_SPLIT: 0
	.section	.text._ZL29rocblas_internal_gemmt_kernelIiLi16ELi32ELi8ELc78ELc67ELc85ELb0ELb0EddPKPKdPKPdEviT_T9_T10_S7_lS9_S7_lS8_T11_S7_li,"axG",@progbits,_ZL29rocblas_internal_gemmt_kernelIiLi16ELi32ELi8ELc78ELc67ELc85ELb0ELb0EddPKPKdPKPdEviT_T9_T10_S7_lS9_S7_lS8_T11_S7_li,comdat
	.globl	_ZL29rocblas_internal_gemmt_kernelIiLi16ELi32ELi8ELc78ELc67ELc85ELb0ELb0EddPKPKdPKPdEviT_T9_T10_S7_lS9_S7_lS8_T11_S7_li ; -- Begin function _ZL29rocblas_internal_gemmt_kernelIiLi16ELi32ELi8ELc78ELc67ELc85ELb0ELb0EddPKPKdPKPdEviT_T9_T10_S7_lS9_S7_lS8_T11_S7_li
	.p2align	8
	.type	_ZL29rocblas_internal_gemmt_kernelIiLi16ELi32ELi8ELc78ELc67ELc85ELb0ELb0EddPKPKdPKPdEviT_T9_T10_S7_lS9_S7_lS8_T11_S7_li,@function
_ZL29rocblas_internal_gemmt_kernelIiLi16ELi32ELi8ELc78ELc67ELc85ELb0ELb0EddPKPKdPKPdEviT_T9_T10_S7_lS9_S7_lS8_T11_S7_li: ; @_ZL29rocblas_internal_gemmt_kernelIiLi16ELi32ELi8ELc78ELc67ELc85ELb0ELb0EddPKPKdPKPdEviT_T9_T10_S7_lS9_S7_lS8_T11_S7_li
; %bb.0:
	s_load_dwordx4 s[8:11], s[0:1], 0x38
	s_load_dwordx2 s[16:17], s[0:1], 0x0
	s_load_dwordx4 s[12:15], s[0:1], 0x8
	s_waitcnt lgkmcnt(0)
	v_cmp_neq_f64_e64 s[6:7], s[10:11], 1.0
	s_and_b64 vcc, exec, s[6:7]
	s_cbranch_vccnz .LBB344_2
; %bb.1:
	s_cmp_lg_u32 s17, 0
	s_cselect_b64 s[6:7], -1, 0
	v_cmp_neq_f64_e64 s[18:19], s[12:13], 0
	s_and_b64 s[6:7], s[6:7], s[18:19]
.LBB344_2:
	s_andn2_b64 vcc, exec, s[6:7]
	s_cbranch_vccnz .LBB344_26
; %bb.3:
	s_load_dwordx2 s[18:19], s[0:1], 0x48
	s_mov_b32 s5, 0
	s_lshl_b64 s[6:7], s[4:5], 3
	v_and_b32_e32 v12, 0x3ff, v0
	v_bfe_u32 v13, v0, 10, 10
	s_waitcnt lgkmcnt(0)
	s_add_u32 s18, s18, s6
	s_addc_u32 s19, s19, s7
	s_load_dwordx2 s[18:19], s[18:19], 0x0
	s_lshl_b32 s4, s2, 5
	s_lshl_b32 s20, s3, 5
	s_cmp_lt_i32 s17, 1
	v_cmp_eq_f64_e64 s[2:3], s[12:13], 0
	s_cselect_b64 s[22:23], -1, 0
	s_or_b64 s[2:3], s[2:3], s[22:23]
	v_mov_b64_e32 v[6:7], 0
	s_and_b64 vcc, exec, s[2:3]
	v_mov_b64_e32 v[4:5], 0
	v_mov_b64_e32 v[2:3], 0
	;; [unrolled: 1-line block ×3, first 2 shown]
	s_cbranch_vccnz .LBB344_10
; %bb.4:
	s_load_dword s22, s[0:1], 0x18
	s_load_dwordx4 s[24:27], s[0:1], 0x20
	s_load_dword s28, s[0:1], 0x30
	v_lshl_add_u32 v1, v13, 4, v12
	v_and_b32_e32 v4, 31, v1
	s_waitcnt lgkmcnt(0)
	s_ashr_i32 s23, s22, 31
	v_lshrrev_b32_e32 v15, 5, v1
	s_ashr_i32 s29, s28, 31
	s_add_u32 s2, s26, s6
	v_lshrrev_b32_e32 v2, 3, v1
	v_or_b32_e32 v1, s4, v4
	s_addc_u32 s3, s27, s7
	v_and_b32_e32 v14, 7, v12
	s_load_dwordx2 s[26:27], s[2:3], 0x0
	s_add_u32 s2, s14, s6
	v_cmp_gt_i32_e32 vcc, s16, v1
	v_lshlrev_b32_e32 v1, 3, v4
	s_addc_u32 s3, s15, s7
	v_lshl_or_b32 v16, v15, 8, v1
	v_lshlrev_b32_e32 v1, 3, v14
	v_add_u32_e32 v0, s20, v2
	s_load_dwordx2 s[6:7], s[2:3], 0x0
	v_lshl_or_b32 v1, v2, 6, v1
	v_mov_b32_e32 v2, 0x800
	v_lshl_add_u32 v19, v13, 6, v2
	v_mad_i64_i32 v[2:3], s[14:15], v15, s22, 0
	s_lshl_b64 s[14:15], s[24:25], 3
	v_add_u32_e32 v4, s4, v4
	v_lshl_add_u64 v[2:3], v[2:3], 3, s[14:15]
	v_ashrrev_i32_e32 v5, 31, v4
	v_lshl_add_u64 v[2:3], v[4:5], 3, v[2:3]
	s_waitcnt lgkmcnt(0)
	v_lshl_add_u64 v[8:9], s[6:7], 0, v[2:3]
	v_mad_i64_i32 v[2:3], s[6:7], s28, v14, 0
	s_lshl_b64 s[6:7], s[8:9], 3
	v_add_u32_e32 v17, 0x800, v1
	v_ashrrev_i32_e32 v1, 31, v0
	v_lshl_add_u64 v[2:3], v[2:3], 3, s[6:7]
	v_cmp_gt_i32_e64 s[2:3], s16, v0
	v_lshl_add_u64 v[0:1], v[0:1], 3, v[2:3]
	v_lshlrev_b32_e32 v18, 3, v12
	s_lshl_b64 s[14:15], s[22:23], 6
	v_lshl_add_u64 v[10:11], s[26:27], 0, v[0:1]
	s_lshl_b64 s[8:9], s[28:29], 6
	v_mov_b64_e32 v[0:1], 0
	v_mov_b64_e32 v[2:3], 0
	;; [unrolled: 1-line block ×4, first 2 shown]
	s_branch .LBB344_6
.LBB344_5:                              ;   in Loop: Header=BB344_6 Depth=1
	s_or_b64 exec, exec, s[6:7]
	s_waitcnt vmcnt(0) lgkmcnt(0)
	ds_write_b64 v17, v[20:21]
	s_waitcnt lgkmcnt(0)
	s_barrier
	ds_read2_b64 v[20:23], v18 offset1:16
	ds_read_b128 v[24:27], v19
	ds_read_b128 v[28:31], v19 offset:16
	ds_read_b128 v[32:35], v19 offset:32
	;; [unrolled: 1-line block ×4, first 2 shown]
	ds_read2_b64 v[44:47], v18 offset0:32 offset1:48
	s_waitcnt lgkmcnt(5)
	v_fmac_f64_e32 v[6:7], v[20:21], v[24:25]
	v_fmac_f64_e32 v[4:5], v[22:23], v[24:25]
	ds_read_b128 v[48:51], v19 offset:1040
	s_waitcnt lgkmcnt(2)
	v_fmac_f64_e32 v[2:3], v[20:21], v[40:41]
	v_fmac_f64_e32 v[0:1], v[22:23], v[40:41]
	ds_read2_b64 v[20:23], v18 offset0:64 offset1:80
	s_waitcnt lgkmcnt(2)
	v_fmac_f64_e32 v[6:7], v[44:45], v[26:27]
	v_fmac_f64_e32 v[4:5], v[46:47], v[26:27]
	ds_read2_b64 v[24:27], v18 offset0:96 offset1:112
	v_fmac_f64_e32 v[2:3], v[44:45], v[42:43]
	v_fmac_f64_e32 v[0:1], v[46:47], v[42:43]
	s_waitcnt lgkmcnt(1)
	v_fmac_f64_e32 v[6:7], v[20:21], v[28:29]
	v_fmac_f64_e32 v[4:5], v[22:23], v[28:29]
	ds_read_b128 v[40:43], v19 offset:1072
	v_fmac_f64_e32 v[2:3], v[20:21], v[48:49]
	v_fmac_f64_e32 v[0:1], v[22:23], v[48:49]
	s_waitcnt lgkmcnt(1)
	v_fmac_f64_e32 v[6:7], v[24:25], v[30:31]
	ds_read2_b64 v[20:23], v18 offset0:128 offset1:144
	v_fmac_f64_e32 v[4:5], v[26:27], v[30:31]
	v_fmac_f64_e32 v[2:3], v[24:25], v[50:51]
	;; [unrolled: 1-line block ×3, first 2 shown]
	ds_read_b128 v[24:27], v19 offset:1056
	ds_read2_b64 v[28:31], v18 offset0:160 offset1:176
	s_waitcnt lgkmcnt(2)
	v_fmac_f64_e32 v[6:7], v[20:21], v[32:33]
	v_fmac_f64_e32 v[4:5], v[22:23], v[32:33]
	s_add_i32 s5, s5, 8
	s_waitcnt lgkmcnt(1)
	v_fmac_f64_e32 v[2:3], v[20:21], v[24:25]
	v_fmac_f64_e32 v[0:1], v[22:23], v[24:25]
	ds_read2_b64 v[20:23], v18 offset0:192 offset1:208
	s_waitcnt lgkmcnt(1)
	v_fmac_f64_e32 v[2:3], v[28:29], v[26:27]
	v_fmac_f64_e32 v[0:1], v[30:31], v[26:27]
	ds_read2_b64 v[24:27], v18 offset0:224 offset1:240
	v_fmac_f64_e32 v[6:7], v[28:29], v[34:35]
	v_fmac_f64_e32 v[4:5], v[30:31], v[34:35]
	s_waitcnt lgkmcnt(1)
	v_fmac_f64_e32 v[6:7], v[20:21], v[36:37]
	v_fmac_f64_e32 v[4:5], v[22:23], v[36:37]
	;; [unrolled: 1-line block ×4, first 2 shown]
	s_waitcnt lgkmcnt(0)
	v_fmac_f64_e32 v[6:7], v[24:25], v[38:39]
	v_fmac_f64_e32 v[4:5], v[26:27], v[38:39]
	;; [unrolled: 1-line block ×4, first 2 shown]
	v_lshl_add_u64 v[8:9], v[8:9], 0, s[14:15]
	s_cmp_lt_i32 s5, s17
	v_lshl_add_u64 v[10:11], v[10:11], 0, s[8:9]
	s_barrier
	s_cbranch_scc0 .LBB344_10
.LBB344_6:                              ; =>This Inner Loop Header: Depth=1
	v_add_u32_e32 v20, s5, v15
	v_cmp_gt_i32_e64 s[6:7], s17, v20
	s_and_b64 s[22:23], vcc, s[6:7]
	v_mov_b64_e32 v[20:21], 0
	s_and_saveexec_b64 s[6:7], s[22:23]
	s_cbranch_execz .LBB344_8
; %bb.7:                                ;   in Loop: Header=BB344_6 Depth=1
	flat_load_dwordx2 v[20:21], v[8:9]
.LBB344_8:                              ;   in Loop: Header=BB344_6 Depth=1
	s_or_b64 exec, exec, s[6:7]
	s_waitcnt vmcnt(0) lgkmcnt(0)
	ds_write_b64 v16, v[20:21]
	v_add_u32_e32 v20, s5, v14
	v_cmp_gt_i32_e64 s[6:7], s17, v20
	s_and_b64 s[22:23], s[6:7], s[2:3]
	v_mov_b64_e32 v[20:21], 0
	s_and_saveexec_b64 s[6:7], s[22:23]
	s_cbranch_execz .LBB344_5
; %bb.9:                                ;   in Loop: Header=BB344_6 Depth=1
	flat_load_dwordx2 v[20:21], v[10:11]
	s_branch .LBB344_5
.LBB344_10:
	s_load_dwordx2 s[6:7], s[0:1], 0x58
	s_load_dword s8, s[0:1], 0x50
	v_add_u32_e32 v8, s4, v12
	v_add_u32_e32 v14, s20, v13
	v_cmp_gt_i32_e64 s[2:3], s16, v14
	s_waitcnt lgkmcnt(0)
	s_lshl_b64 s[0:1], s[6:7], 3
	s_add_u32 s4, s18, s0
	s_addc_u32 s5, s19, s1
	v_mad_i64_i32 v[10:11], s[0:1], v14, s8, 0
	v_cmp_neq_f64_e64 s[0:1], s[10:11], 0
	v_cmp_le_i32_e32 vcc, v8, v14
	v_lshl_add_u64 v[10:11], v[10:11], 3, s[4:5]
	v_cndmask_b32_e64 v12, 0, 1, s[0:1]
	s_and_b64 s[14:15], s[2:3], vcc
	v_ashrrev_i32_e32 v9, 31, v8
	v_cmp_ne_u32_e64 s[0:1], 1, v12
	s_and_saveexec_b64 s[6:7], s[14:15]
	s_cbranch_execz .LBB344_14
; %bb.11:
	v_mul_f64 v[6:7], s[12:13], v[6:7]
	s_and_b64 vcc, exec, s[0:1]
	v_lshl_add_u64 v[12:13], v[8:9], 3, v[10:11]
	s_cbranch_vccnz .LBB344_13
; %bb.12:
	flat_load_dwordx2 v[16:17], v[12:13]
	s_waitcnt vmcnt(0) lgkmcnt(0)
	v_fmac_f64_e32 v[6:7], s[10:11], v[16:17]
.LBB344_13:
	flat_store_dwordx2 v[12:13], v[6:7]
.LBB344_14:
	s_or_b64 exec, exec, s[6:7]
	v_add_u32_e32 v6, 16, v8
	v_cmp_le_i32_e32 vcc, v6, v14
	s_and_b64 s[6:7], s[2:3], vcc
	v_ashrrev_i32_e32 v7, 31, v6
	s_and_saveexec_b64 s[2:3], s[6:7]
	s_cbranch_execz .LBB344_18
; %bb.15:
	v_mul_f64 v[4:5], s[12:13], v[4:5]
	s_and_b64 vcc, exec, s[0:1]
	v_lshl_add_u64 v[10:11], v[6:7], 3, v[10:11]
	s_cbranch_vccnz .LBB344_17
; %bb.16:
	flat_load_dwordx2 v[12:13], v[10:11]
	s_waitcnt vmcnt(0) lgkmcnt(0)
	v_fmac_f64_e32 v[4:5], s[10:11], v[12:13]
.LBB344_17:
	flat_store_dwordx2 v[10:11], v[4:5]
.LBB344_18:
	s_or_b64 exec, exec, s[2:3]
	v_add_u32_e32 v10, 16, v14
	v_cmp_gt_i32_e64 s[2:3], s16, v10
	v_mad_i64_i32 v[4:5], s[6:7], v10, s8, 0
	v_cmp_le_i32_e32 vcc, v8, v10
	v_lshl_add_u64 v[4:5], v[4:5], 3, s[4:5]
	s_and_b64 s[6:7], s[2:3], vcc
	s_and_saveexec_b64 s[4:5], s[6:7]
	s_cbranch_execz .LBB344_22
; %bb.19:
	v_mul_f64 v[2:3], s[12:13], v[2:3]
	s_and_b64 vcc, exec, s[0:1]
	v_lshl_add_u64 v[8:9], v[8:9], 3, v[4:5]
	s_cbranch_vccnz .LBB344_21
; %bb.20:
	flat_load_dwordx2 v[12:13], v[8:9]
	s_waitcnt vmcnt(0) lgkmcnt(0)
	v_fmac_f64_e32 v[2:3], s[10:11], v[12:13]
.LBB344_21:
	flat_store_dwordx2 v[8:9], v[2:3]
.LBB344_22:
	s_or_b64 exec, exec, s[4:5]
	v_cmp_le_i32_e32 vcc, v6, v10
	s_and_b64 s[2:3], s[2:3], vcc
	s_and_saveexec_b64 s[4:5], s[2:3]
	s_cbranch_execz .LBB344_26
; %bb.23:
	v_mul_f64 v[0:1], s[12:13], v[0:1]
	s_and_b64 vcc, exec, s[0:1]
	v_lshl_add_u64 v[2:3], v[6:7], 3, v[4:5]
	s_cbranch_vccnz .LBB344_25
; %bb.24:
	flat_load_dwordx2 v[4:5], v[2:3]
	s_waitcnt vmcnt(0) lgkmcnt(0)
	v_fmac_f64_e32 v[0:1], s[10:11], v[4:5]
.LBB344_25:
	flat_store_dwordx2 v[2:3], v[0:1]
.LBB344_26:
	s_endpgm
	.section	.rodata,"a",@progbits
	.p2align	6, 0x0
	.amdhsa_kernel _ZL29rocblas_internal_gemmt_kernelIiLi16ELi32ELi8ELc78ELc67ELc85ELb0ELb0EddPKPKdPKPdEviT_T9_T10_S7_lS9_S7_lS8_T11_S7_li
		.amdhsa_group_segment_fixed_size 4096
		.amdhsa_private_segment_fixed_size 0
		.amdhsa_kernarg_size 100
		.amdhsa_user_sgpr_count 2
		.amdhsa_user_sgpr_dispatch_ptr 0
		.amdhsa_user_sgpr_queue_ptr 0
		.amdhsa_user_sgpr_kernarg_segment_ptr 1
		.amdhsa_user_sgpr_dispatch_id 0
		.amdhsa_user_sgpr_kernarg_preload_length 0
		.amdhsa_user_sgpr_kernarg_preload_offset 0
		.amdhsa_user_sgpr_private_segment_size 0
		.amdhsa_uses_dynamic_stack 0
		.amdhsa_enable_private_segment 0
		.amdhsa_system_sgpr_workgroup_id_x 1
		.amdhsa_system_sgpr_workgroup_id_y 1
		.amdhsa_system_sgpr_workgroup_id_z 1
		.amdhsa_system_sgpr_workgroup_info 0
		.amdhsa_system_vgpr_workitem_id 1
		.amdhsa_next_free_vgpr 52
		.amdhsa_next_free_sgpr 30
		.amdhsa_accum_offset 52
		.amdhsa_reserve_vcc 1
		.amdhsa_float_round_mode_32 0
		.amdhsa_float_round_mode_16_64 0
		.amdhsa_float_denorm_mode_32 3
		.amdhsa_float_denorm_mode_16_64 3
		.amdhsa_dx10_clamp 1
		.amdhsa_ieee_mode 1
		.amdhsa_fp16_overflow 0
		.amdhsa_tg_split 0
		.amdhsa_exception_fp_ieee_invalid_op 0
		.amdhsa_exception_fp_denorm_src 0
		.amdhsa_exception_fp_ieee_div_zero 0
		.amdhsa_exception_fp_ieee_overflow 0
		.amdhsa_exception_fp_ieee_underflow 0
		.amdhsa_exception_fp_ieee_inexact 0
		.amdhsa_exception_int_div_zero 0
	.end_amdhsa_kernel
	.section	.text._ZL29rocblas_internal_gemmt_kernelIiLi16ELi32ELi8ELc78ELc67ELc85ELb0ELb0EddPKPKdPKPdEviT_T9_T10_S7_lS9_S7_lS8_T11_S7_li,"axG",@progbits,_ZL29rocblas_internal_gemmt_kernelIiLi16ELi32ELi8ELc78ELc67ELc85ELb0ELb0EddPKPKdPKPdEviT_T9_T10_S7_lS9_S7_lS8_T11_S7_li,comdat
.Lfunc_end344:
	.size	_ZL29rocblas_internal_gemmt_kernelIiLi16ELi32ELi8ELc78ELc67ELc85ELb0ELb0EddPKPKdPKPdEviT_T9_T10_S7_lS9_S7_lS8_T11_S7_li, .Lfunc_end344-_ZL29rocblas_internal_gemmt_kernelIiLi16ELi32ELi8ELc78ELc67ELc85ELb0ELb0EddPKPKdPKPdEviT_T9_T10_S7_lS9_S7_lS8_T11_S7_li
                                        ; -- End function
	.set _ZL29rocblas_internal_gemmt_kernelIiLi16ELi32ELi8ELc78ELc67ELc85ELb0ELb0EddPKPKdPKPdEviT_T9_T10_S7_lS9_S7_lS8_T11_S7_li.num_vgpr, 52
	.set _ZL29rocblas_internal_gemmt_kernelIiLi16ELi32ELi8ELc78ELc67ELc85ELb0ELb0EddPKPKdPKPdEviT_T9_T10_S7_lS9_S7_lS8_T11_S7_li.num_agpr, 0
	.set _ZL29rocblas_internal_gemmt_kernelIiLi16ELi32ELi8ELc78ELc67ELc85ELb0ELb0EddPKPKdPKPdEviT_T9_T10_S7_lS9_S7_lS8_T11_S7_li.numbered_sgpr, 30
	.set _ZL29rocblas_internal_gemmt_kernelIiLi16ELi32ELi8ELc78ELc67ELc85ELb0ELb0EddPKPKdPKPdEviT_T9_T10_S7_lS9_S7_lS8_T11_S7_li.num_named_barrier, 0
	.set _ZL29rocblas_internal_gemmt_kernelIiLi16ELi32ELi8ELc78ELc67ELc85ELb0ELb0EddPKPKdPKPdEviT_T9_T10_S7_lS9_S7_lS8_T11_S7_li.private_seg_size, 0
	.set _ZL29rocblas_internal_gemmt_kernelIiLi16ELi32ELi8ELc78ELc67ELc85ELb0ELb0EddPKPKdPKPdEviT_T9_T10_S7_lS9_S7_lS8_T11_S7_li.uses_vcc, 1
	.set _ZL29rocblas_internal_gemmt_kernelIiLi16ELi32ELi8ELc78ELc67ELc85ELb0ELb0EddPKPKdPKPdEviT_T9_T10_S7_lS9_S7_lS8_T11_S7_li.uses_flat_scratch, 0
	.set _ZL29rocblas_internal_gemmt_kernelIiLi16ELi32ELi8ELc78ELc67ELc85ELb0ELb0EddPKPKdPKPdEviT_T9_T10_S7_lS9_S7_lS8_T11_S7_li.has_dyn_sized_stack, 0
	.set _ZL29rocblas_internal_gemmt_kernelIiLi16ELi32ELi8ELc78ELc67ELc85ELb0ELb0EddPKPKdPKPdEviT_T9_T10_S7_lS9_S7_lS8_T11_S7_li.has_recursion, 0
	.set _ZL29rocblas_internal_gemmt_kernelIiLi16ELi32ELi8ELc78ELc67ELc85ELb0ELb0EddPKPKdPKPdEviT_T9_T10_S7_lS9_S7_lS8_T11_S7_li.has_indirect_call, 0
	.section	.AMDGPU.csdata,"",@progbits
; Kernel info:
; codeLenInByte = 1300
; TotalNumSgprs: 36
; NumVgprs: 52
; NumAgprs: 0
; TotalNumVgprs: 52
; ScratchSize: 0
; MemoryBound: 0
; FloatMode: 240
; IeeeMode: 1
; LDSByteSize: 4096 bytes/workgroup (compile time only)
; SGPRBlocks: 4
; VGPRBlocks: 6
; NumSGPRsForWavesPerEU: 36
; NumVGPRsForWavesPerEU: 52
; AccumOffset: 52
; Occupancy: 8
; WaveLimiterHint : 1
; COMPUTE_PGM_RSRC2:SCRATCH_EN: 0
; COMPUTE_PGM_RSRC2:USER_SGPR: 2
; COMPUTE_PGM_RSRC2:TRAP_HANDLER: 0
; COMPUTE_PGM_RSRC2:TGID_X_EN: 1
; COMPUTE_PGM_RSRC2:TGID_Y_EN: 1
; COMPUTE_PGM_RSRC2:TGID_Z_EN: 1
; COMPUTE_PGM_RSRC2:TIDIG_COMP_CNT: 1
; COMPUTE_PGM_RSRC3_GFX90A:ACCUM_OFFSET: 12
; COMPUTE_PGM_RSRC3_GFX90A:TG_SPLIT: 0
	.section	.text._ZL29rocblas_internal_gemmt_kernelIiLi16ELi32ELi8ELc84ELc78ELc85ELb0ELb0EddPKPKdPKPdEviT_T9_T10_S7_lS9_S7_lS8_T11_S7_li,"axG",@progbits,_ZL29rocblas_internal_gemmt_kernelIiLi16ELi32ELi8ELc84ELc78ELc85ELb0ELb0EddPKPKdPKPdEviT_T9_T10_S7_lS9_S7_lS8_T11_S7_li,comdat
	.globl	_ZL29rocblas_internal_gemmt_kernelIiLi16ELi32ELi8ELc84ELc78ELc85ELb0ELb0EddPKPKdPKPdEviT_T9_T10_S7_lS9_S7_lS8_T11_S7_li ; -- Begin function _ZL29rocblas_internal_gemmt_kernelIiLi16ELi32ELi8ELc84ELc78ELc85ELb0ELb0EddPKPKdPKPdEviT_T9_T10_S7_lS9_S7_lS8_T11_S7_li
	.p2align	8
	.type	_ZL29rocblas_internal_gemmt_kernelIiLi16ELi32ELi8ELc84ELc78ELc85ELb0ELb0EddPKPKdPKPdEviT_T9_T10_S7_lS9_S7_lS8_T11_S7_li,@function
_ZL29rocblas_internal_gemmt_kernelIiLi16ELi32ELi8ELc84ELc78ELc85ELb0ELb0EddPKPKdPKPdEviT_T9_T10_S7_lS9_S7_lS8_T11_S7_li: ; @_ZL29rocblas_internal_gemmt_kernelIiLi16ELi32ELi8ELc84ELc78ELc85ELb0ELb0EddPKPKdPKPdEviT_T9_T10_S7_lS9_S7_lS8_T11_S7_li
; %bb.0:
	s_load_dwordx4 s[8:11], s[0:1], 0x38
	s_load_dwordx2 s[16:17], s[0:1], 0x0
	s_load_dwordx4 s[12:15], s[0:1], 0x8
	s_waitcnt lgkmcnt(0)
	v_cmp_neq_f64_e64 s[6:7], s[10:11], 1.0
	s_and_b64 vcc, exec, s[6:7]
	s_cbranch_vccnz .LBB345_2
; %bb.1:
	s_cmp_lg_u32 s17, 0
	s_cselect_b64 s[6:7], -1, 0
	v_cmp_neq_f64_e64 s[18:19], s[12:13], 0
	s_and_b64 s[6:7], s[6:7], s[18:19]
.LBB345_2:
	s_andn2_b64 vcc, exec, s[6:7]
	s_cbranch_vccnz .LBB345_26
; %bb.3:
	s_load_dwordx2 s[18:19], s[0:1], 0x48
	s_mov_b32 s5, 0
	s_lshl_b64 s[6:7], s[4:5], 3
	v_and_b32_e32 v12, 0x3ff, v0
	v_bfe_u32 v13, v0, 10, 10
	s_waitcnt lgkmcnt(0)
	s_add_u32 s18, s18, s6
	s_addc_u32 s19, s19, s7
	s_load_dwordx2 s[18:19], s[18:19], 0x0
	s_lshl_b32 s4, s2, 5
	s_lshl_b32 s20, s3, 5
	s_cmp_lt_i32 s17, 1
	v_cmp_eq_f64_e64 s[2:3], s[12:13], 0
	s_cselect_b64 s[22:23], -1, 0
	s_or_b64 s[2:3], s[2:3], s[22:23]
	v_mov_b64_e32 v[6:7], 0
	s_and_b64 vcc, exec, s[2:3]
	v_mov_b64_e32 v[4:5], 0
	v_mov_b64_e32 v[2:3], 0
	;; [unrolled: 1-line block ×3, first 2 shown]
	s_cbranch_vccnz .LBB345_10
; %bb.4:
	s_load_dword s21, s[0:1], 0x18
	s_load_dwordx4 s[24:27], s[0:1], 0x20
	s_load_dword s28, s[0:1], 0x30
	v_lshl_add_u32 v0, v13, 4, v12
	v_and_b32_e32 v2, 31, v0
	v_lshrrev_b32_e32 v15, 5, v0
	v_lshrrev_b32_e32 v1, 3, v0
	v_or_b32_e32 v0, s4, v2
	v_and_b32_e32 v14, 7, v12
	s_waitcnt lgkmcnt(0)
	s_add_u32 s2, s26, s6
	v_cmp_gt_i32_e32 vcc, s16, v0
	v_lshlrev_b32_e32 v0, 3, v2
	s_addc_u32 s3, s27, s7
	v_lshl_or_b32 v16, v15, 8, v0
	v_lshlrev_b32_e32 v0, 3, v14
	v_add_u32_e32 v6, s20, v1
	s_load_dwordx2 s[22:23], s[2:3], 0x0
	s_add_u32 s2, s14, s6
	v_lshl_or_b32 v1, v1, 6, v0
	s_addc_u32 s3, s15, s7
	v_add_u32_e32 v17, 0x800, v1
	v_mov_b32_e32 v1, 0x800
	s_load_dwordx2 s[6:7], s[2:3], 0x0
	v_lshl_add_u32 v19, v13, 6, v1
	v_add_u32_e32 v1, s4, v2
	v_mad_i64_i32 v[2:3], s[14:15], s21, v1, 0
	s_lshl_b64 s[14:15], s[24:25], 3
	s_nop 0
	v_lshl_add_u64 v[2:3], v[2:3], 3, s[14:15]
	v_lshlrev_b32_e32 v4, 3, v15
	v_mov_b32_e32 v5, 0
	v_lshl_add_u64 v[2:3], v[2:3], 0, v[4:5]
	s_waitcnt lgkmcnt(0)
	v_lshl_add_u64 v[8:9], s[6:7], 0, v[2:3]
	v_mad_i64_i32 v[2:3], s[6:7], s28, v6, 0
	s_lshl_b64 s[6:7], s[8:9], 3
	s_nop 0
	v_lshl_add_u64 v[2:3], v[2:3], 3, s[6:7]
	v_mov_b32_e32 v1, v5
	v_lshl_add_u64 v[0:1], v[2:3], 0, v[0:1]
	v_cmp_gt_i32_e64 s[2:3], s16, v6
	v_lshlrev_b32_e32 v18, 3, v12
	v_lshl_add_u64 v[10:11], s[22:23], 0, v[0:1]
	v_mov_b64_e32 v[0:1], 0
	v_mov_b64_e32 v[2:3], 0
	;; [unrolled: 1-line block ×4, first 2 shown]
	s_branch .LBB345_6
.LBB345_5:                              ;   in Loop: Header=BB345_6 Depth=1
	s_or_b64 exec, exec, s[6:7]
	s_waitcnt vmcnt(0) lgkmcnt(0)
	ds_write_b64 v17, v[20:21]
	s_waitcnt lgkmcnt(0)
	s_barrier
	ds_read2_b64 v[20:23], v18 offset1:16
	ds_read_b128 v[24:27], v19
	ds_read_b128 v[28:31], v19 offset:16
	ds_read_b128 v[32:35], v19 offset:32
	;; [unrolled: 1-line block ×4, first 2 shown]
	ds_read2_b64 v[44:47], v18 offset0:32 offset1:48
	s_waitcnt lgkmcnt(5)
	v_fmac_f64_e32 v[6:7], v[20:21], v[24:25]
	v_fmac_f64_e32 v[4:5], v[22:23], v[24:25]
	ds_read_b128 v[48:51], v19 offset:1040
	s_waitcnt lgkmcnt(2)
	v_fmac_f64_e32 v[2:3], v[20:21], v[40:41]
	v_fmac_f64_e32 v[0:1], v[22:23], v[40:41]
	ds_read2_b64 v[20:23], v18 offset0:64 offset1:80
	s_waitcnt lgkmcnt(2)
	v_fmac_f64_e32 v[6:7], v[44:45], v[26:27]
	v_fmac_f64_e32 v[4:5], v[46:47], v[26:27]
	ds_read2_b64 v[24:27], v18 offset0:96 offset1:112
	v_fmac_f64_e32 v[2:3], v[44:45], v[42:43]
	v_fmac_f64_e32 v[0:1], v[46:47], v[42:43]
	s_waitcnt lgkmcnt(1)
	v_fmac_f64_e32 v[6:7], v[20:21], v[28:29]
	v_fmac_f64_e32 v[4:5], v[22:23], v[28:29]
	ds_read_b128 v[40:43], v19 offset:1072
	v_fmac_f64_e32 v[2:3], v[20:21], v[48:49]
	v_fmac_f64_e32 v[0:1], v[22:23], v[48:49]
	s_waitcnt lgkmcnt(1)
	v_fmac_f64_e32 v[6:7], v[24:25], v[30:31]
	ds_read2_b64 v[20:23], v18 offset0:128 offset1:144
	v_fmac_f64_e32 v[4:5], v[26:27], v[30:31]
	v_fmac_f64_e32 v[2:3], v[24:25], v[50:51]
	;; [unrolled: 1-line block ×3, first 2 shown]
	ds_read_b128 v[24:27], v19 offset:1056
	ds_read2_b64 v[28:31], v18 offset0:160 offset1:176
	s_waitcnt lgkmcnt(2)
	v_fmac_f64_e32 v[6:7], v[20:21], v[32:33]
	v_fmac_f64_e32 v[4:5], v[22:23], v[32:33]
	s_add_i32 s5, s5, 8
	s_waitcnt lgkmcnt(1)
	v_fmac_f64_e32 v[2:3], v[20:21], v[24:25]
	v_fmac_f64_e32 v[0:1], v[22:23], v[24:25]
	ds_read2_b64 v[20:23], v18 offset0:192 offset1:208
	s_waitcnt lgkmcnt(1)
	v_fmac_f64_e32 v[2:3], v[28:29], v[26:27]
	v_fmac_f64_e32 v[0:1], v[30:31], v[26:27]
	ds_read2_b64 v[24:27], v18 offset0:224 offset1:240
	v_fmac_f64_e32 v[6:7], v[28:29], v[34:35]
	v_fmac_f64_e32 v[4:5], v[30:31], v[34:35]
	s_waitcnt lgkmcnt(1)
	v_fmac_f64_e32 v[6:7], v[20:21], v[36:37]
	v_fmac_f64_e32 v[4:5], v[22:23], v[36:37]
	;; [unrolled: 1-line block ×4, first 2 shown]
	s_waitcnt lgkmcnt(0)
	v_fmac_f64_e32 v[6:7], v[24:25], v[38:39]
	v_fmac_f64_e32 v[4:5], v[26:27], v[38:39]
	;; [unrolled: 1-line block ×4, first 2 shown]
	v_lshl_add_u64 v[8:9], v[8:9], 0, 64
	s_cmp_lt_i32 s5, s17
	v_lshl_add_u64 v[10:11], v[10:11], 0, 64
	s_barrier
	s_cbranch_scc0 .LBB345_10
.LBB345_6:                              ; =>This Inner Loop Header: Depth=1
	v_add_u32_e32 v20, s5, v15
	v_cmp_gt_i32_e64 s[6:7], s17, v20
	s_and_b64 s[8:9], vcc, s[6:7]
	v_mov_b64_e32 v[20:21], 0
	s_and_saveexec_b64 s[6:7], s[8:9]
	s_cbranch_execz .LBB345_8
; %bb.7:                                ;   in Loop: Header=BB345_6 Depth=1
	flat_load_dwordx2 v[20:21], v[8:9]
.LBB345_8:                              ;   in Loop: Header=BB345_6 Depth=1
	s_or_b64 exec, exec, s[6:7]
	s_waitcnt vmcnt(0) lgkmcnt(0)
	ds_write_b64 v16, v[20:21]
	v_add_u32_e32 v20, s5, v14
	v_cmp_gt_i32_e64 s[6:7], s17, v20
	s_and_b64 s[8:9], s[6:7], s[2:3]
	v_mov_b64_e32 v[20:21], 0
	s_and_saveexec_b64 s[6:7], s[8:9]
	s_cbranch_execz .LBB345_5
; %bb.9:                                ;   in Loop: Header=BB345_6 Depth=1
	flat_load_dwordx2 v[20:21], v[10:11]
	s_branch .LBB345_5
.LBB345_10:
	s_load_dwordx2 s[6:7], s[0:1], 0x58
	s_load_dword s8, s[0:1], 0x50
	v_add_u32_e32 v8, s4, v12
	v_add_u32_e32 v14, s20, v13
	v_cmp_gt_i32_e64 s[2:3], s16, v14
	s_waitcnt lgkmcnt(0)
	s_lshl_b64 s[0:1], s[6:7], 3
	s_add_u32 s4, s18, s0
	s_addc_u32 s5, s19, s1
	v_mad_i64_i32 v[10:11], s[0:1], v14, s8, 0
	v_cmp_neq_f64_e64 s[0:1], s[10:11], 0
	v_cmp_le_i32_e32 vcc, v8, v14
	v_lshl_add_u64 v[10:11], v[10:11], 3, s[4:5]
	v_cndmask_b32_e64 v12, 0, 1, s[0:1]
	s_and_b64 s[14:15], s[2:3], vcc
	v_ashrrev_i32_e32 v9, 31, v8
	v_cmp_ne_u32_e64 s[0:1], 1, v12
	s_and_saveexec_b64 s[6:7], s[14:15]
	s_cbranch_execz .LBB345_14
; %bb.11:
	v_mul_f64 v[6:7], s[12:13], v[6:7]
	s_and_b64 vcc, exec, s[0:1]
	v_lshl_add_u64 v[12:13], v[8:9], 3, v[10:11]
	s_cbranch_vccnz .LBB345_13
; %bb.12:
	flat_load_dwordx2 v[16:17], v[12:13]
	s_waitcnt vmcnt(0) lgkmcnt(0)
	v_fmac_f64_e32 v[6:7], s[10:11], v[16:17]
.LBB345_13:
	flat_store_dwordx2 v[12:13], v[6:7]
.LBB345_14:
	s_or_b64 exec, exec, s[6:7]
	v_add_u32_e32 v6, 16, v8
	v_cmp_le_i32_e32 vcc, v6, v14
	s_and_b64 s[6:7], s[2:3], vcc
	v_ashrrev_i32_e32 v7, 31, v6
	s_and_saveexec_b64 s[2:3], s[6:7]
	s_cbranch_execz .LBB345_18
; %bb.15:
	v_mul_f64 v[4:5], s[12:13], v[4:5]
	s_and_b64 vcc, exec, s[0:1]
	v_lshl_add_u64 v[10:11], v[6:7], 3, v[10:11]
	s_cbranch_vccnz .LBB345_17
; %bb.16:
	flat_load_dwordx2 v[12:13], v[10:11]
	s_waitcnt vmcnt(0) lgkmcnt(0)
	v_fmac_f64_e32 v[4:5], s[10:11], v[12:13]
.LBB345_17:
	flat_store_dwordx2 v[10:11], v[4:5]
.LBB345_18:
	s_or_b64 exec, exec, s[2:3]
	v_add_u32_e32 v10, 16, v14
	v_cmp_gt_i32_e64 s[2:3], s16, v10
	v_mad_i64_i32 v[4:5], s[6:7], v10, s8, 0
	v_cmp_le_i32_e32 vcc, v8, v10
	v_lshl_add_u64 v[4:5], v[4:5], 3, s[4:5]
	s_and_b64 s[6:7], s[2:3], vcc
	s_and_saveexec_b64 s[4:5], s[6:7]
	s_cbranch_execz .LBB345_22
; %bb.19:
	v_mul_f64 v[2:3], s[12:13], v[2:3]
	s_and_b64 vcc, exec, s[0:1]
	v_lshl_add_u64 v[8:9], v[8:9], 3, v[4:5]
	s_cbranch_vccnz .LBB345_21
; %bb.20:
	flat_load_dwordx2 v[12:13], v[8:9]
	s_waitcnt vmcnt(0) lgkmcnt(0)
	v_fmac_f64_e32 v[2:3], s[10:11], v[12:13]
.LBB345_21:
	flat_store_dwordx2 v[8:9], v[2:3]
.LBB345_22:
	s_or_b64 exec, exec, s[4:5]
	v_cmp_le_i32_e32 vcc, v6, v10
	s_and_b64 s[2:3], s[2:3], vcc
	s_and_saveexec_b64 s[4:5], s[2:3]
	s_cbranch_execz .LBB345_26
; %bb.23:
	v_mul_f64 v[0:1], s[12:13], v[0:1]
	s_and_b64 vcc, exec, s[0:1]
	v_lshl_add_u64 v[2:3], v[6:7], 3, v[4:5]
	s_cbranch_vccnz .LBB345_25
; %bb.24:
	flat_load_dwordx2 v[4:5], v[2:3]
	s_waitcnt vmcnt(0) lgkmcnt(0)
	v_fmac_f64_e32 v[0:1], s[10:11], v[4:5]
.LBB345_25:
	flat_store_dwordx2 v[2:3], v[0:1]
.LBB345_26:
	s_endpgm
	.section	.rodata,"a",@progbits
	.p2align	6, 0x0
	.amdhsa_kernel _ZL29rocblas_internal_gemmt_kernelIiLi16ELi32ELi8ELc84ELc78ELc85ELb0ELb0EddPKPKdPKPdEviT_T9_T10_S7_lS9_S7_lS8_T11_S7_li
		.amdhsa_group_segment_fixed_size 4096
		.amdhsa_private_segment_fixed_size 0
		.amdhsa_kernarg_size 100
		.amdhsa_user_sgpr_count 2
		.amdhsa_user_sgpr_dispatch_ptr 0
		.amdhsa_user_sgpr_queue_ptr 0
		.amdhsa_user_sgpr_kernarg_segment_ptr 1
		.amdhsa_user_sgpr_dispatch_id 0
		.amdhsa_user_sgpr_kernarg_preload_length 0
		.amdhsa_user_sgpr_kernarg_preload_offset 0
		.amdhsa_user_sgpr_private_segment_size 0
		.amdhsa_uses_dynamic_stack 0
		.amdhsa_enable_private_segment 0
		.amdhsa_system_sgpr_workgroup_id_x 1
		.amdhsa_system_sgpr_workgroup_id_y 1
		.amdhsa_system_sgpr_workgroup_id_z 1
		.amdhsa_system_sgpr_workgroup_info 0
		.amdhsa_system_vgpr_workitem_id 1
		.amdhsa_next_free_vgpr 52
		.amdhsa_next_free_sgpr 29
		.amdhsa_accum_offset 52
		.amdhsa_reserve_vcc 1
		.amdhsa_float_round_mode_32 0
		.amdhsa_float_round_mode_16_64 0
		.amdhsa_float_denorm_mode_32 3
		.amdhsa_float_denorm_mode_16_64 3
		.amdhsa_dx10_clamp 1
		.amdhsa_ieee_mode 1
		.amdhsa_fp16_overflow 0
		.amdhsa_tg_split 0
		.amdhsa_exception_fp_ieee_invalid_op 0
		.amdhsa_exception_fp_denorm_src 0
		.amdhsa_exception_fp_ieee_div_zero 0
		.amdhsa_exception_fp_ieee_overflow 0
		.amdhsa_exception_fp_ieee_underflow 0
		.amdhsa_exception_fp_ieee_inexact 0
		.amdhsa_exception_int_div_zero 0
	.end_amdhsa_kernel
	.section	.text._ZL29rocblas_internal_gemmt_kernelIiLi16ELi32ELi8ELc84ELc78ELc85ELb0ELb0EddPKPKdPKPdEviT_T9_T10_S7_lS9_S7_lS8_T11_S7_li,"axG",@progbits,_ZL29rocblas_internal_gemmt_kernelIiLi16ELi32ELi8ELc84ELc78ELc85ELb0ELb0EddPKPKdPKPdEviT_T9_T10_S7_lS9_S7_lS8_T11_S7_li,comdat
.Lfunc_end345:
	.size	_ZL29rocblas_internal_gemmt_kernelIiLi16ELi32ELi8ELc84ELc78ELc85ELb0ELb0EddPKPKdPKPdEviT_T9_T10_S7_lS9_S7_lS8_T11_S7_li, .Lfunc_end345-_ZL29rocblas_internal_gemmt_kernelIiLi16ELi32ELi8ELc84ELc78ELc85ELb0ELb0EddPKPKdPKPdEviT_T9_T10_S7_lS9_S7_lS8_T11_S7_li
                                        ; -- End function
	.set _ZL29rocblas_internal_gemmt_kernelIiLi16ELi32ELi8ELc84ELc78ELc85ELb0ELb0EddPKPKdPKPdEviT_T9_T10_S7_lS9_S7_lS8_T11_S7_li.num_vgpr, 52
	.set _ZL29rocblas_internal_gemmt_kernelIiLi16ELi32ELi8ELc84ELc78ELc85ELb0ELb0EddPKPKdPKPdEviT_T9_T10_S7_lS9_S7_lS8_T11_S7_li.num_agpr, 0
	.set _ZL29rocblas_internal_gemmt_kernelIiLi16ELi32ELi8ELc84ELc78ELc85ELb0ELb0EddPKPKdPKPdEviT_T9_T10_S7_lS9_S7_lS8_T11_S7_li.numbered_sgpr, 29
	.set _ZL29rocblas_internal_gemmt_kernelIiLi16ELi32ELi8ELc84ELc78ELc85ELb0ELb0EddPKPKdPKPdEviT_T9_T10_S7_lS9_S7_lS8_T11_S7_li.num_named_barrier, 0
	.set _ZL29rocblas_internal_gemmt_kernelIiLi16ELi32ELi8ELc84ELc78ELc85ELb0ELb0EddPKPKdPKPdEviT_T9_T10_S7_lS9_S7_lS8_T11_S7_li.private_seg_size, 0
	.set _ZL29rocblas_internal_gemmt_kernelIiLi16ELi32ELi8ELc84ELc78ELc85ELb0ELb0EddPKPKdPKPdEviT_T9_T10_S7_lS9_S7_lS8_T11_S7_li.uses_vcc, 1
	.set _ZL29rocblas_internal_gemmt_kernelIiLi16ELi32ELi8ELc84ELc78ELc85ELb0ELb0EddPKPKdPKPdEviT_T9_T10_S7_lS9_S7_lS8_T11_S7_li.uses_flat_scratch, 0
	.set _ZL29rocblas_internal_gemmt_kernelIiLi16ELi32ELi8ELc84ELc78ELc85ELb0ELb0EddPKPKdPKPdEviT_T9_T10_S7_lS9_S7_lS8_T11_S7_li.has_dyn_sized_stack, 0
	.set _ZL29rocblas_internal_gemmt_kernelIiLi16ELi32ELi8ELc84ELc78ELc85ELb0ELb0EddPKPKdPKPdEviT_T9_T10_S7_lS9_S7_lS8_T11_S7_li.has_recursion, 0
	.set _ZL29rocblas_internal_gemmt_kernelIiLi16ELi32ELi8ELc84ELc78ELc85ELb0ELb0EddPKPKdPKPdEviT_T9_T10_S7_lS9_S7_lS8_T11_S7_li.has_indirect_call, 0
	.section	.AMDGPU.csdata,"",@progbits
; Kernel info:
; codeLenInByte = 1296
; TotalNumSgprs: 35
; NumVgprs: 52
; NumAgprs: 0
; TotalNumVgprs: 52
; ScratchSize: 0
; MemoryBound: 0
; FloatMode: 240
; IeeeMode: 1
; LDSByteSize: 4096 bytes/workgroup (compile time only)
; SGPRBlocks: 4
; VGPRBlocks: 6
; NumSGPRsForWavesPerEU: 35
; NumVGPRsForWavesPerEU: 52
; AccumOffset: 52
; Occupancy: 8
; WaveLimiterHint : 1
; COMPUTE_PGM_RSRC2:SCRATCH_EN: 0
; COMPUTE_PGM_RSRC2:USER_SGPR: 2
; COMPUTE_PGM_RSRC2:TRAP_HANDLER: 0
; COMPUTE_PGM_RSRC2:TGID_X_EN: 1
; COMPUTE_PGM_RSRC2:TGID_Y_EN: 1
; COMPUTE_PGM_RSRC2:TGID_Z_EN: 1
; COMPUTE_PGM_RSRC2:TIDIG_COMP_CNT: 1
; COMPUTE_PGM_RSRC3_GFX90A:ACCUM_OFFSET: 12
; COMPUTE_PGM_RSRC3_GFX90A:TG_SPLIT: 0
	.section	.text._ZL29rocblas_internal_gemmt_kernelIiLi16ELi32ELi8ELc84ELc84ELc85ELb0ELb0EddPKPKdPKPdEviT_T9_T10_S7_lS9_S7_lS8_T11_S7_li,"axG",@progbits,_ZL29rocblas_internal_gemmt_kernelIiLi16ELi32ELi8ELc84ELc84ELc85ELb0ELb0EddPKPKdPKPdEviT_T9_T10_S7_lS9_S7_lS8_T11_S7_li,comdat
	.globl	_ZL29rocblas_internal_gemmt_kernelIiLi16ELi32ELi8ELc84ELc84ELc85ELb0ELb0EddPKPKdPKPdEviT_T9_T10_S7_lS9_S7_lS8_T11_S7_li ; -- Begin function _ZL29rocblas_internal_gemmt_kernelIiLi16ELi32ELi8ELc84ELc84ELc85ELb0ELb0EddPKPKdPKPdEviT_T9_T10_S7_lS9_S7_lS8_T11_S7_li
	.p2align	8
	.type	_ZL29rocblas_internal_gemmt_kernelIiLi16ELi32ELi8ELc84ELc84ELc85ELb0ELb0EddPKPKdPKPdEviT_T9_T10_S7_lS9_S7_lS8_T11_S7_li,@function
_ZL29rocblas_internal_gemmt_kernelIiLi16ELi32ELi8ELc84ELc84ELc85ELb0ELb0EddPKPKdPKPdEviT_T9_T10_S7_lS9_S7_lS8_T11_S7_li: ; @_ZL29rocblas_internal_gemmt_kernelIiLi16ELi32ELi8ELc84ELc84ELc85ELb0ELb0EddPKPKdPKPdEviT_T9_T10_S7_lS9_S7_lS8_T11_S7_li
; %bb.0:
	s_load_dwordx4 s[8:11], s[0:1], 0x38
	s_load_dwordx2 s[16:17], s[0:1], 0x0
	s_load_dwordx4 s[12:15], s[0:1], 0x8
	s_waitcnt lgkmcnt(0)
	v_cmp_neq_f64_e64 s[6:7], s[10:11], 1.0
	s_and_b64 vcc, exec, s[6:7]
	s_cbranch_vccnz .LBB346_2
; %bb.1:
	s_cmp_lg_u32 s17, 0
	s_cselect_b64 s[6:7], -1, 0
	v_cmp_neq_f64_e64 s[18:19], s[12:13], 0
	s_and_b64 s[6:7], s[6:7], s[18:19]
.LBB346_2:
	s_andn2_b64 vcc, exec, s[6:7]
	s_cbranch_vccnz .LBB346_26
; %bb.3:
	s_load_dwordx2 s[18:19], s[0:1], 0x48
	s_mov_b32 s5, 0
	s_lshl_b64 s[6:7], s[4:5], 3
	v_and_b32_e32 v12, 0x3ff, v0
	v_bfe_u32 v13, v0, 10, 10
	s_waitcnt lgkmcnt(0)
	s_add_u32 s18, s18, s6
	s_addc_u32 s19, s19, s7
	s_load_dwordx2 s[18:19], s[18:19], 0x0
	s_lshl_b32 s4, s2, 5
	s_lshl_b32 s20, s3, 5
	s_cmp_lt_i32 s17, 1
	v_cmp_eq_f64_e64 s[2:3], s[12:13], 0
	s_cselect_b64 s[22:23], -1, 0
	s_or_b64 s[2:3], s[2:3], s[22:23]
	v_mov_b64_e32 v[6:7], 0
	s_and_b64 vcc, exec, s[2:3]
	v_mov_b64_e32 v[4:5], 0
	v_mov_b64_e32 v[2:3], 0
	v_mov_b64_e32 v[0:1], 0
	s_cbranch_vccnz .LBB346_10
; %bb.4:
	s_load_dword s21, s[0:1], 0x18
	s_load_dword s22, s[0:1], 0x30
	s_load_dwordx4 s[24:27], s[0:1], 0x20
	v_lshl_add_u32 v1, v13, 4, v12
	v_and_b32_e32 v3, 31, v1
	v_lshrrev_b32_e32 v15, 5, v1
	s_waitcnt lgkmcnt(0)
	s_ashr_i32 s23, s22, 31
	v_lshrrev_b32_e32 v2, 3, v1
	v_or_b32_e32 v1, s4, v3
	s_add_u32 s2, s26, s6
	v_and_b32_e32 v14, 7, v12
	s_addc_u32 s3, s27, s7
	v_cmp_gt_i32_e32 vcc, s16, v1
	v_lshlrev_b32_e32 v1, 3, v3
	s_load_dwordx2 s[26:27], s[2:3], 0x0
	s_add_u32 s2, s14, s6
	v_lshl_or_b32 v16, v15, 8, v1
	v_lshlrev_b32_e32 v1, 3, v14
	v_add_u32_e32 v0, s20, v2
	s_addc_u32 s3, s15, s7
	v_lshl_or_b32 v1, v2, 6, v1
	v_mov_b32_e32 v2, 0x800
	s_load_dwordx2 s[6:7], s[2:3], 0x0
	v_lshl_add_u32 v19, v13, 6, v2
	v_add_u32_e32 v2, s4, v3
	v_mad_i64_i32 v[2:3], s[14:15], s21, v2, 0
	s_lshl_b64 s[14:15], s[24:25], 3
	s_nop 0
	v_lshl_add_u64 v[2:3], v[2:3], 3, s[14:15]
	v_lshlrev_b32_e32 v4, 3, v15
	v_mov_b32_e32 v5, 0
	v_lshl_add_u64 v[2:3], v[2:3], 0, v[4:5]
	s_waitcnt lgkmcnt(0)
	v_lshl_add_u64 v[8:9], s[6:7], 0, v[2:3]
	v_mad_i64_i32 v[2:3], s[6:7], s22, v14, 0
	s_lshl_b64 s[6:7], s[8:9], 3
	v_add_u32_e32 v17, 0x800, v1
	v_ashrrev_i32_e32 v1, 31, v0
	v_lshl_add_u64 v[2:3], v[2:3], 3, s[6:7]
	v_cmp_gt_i32_e64 s[2:3], s16, v0
	v_lshl_add_u64 v[0:1], v[0:1], 3, v[2:3]
	v_lshlrev_b32_e32 v18, 3, v12
	v_lshl_add_u64 v[10:11], s[26:27], 0, v[0:1]
	s_lshl_b64 s[8:9], s[22:23], 6
	v_mov_b64_e32 v[0:1], 0
	v_mov_b64_e32 v[2:3], 0
	;; [unrolled: 1-line block ×4, first 2 shown]
	s_branch .LBB346_6
.LBB346_5:                              ;   in Loop: Header=BB346_6 Depth=1
	s_or_b64 exec, exec, s[6:7]
	s_waitcnt vmcnt(0) lgkmcnt(0)
	ds_write_b64 v17, v[20:21]
	s_waitcnt lgkmcnt(0)
	s_barrier
	ds_read2_b64 v[20:23], v18 offset1:16
	ds_read_b128 v[24:27], v19
	ds_read_b128 v[28:31], v19 offset:16
	ds_read_b128 v[32:35], v19 offset:32
	;; [unrolled: 1-line block ×4, first 2 shown]
	ds_read2_b64 v[44:47], v18 offset0:32 offset1:48
	s_waitcnt lgkmcnt(5)
	v_fmac_f64_e32 v[6:7], v[20:21], v[24:25]
	v_fmac_f64_e32 v[4:5], v[22:23], v[24:25]
	ds_read_b128 v[48:51], v19 offset:1040
	s_waitcnt lgkmcnt(2)
	v_fmac_f64_e32 v[2:3], v[20:21], v[40:41]
	v_fmac_f64_e32 v[0:1], v[22:23], v[40:41]
	ds_read2_b64 v[20:23], v18 offset0:64 offset1:80
	s_waitcnt lgkmcnt(2)
	v_fmac_f64_e32 v[6:7], v[44:45], v[26:27]
	v_fmac_f64_e32 v[4:5], v[46:47], v[26:27]
	ds_read2_b64 v[24:27], v18 offset0:96 offset1:112
	v_fmac_f64_e32 v[2:3], v[44:45], v[42:43]
	v_fmac_f64_e32 v[0:1], v[46:47], v[42:43]
	s_waitcnt lgkmcnt(1)
	v_fmac_f64_e32 v[6:7], v[20:21], v[28:29]
	v_fmac_f64_e32 v[4:5], v[22:23], v[28:29]
	ds_read_b128 v[40:43], v19 offset:1072
	v_fmac_f64_e32 v[2:3], v[20:21], v[48:49]
	v_fmac_f64_e32 v[0:1], v[22:23], v[48:49]
	s_waitcnt lgkmcnt(1)
	v_fmac_f64_e32 v[6:7], v[24:25], v[30:31]
	ds_read2_b64 v[20:23], v18 offset0:128 offset1:144
	v_fmac_f64_e32 v[4:5], v[26:27], v[30:31]
	v_fmac_f64_e32 v[2:3], v[24:25], v[50:51]
	;; [unrolled: 1-line block ×3, first 2 shown]
	ds_read_b128 v[24:27], v19 offset:1056
	ds_read2_b64 v[28:31], v18 offset0:160 offset1:176
	s_waitcnt lgkmcnt(2)
	v_fmac_f64_e32 v[6:7], v[20:21], v[32:33]
	v_fmac_f64_e32 v[4:5], v[22:23], v[32:33]
	s_add_i32 s5, s5, 8
	s_waitcnt lgkmcnt(1)
	v_fmac_f64_e32 v[2:3], v[20:21], v[24:25]
	v_fmac_f64_e32 v[0:1], v[22:23], v[24:25]
	ds_read2_b64 v[20:23], v18 offset0:192 offset1:208
	s_waitcnt lgkmcnt(1)
	v_fmac_f64_e32 v[2:3], v[28:29], v[26:27]
	v_fmac_f64_e32 v[0:1], v[30:31], v[26:27]
	ds_read2_b64 v[24:27], v18 offset0:224 offset1:240
	v_fmac_f64_e32 v[6:7], v[28:29], v[34:35]
	v_fmac_f64_e32 v[4:5], v[30:31], v[34:35]
	s_waitcnt lgkmcnt(1)
	v_fmac_f64_e32 v[6:7], v[20:21], v[36:37]
	v_fmac_f64_e32 v[4:5], v[22:23], v[36:37]
	v_fmac_f64_e32 v[2:3], v[20:21], v[40:41]
	v_fmac_f64_e32 v[0:1], v[22:23], v[40:41]
	s_waitcnt lgkmcnt(0)
	v_fmac_f64_e32 v[6:7], v[24:25], v[38:39]
	v_fmac_f64_e32 v[4:5], v[26:27], v[38:39]
	;; [unrolled: 1-line block ×4, first 2 shown]
	v_lshl_add_u64 v[8:9], v[8:9], 0, 64
	s_cmp_lt_i32 s5, s17
	v_lshl_add_u64 v[10:11], v[10:11], 0, s[8:9]
	s_barrier
	s_cbranch_scc0 .LBB346_10
.LBB346_6:                              ; =>This Inner Loop Header: Depth=1
	v_add_u32_e32 v20, s5, v15
	v_cmp_gt_i32_e64 s[6:7], s17, v20
	s_and_b64 s[14:15], vcc, s[6:7]
	v_mov_b64_e32 v[20:21], 0
	s_and_saveexec_b64 s[6:7], s[14:15]
	s_cbranch_execz .LBB346_8
; %bb.7:                                ;   in Loop: Header=BB346_6 Depth=1
	flat_load_dwordx2 v[20:21], v[8:9]
.LBB346_8:                              ;   in Loop: Header=BB346_6 Depth=1
	s_or_b64 exec, exec, s[6:7]
	s_waitcnt vmcnt(0) lgkmcnt(0)
	ds_write_b64 v16, v[20:21]
	v_add_u32_e32 v20, s5, v14
	v_cmp_gt_i32_e64 s[6:7], s17, v20
	s_and_b64 s[14:15], s[6:7], s[2:3]
	v_mov_b64_e32 v[20:21], 0
	s_and_saveexec_b64 s[6:7], s[14:15]
	s_cbranch_execz .LBB346_5
; %bb.9:                                ;   in Loop: Header=BB346_6 Depth=1
	flat_load_dwordx2 v[20:21], v[10:11]
	s_branch .LBB346_5
.LBB346_10:
	s_load_dwordx2 s[6:7], s[0:1], 0x58
	s_load_dword s8, s[0:1], 0x50
	v_add_u32_e32 v8, s4, v12
	v_add_u32_e32 v14, s20, v13
	v_cmp_gt_i32_e64 s[2:3], s16, v14
	s_waitcnt lgkmcnt(0)
	s_lshl_b64 s[0:1], s[6:7], 3
	s_add_u32 s4, s18, s0
	s_addc_u32 s5, s19, s1
	v_mad_i64_i32 v[10:11], s[0:1], v14, s8, 0
	v_cmp_neq_f64_e64 s[0:1], s[10:11], 0
	v_cmp_le_i32_e32 vcc, v8, v14
	v_lshl_add_u64 v[10:11], v[10:11], 3, s[4:5]
	v_cndmask_b32_e64 v12, 0, 1, s[0:1]
	s_and_b64 s[14:15], s[2:3], vcc
	v_ashrrev_i32_e32 v9, 31, v8
	v_cmp_ne_u32_e64 s[0:1], 1, v12
	s_and_saveexec_b64 s[6:7], s[14:15]
	s_cbranch_execz .LBB346_14
; %bb.11:
	v_mul_f64 v[6:7], s[12:13], v[6:7]
	s_and_b64 vcc, exec, s[0:1]
	v_lshl_add_u64 v[12:13], v[8:9], 3, v[10:11]
	s_cbranch_vccnz .LBB346_13
; %bb.12:
	flat_load_dwordx2 v[16:17], v[12:13]
	s_waitcnt vmcnt(0) lgkmcnt(0)
	v_fmac_f64_e32 v[6:7], s[10:11], v[16:17]
.LBB346_13:
	flat_store_dwordx2 v[12:13], v[6:7]
.LBB346_14:
	s_or_b64 exec, exec, s[6:7]
	v_add_u32_e32 v6, 16, v8
	v_cmp_le_i32_e32 vcc, v6, v14
	s_and_b64 s[6:7], s[2:3], vcc
	v_ashrrev_i32_e32 v7, 31, v6
	s_and_saveexec_b64 s[2:3], s[6:7]
	s_cbranch_execz .LBB346_18
; %bb.15:
	v_mul_f64 v[4:5], s[12:13], v[4:5]
	s_and_b64 vcc, exec, s[0:1]
	v_lshl_add_u64 v[10:11], v[6:7], 3, v[10:11]
	s_cbranch_vccnz .LBB346_17
; %bb.16:
	flat_load_dwordx2 v[12:13], v[10:11]
	s_waitcnt vmcnt(0) lgkmcnt(0)
	v_fmac_f64_e32 v[4:5], s[10:11], v[12:13]
.LBB346_17:
	flat_store_dwordx2 v[10:11], v[4:5]
.LBB346_18:
	s_or_b64 exec, exec, s[2:3]
	v_add_u32_e32 v10, 16, v14
	v_cmp_gt_i32_e64 s[2:3], s16, v10
	v_mad_i64_i32 v[4:5], s[6:7], v10, s8, 0
	v_cmp_le_i32_e32 vcc, v8, v10
	v_lshl_add_u64 v[4:5], v[4:5], 3, s[4:5]
	s_and_b64 s[6:7], s[2:3], vcc
	s_and_saveexec_b64 s[4:5], s[6:7]
	s_cbranch_execz .LBB346_22
; %bb.19:
	v_mul_f64 v[2:3], s[12:13], v[2:3]
	s_and_b64 vcc, exec, s[0:1]
	v_lshl_add_u64 v[8:9], v[8:9], 3, v[4:5]
	s_cbranch_vccnz .LBB346_21
; %bb.20:
	flat_load_dwordx2 v[12:13], v[8:9]
	s_waitcnt vmcnt(0) lgkmcnt(0)
	v_fmac_f64_e32 v[2:3], s[10:11], v[12:13]
.LBB346_21:
	flat_store_dwordx2 v[8:9], v[2:3]
.LBB346_22:
	s_or_b64 exec, exec, s[4:5]
	v_cmp_le_i32_e32 vcc, v6, v10
	s_and_b64 s[2:3], s[2:3], vcc
	s_and_saveexec_b64 s[4:5], s[2:3]
	s_cbranch_execz .LBB346_26
; %bb.23:
	v_mul_f64 v[0:1], s[12:13], v[0:1]
	s_and_b64 vcc, exec, s[0:1]
	v_lshl_add_u64 v[2:3], v[6:7], 3, v[4:5]
	s_cbranch_vccnz .LBB346_25
; %bb.24:
	flat_load_dwordx2 v[4:5], v[2:3]
	s_waitcnt vmcnt(0) lgkmcnt(0)
	v_fmac_f64_e32 v[0:1], s[10:11], v[4:5]
.LBB346_25:
	flat_store_dwordx2 v[2:3], v[0:1]
.LBB346_26:
	s_endpgm
	.section	.rodata,"a",@progbits
	.p2align	6, 0x0
	.amdhsa_kernel _ZL29rocblas_internal_gemmt_kernelIiLi16ELi32ELi8ELc84ELc84ELc85ELb0ELb0EddPKPKdPKPdEviT_T9_T10_S7_lS9_S7_lS8_T11_S7_li
		.amdhsa_group_segment_fixed_size 4096
		.amdhsa_private_segment_fixed_size 0
		.amdhsa_kernarg_size 100
		.amdhsa_user_sgpr_count 2
		.amdhsa_user_sgpr_dispatch_ptr 0
		.amdhsa_user_sgpr_queue_ptr 0
		.amdhsa_user_sgpr_kernarg_segment_ptr 1
		.amdhsa_user_sgpr_dispatch_id 0
		.amdhsa_user_sgpr_kernarg_preload_length 0
		.amdhsa_user_sgpr_kernarg_preload_offset 0
		.amdhsa_user_sgpr_private_segment_size 0
		.amdhsa_uses_dynamic_stack 0
		.amdhsa_enable_private_segment 0
		.amdhsa_system_sgpr_workgroup_id_x 1
		.amdhsa_system_sgpr_workgroup_id_y 1
		.amdhsa_system_sgpr_workgroup_id_z 1
		.amdhsa_system_sgpr_workgroup_info 0
		.amdhsa_system_vgpr_workitem_id 1
		.amdhsa_next_free_vgpr 52
		.amdhsa_next_free_sgpr 28
		.amdhsa_accum_offset 52
		.amdhsa_reserve_vcc 1
		.amdhsa_float_round_mode_32 0
		.amdhsa_float_round_mode_16_64 0
		.amdhsa_float_denorm_mode_32 3
		.amdhsa_float_denorm_mode_16_64 3
		.amdhsa_dx10_clamp 1
		.amdhsa_ieee_mode 1
		.amdhsa_fp16_overflow 0
		.amdhsa_tg_split 0
		.amdhsa_exception_fp_ieee_invalid_op 0
		.amdhsa_exception_fp_denorm_src 0
		.amdhsa_exception_fp_ieee_div_zero 0
		.amdhsa_exception_fp_ieee_overflow 0
		.amdhsa_exception_fp_ieee_underflow 0
		.amdhsa_exception_fp_ieee_inexact 0
		.amdhsa_exception_int_div_zero 0
	.end_amdhsa_kernel
	.section	.text._ZL29rocblas_internal_gemmt_kernelIiLi16ELi32ELi8ELc84ELc84ELc85ELb0ELb0EddPKPKdPKPdEviT_T9_T10_S7_lS9_S7_lS8_T11_S7_li,"axG",@progbits,_ZL29rocblas_internal_gemmt_kernelIiLi16ELi32ELi8ELc84ELc84ELc85ELb0ELb0EddPKPKdPKPdEviT_T9_T10_S7_lS9_S7_lS8_T11_S7_li,comdat
.Lfunc_end346:
	.size	_ZL29rocblas_internal_gemmt_kernelIiLi16ELi32ELi8ELc84ELc84ELc85ELb0ELb0EddPKPKdPKPdEviT_T9_T10_S7_lS9_S7_lS8_T11_S7_li, .Lfunc_end346-_ZL29rocblas_internal_gemmt_kernelIiLi16ELi32ELi8ELc84ELc84ELc85ELb0ELb0EddPKPKdPKPdEviT_T9_T10_S7_lS9_S7_lS8_T11_S7_li
                                        ; -- End function
	.set _ZL29rocblas_internal_gemmt_kernelIiLi16ELi32ELi8ELc84ELc84ELc85ELb0ELb0EddPKPKdPKPdEviT_T9_T10_S7_lS9_S7_lS8_T11_S7_li.num_vgpr, 52
	.set _ZL29rocblas_internal_gemmt_kernelIiLi16ELi32ELi8ELc84ELc84ELc85ELb0ELb0EddPKPKdPKPdEviT_T9_T10_S7_lS9_S7_lS8_T11_S7_li.num_agpr, 0
	.set _ZL29rocblas_internal_gemmt_kernelIiLi16ELi32ELi8ELc84ELc84ELc85ELb0ELb0EddPKPKdPKPdEviT_T9_T10_S7_lS9_S7_lS8_T11_S7_li.numbered_sgpr, 28
	.set _ZL29rocblas_internal_gemmt_kernelIiLi16ELi32ELi8ELc84ELc84ELc85ELb0ELb0EddPKPKdPKPdEviT_T9_T10_S7_lS9_S7_lS8_T11_S7_li.num_named_barrier, 0
	.set _ZL29rocblas_internal_gemmt_kernelIiLi16ELi32ELi8ELc84ELc84ELc85ELb0ELb0EddPKPKdPKPdEviT_T9_T10_S7_lS9_S7_lS8_T11_S7_li.private_seg_size, 0
	.set _ZL29rocblas_internal_gemmt_kernelIiLi16ELi32ELi8ELc84ELc84ELc85ELb0ELb0EddPKPKdPKPdEviT_T9_T10_S7_lS9_S7_lS8_T11_S7_li.uses_vcc, 1
	.set _ZL29rocblas_internal_gemmt_kernelIiLi16ELi32ELi8ELc84ELc84ELc85ELb0ELb0EddPKPKdPKPdEviT_T9_T10_S7_lS9_S7_lS8_T11_S7_li.uses_flat_scratch, 0
	.set _ZL29rocblas_internal_gemmt_kernelIiLi16ELi32ELi8ELc84ELc84ELc85ELb0ELb0EddPKPKdPKPdEviT_T9_T10_S7_lS9_S7_lS8_T11_S7_li.has_dyn_sized_stack, 0
	.set _ZL29rocblas_internal_gemmt_kernelIiLi16ELi32ELi8ELc84ELc84ELc85ELb0ELb0EddPKPKdPKPdEviT_T9_T10_S7_lS9_S7_lS8_T11_S7_li.has_recursion, 0
	.set _ZL29rocblas_internal_gemmt_kernelIiLi16ELi32ELi8ELc84ELc84ELc85ELb0ELb0EddPKPKdPKPdEviT_T9_T10_S7_lS9_S7_lS8_T11_S7_li.has_indirect_call, 0
	.section	.AMDGPU.csdata,"",@progbits
; Kernel info:
; codeLenInByte = 1300
; TotalNumSgprs: 34
; NumVgprs: 52
; NumAgprs: 0
; TotalNumVgprs: 52
; ScratchSize: 0
; MemoryBound: 0
; FloatMode: 240
; IeeeMode: 1
; LDSByteSize: 4096 bytes/workgroup (compile time only)
; SGPRBlocks: 4
; VGPRBlocks: 6
; NumSGPRsForWavesPerEU: 34
; NumVGPRsForWavesPerEU: 52
; AccumOffset: 52
; Occupancy: 8
; WaveLimiterHint : 1
; COMPUTE_PGM_RSRC2:SCRATCH_EN: 0
; COMPUTE_PGM_RSRC2:USER_SGPR: 2
; COMPUTE_PGM_RSRC2:TRAP_HANDLER: 0
; COMPUTE_PGM_RSRC2:TGID_X_EN: 1
; COMPUTE_PGM_RSRC2:TGID_Y_EN: 1
; COMPUTE_PGM_RSRC2:TGID_Z_EN: 1
; COMPUTE_PGM_RSRC2:TIDIG_COMP_CNT: 1
; COMPUTE_PGM_RSRC3_GFX90A:ACCUM_OFFSET: 12
; COMPUTE_PGM_RSRC3_GFX90A:TG_SPLIT: 0
	.section	.text._ZL29rocblas_internal_gemmt_kernelIiLi16ELi32ELi8ELc84ELc67ELc85ELb0ELb0EddPKPKdPKPdEviT_T9_T10_S7_lS9_S7_lS8_T11_S7_li,"axG",@progbits,_ZL29rocblas_internal_gemmt_kernelIiLi16ELi32ELi8ELc84ELc67ELc85ELb0ELb0EddPKPKdPKPdEviT_T9_T10_S7_lS9_S7_lS8_T11_S7_li,comdat
	.globl	_ZL29rocblas_internal_gemmt_kernelIiLi16ELi32ELi8ELc84ELc67ELc85ELb0ELb0EddPKPKdPKPdEviT_T9_T10_S7_lS9_S7_lS8_T11_S7_li ; -- Begin function _ZL29rocblas_internal_gemmt_kernelIiLi16ELi32ELi8ELc84ELc67ELc85ELb0ELb0EddPKPKdPKPdEviT_T9_T10_S7_lS9_S7_lS8_T11_S7_li
	.p2align	8
	.type	_ZL29rocblas_internal_gemmt_kernelIiLi16ELi32ELi8ELc84ELc67ELc85ELb0ELb0EddPKPKdPKPdEviT_T9_T10_S7_lS9_S7_lS8_T11_S7_li,@function
_ZL29rocblas_internal_gemmt_kernelIiLi16ELi32ELi8ELc84ELc67ELc85ELb0ELb0EddPKPKdPKPdEviT_T9_T10_S7_lS9_S7_lS8_T11_S7_li: ; @_ZL29rocblas_internal_gemmt_kernelIiLi16ELi32ELi8ELc84ELc67ELc85ELb0ELb0EddPKPKdPKPdEviT_T9_T10_S7_lS9_S7_lS8_T11_S7_li
; %bb.0:
	s_load_dwordx4 s[8:11], s[0:1], 0x38
	s_load_dwordx2 s[16:17], s[0:1], 0x0
	s_load_dwordx4 s[12:15], s[0:1], 0x8
	s_waitcnt lgkmcnt(0)
	v_cmp_neq_f64_e64 s[6:7], s[10:11], 1.0
	s_and_b64 vcc, exec, s[6:7]
	s_cbranch_vccnz .LBB347_2
; %bb.1:
	s_cmp_lg_u32 s17, 0
	s_cselect_b64 s[6:7], -1, 0
	v_cmp_neq_f64_e64 s[18:19], s[12:13], 0
	s_and_b64 s[6:7], s[6:7], s[18:19]
.LBB347_2:
	s_andn2_b64 vcc, exec, s[6:7]
	s_cbranch_vccnz .LBB347_26
; %bb.3:
	s_load_dwordx2 s[18:19], s[0:1], 0x48
	s_mov_b32 s5, 0
	s_lshl_b64 s[6:7], s[4:5], 3
	v_and_b32_e32 v12, 0x3ff, v0
	v_bfe_u32 v13, v0, 10, 10
	s_waitcnt lgkmcnt(0)
	s_add_u32 s18, s18, s6
	s_addc_u32 s19, s19, s7
	s_load_dwordx2 s[18:19], s[18:19], 0x0
	s_lshl_b32 s4, s2, 5
	s_lshl_b32 s20, s3, 5
	s_cmp_lt_i32 s17, 1
	v_cmp_eq_f64_e64 s[2:3], s[12:13], 0
	s_cselect_b64 s[22:23], -1, 0
	s_or_b64 s[2:3], s[2:3], s[22:23]
	v_mov_b64_e32 v[6:7], 0
	s_and_b64 vcc, exec, s[2:3]
	v_mov_b64_e32 v[4:5], 0
	v_mov_b64_e32 v[2:3], 0
	;; [unrolled: 1-line block ×3, first 2 shown]
	s_cbranch_vccnz .LBB347_10
; %bb.4:
	s_load_dword s21, s[0:1], 0x18
	s_load_dword s22, s[0:1], 0x30
	s_load_dwordx4 s[24:27], s[0:1], 0x20
	v_lshl_add_u32 v1, v13, 4, v12
	v_and_b32_e32 v3, 31, v1
	v_lshrrev_b32_e32 v15, 5, v1
	s_waitcnt lgkmcnt(0)
	s_ashr_i32 s23, s22, 31
	v_lshrrev_b32_e32 v2, 3, v1
	v_or_b32_e32 v1, s4, v3
	s_add_u32 s2, s26, s6
	v_and_b32_e32 v14, 7, v12
	s_addc_u32 s3, s27, s7
	v_cmp_gt_i32_e32 vcc, s16, v1
	v_lshlrev_b32_e32 v1, 3, v3
	s_load_dwordx2 s[26:27], s[2:3], 0x0
	s_add_u32 s2, s14, s6
	v_lshl_or_b32 v16, v15, 8, v1
	v_lshlrev_b32_e32 v1, 3, v14
	v_add_u32_e32 v0, s20, v2
	s_addc_u32 s3, s15, s7
	v_lshl_or_b32 v1, v2, 6, v1
	v_mov_b32_e32 v2, 0x800
	s_load_dwordx2 s[6:7], s[2:3], 0x0
	v_lshl_add_u32 v19, v13, 6, v2
	v_add_u32_e32 v2, s4, v3
	v_mad_i64_i32 v[2:3], s[14:15], s21, v2, 0
	s_lshl_b64 s[14:15], s[24:25], 3
	s_nop 0
	v_lshl_add_u64 v[2:3], v[2:3], 3, s[14:15]
	v_lshlrev_b32_e32 v4, 3, v15
	v_mov_b32_e32 v5, 0
	v_lshl_add_u64 v[2:3], v[2:3], 0, v[4:5]
	s_waitcnt lgkmcnt(0)
	v_lshl_add_u64 v[8:9], s[6:7], 0, v[2:3]
	v_mad_i64_i32 v[2:3], s[6:7], s22, v14, 0
	s_lshl_b64 s[6:7], s[8:9], 3
	v_add_u32_e32 v17, 0x800, v1
	v_ashrrev_i32_e32 v1, 31, v0
	v_lshl_add_u64 v[2:3], v[2:3], 3, s[6:7]
	v_cmp_gt_i32_e64 s[2:3], s16, v0
	v_lshl_add_u64 v[0:1], v[0:1], 3, v[2:3]
	v_lshlrev_b32_e32 v18, 3, v12
	v_lshl_add_u64 v[10:11], s[26:27], 0, v[0:1]
	s_lshl_b64 s[8:9], s[22:23], 6
	v_mov_b64_e32 v[0:1], 0
	v_mov_b64_e32 v[2:3], 0
	;; [unrolled: 1-line block ×4, first 2 shown]
	s_branch .LBB347_6
.LBB347_5:                              ;   in Loop: Header=BB347_6 Depth=1
	s_or_b64 exec, exec, s[6:7]
	s_waitcnt vmcnt(0) lgkmcnt(0)
	ds_write_b64 v17, v[20:21]
	s_waitcnt lgkmcnt(0)
	s_barrier
	ds_read2_b64 v[20:23], v18 offset1:16
	ds_read_b128 v[24:27], v19
	ds_read_b128 v[28:31], v19 offset:16
	ds_read_b128 v[32:35], v19 offset:32
	;; [unrolled: 1-line block ×4, first 2 shown]
	ds_read2_b64 v[44:47], v18 offset0:32 offset1:48
	s_waitcnt lgkmcnt(5)
	v_fmac_f64_e32 v[6:7], v[20:21], v[24:25]
	v_fmac_f64_e32 v[4:5], v[22:23], v[24:25]
	ds_read_b128 v[48:51], v19 offset:1040
	s_waitcnt lgkmcnt(2)
	v_fmac_f64_e32 v[2:3], v[20:21], v[40:41]
	v_fmac_f64_e32 v[0:1], v[22:23], v[40:41]
	ds_read2_b64 v[20:23], v18 offset0:64 offset1:80
	s_waitcnt lgkmcnt(2)
	v_fmac_f64_e32 v[6:7], v[44:45], v[26:27]
	v_fmac_f64_e32 v[4:5], v[46:47], v[26:27]
	ds_read2_b64 v[24:27], v18 offset0:96 offset1:112
	v_fmac_f64_e32 v[2:3], v[44:45], v[42:43]
	v_fmac_f64_e32 v[0:1], v[46:47], v[42:43]
	s_waitcnt lgkmcnt(1)
	v_fmac_f64_e32 v[6:7], v[20:21], v[28:29]
	v_fmac_f64_e32 v[4:5], v[22:23], v[28:29]
	ds_read_b128 v[40:43], v19 offset:1072
	v_fmac_f64_e32 v[2:3], v[20:21], v[48:49]
	v_fmac_f64_e32 v[0:1], v[22:23], v[48:49]
	s_waitcnt lgkmcnt(1)
	v_fmac_f64_e32 v[6:7], v[24:25], v[30:31]
	ds_read2_b64 v[20:23], v18 offset0:128 offset1:144
	v_fmac_f64_e32 v[4:5], v[26:27], v[30:31]
	v_fmac_f64_e32 v[2:3], v[24:25], v[50:51]
	;; [unrolled: 1-line block ×3, first 2 shown]
	ds_read_b128 v[24:27], v19 offset:1056
	ds_read2_b64 v[28:31], v18 offset0:160 offset1:176
	s_waitcnt lgkmcnt(2)
	v_fmac_f64_e32 v[6:7], v[20:21], v[32:33]
	v_fmac_f64_e32 v[4:5], v[22:23], v[32:33]
	s_add_i32 s5, s5, 8
	s_waitcnt lgkmcnt(1)
	v_fmac_f64_e32 v[2:3], v[20:21], v[24:25]
	v_fmac_f64_e32 v[0:1], v[22:23], v[24:25]
	ds_read2_b64 v[20:23], v18 offset0:192 offset1:208
	s_waitcnt lgkmcnt(1)
	v_fmac_f64_e32 v[2:3], v[28:29], v[26:27]
	v_fmac_f64_e32 v[0:1], v[30:31], v[26:27]
	ds_read2_b64 v[24:27], v18 offset0:224 offset1:240
	v_fmac_f64_e32 v[6:7], v[28:29], v[34:35]
	v_fmac_f64_e32 v[4:5], v[30:31], v[34:35]
	s_waitcnt lgkmcnt(1)
	v_fmac_f64_e32 v[6:7], v[20:21], v[36:37]
	v_fmac_f64_e32 v[4:5], v[22:23], v[36:37]
	;; [unrolled: 1-line block ×4, first 2 shown]
	s_waitcnt lgkmcnt(0)
	v_fmac_f64_e32 v[6:7], v[24:25], v[38:39]
	v_fmac_f64_e32 v[4:5], v[26:27], v[38:39]
	;; [unrolled: 1-line block ×4, first 2 shown]
	v_lshl_add_u64 v[8:9], v[8:9], 0, 64
	s_cmp_lt_i32 s5, s17
	v_lshl_add_u64 v[10:11], v[10:11], 0, s[8:9]
	s_barrier
	s_cbranch_scc0 .LBB347_10
.LBB347_6:                              ; =>This Inner Loop Header: Depth=1
	v_add_u32_e32 v20, s5, v15
	v_cmp_gt_i32_e64 s[6:7], s17, v20
	s_and_b64 s[14:15], vcc, s[6:7]
	v_mov_b64_e32 v[20:21], 0
	s_and_saveexec_b64 s[6:7], s[14:15]
	s_cbranch_execz .LBB347_8
; %bb.7:                                ;   in Loop: Header=BB347_6 Depth=1
	flat_load_dwordx2 v[20:21], v[8:9]
.LBB347_8:                              ;   in Loop: Header=BB347_6 Depth=1
	s_or_b64 exec, exec, s[6:7]
	s_waitcnt vmcnt(0) lgkmcnt(0)
	ds_write_b64 v16, v[20:21]
	v_add_u32_e32 v20, s5, v14
	v_cmp_gt_i32_e64 s[6:7], s17, v20
	s_and_b64 s[14:15], s[6:7], s[2:3]
	v_mov_b64_e32 v[20:21], 0
	s_and_saveexec_b64 s[6:7], s[14:15]
	s_cbranch_execz .LBB347_5
; %bb.9:                                ;   in Loop: Header=BB347_6 Depth=1
	flat_load_dwordx2 v[20:21], v[10:11]
	s_branch .LBB347_5
.LBB347_10:
	s_load_dwordx2 s[6:7], s[0:1], 0x58
	s_load_dword s8, s[0:1], 0x50
	v_add_u32_e32 v8, s4, v12
	v_add_u32_e32 v14, s20, v13
	v_cmp_gt_i32_e64 s[2:3], s16, v14
	s_waitcnt lgkmcnt(0)
	s_lshl_b64 s[0:1], s[6:7], 3
	s_add_u32 s4, s18, s0
	s_addc_u32 s5, s19, s1
	v_mad_i64_i32 v[10:11], s[0:1], v14, s8, 0
	v_cmp_neq_f64_e64 s[0:1], s[10:11], 0
	v_cmp_le_i32_e32 vcc, v8, v14
	v_lshl_add_u64 v[10:11], v[10:11], 3, s[4:5]
	v_cndmask_b32_e64 v12, 0, 1, s[0:1]
	s_and_b64 s[14:15], s[2:3], vcc
	v_ashrrev_i32_e32 v9, 31, v8
	v_cmp_ne_u32_e64 s[0:1], 1, v12
	s_and_saveexec_b64 s[6:7], s[14:15]
	s_cbranch_execz .LBB347_14
; %bb.11:
	v_mul_f64 v[6:7], s[12:13], v[6:7]
	s_and_b64 vcc, exec, s[0:1]
	v_lshl_add_u64 v[12:13], v[8:9], 3, v[10:11]
	s_cbranch_vccnz .LBB347_13
; %bb.12:
	flat_load_dwordx2 v[16:17], v[12:13]
	s_waitcnt vmcnt(0) lgkmcnt(0)
	v_fmac_f64_e32 v[6:7], s[10:11], v[16:17]
.LBB347_13:
	flat_store_dwordx2 v[12:13], v[6:7]
.LBB347_14:
	s_or_b64 exec, exec, s[6:7]
	v_add_u32_e32 v6, 16, v8
	v_cmp_le_i32_e32 vcc, v6, v14
	s_and_b64 s[6:7], s[2:3], vcc
	v_ashrrev_i32_e32 v7, 31, v6
	s_and_saveexec_b64 s[2:3], s[6:7]
	s_cbranch_execz .LBB347_18
; %bb.15:
	v_mul_f64 v[4:5], s[12:13], v[4:5]
	s_and_b64 vcc, exec, s[0:1]
	v_lshl_add_u64 v[10:11], v[6:7], 3, v[10:11]
	s_cbranch_vccnz .LBB347_17
; %bb.16:
	flat_load_dwordx2 v[12:13], v[10:11]
	s_waitcnt vmcnt(0) lgkmcnt(0)
	v_fmac_f64_e32 v[4:5], s[10:11], v[12:13]
.LBB347_17:
	flat_store_dwordx2 v[10:11], v[4:5]
.LBB347_18:
	s_or_b64 exec, exec, s[2:3]
	v_add_u32_e32 v10, 16, v14
	v_cmp_gt_i32_e64 s[2:3], s16, v10
	v_mad_i64_i32 v[4:5], s[6:7], v10, s8, 0
	v_cmp_le_i32_e32 vcc, v8, v10
	v_lshl_add_u64 v[4:5], v[4:5], 3, s[4:5]
	s_and_b64 s[6:7], s[2:3], vcc
	s_and_saveexec_b64 s[4:5], s[6:7]
	s_cbranch_execz .LBB347_22
; %bb.19:
	v_mul_f64 v[2:3], s[12:13], v[2:3]
	s_and_b64 vcc, exec, s[0:1]
	v_lshl_add_u64 v[8:9], v[8:9], 3, v[4:5]
	s_cbranch_vccnz .LBB347_21
; %bb.20:
	flat_load_dwordx2 v[12:13], v[8:9]
	s_waitcnt vmcnt(0) lgkmcnt(0)
	v_fmac_f64_e32 v[2:3], s[10:11], v[12:13]
.LBB347_21:
	flat_store_dwordx2 v[8:9], v[2:3]
.LBB347_22:
	s_or_b64 exec, exec, s[4:5]
	v_cmp_le_i32_e32 vcc, v6, v10
	s_and_b64 s[2:3], s[2:3], vcc
	s_and_saveexec_b64 s[4:5], s[2:3]
	s_cbranch_execz .LBB347_26
; %bb.23:
	v_mul_f64 v[0:1], s[12:13], v[0:1]
	s_and_b64 vcc, exec, s[0:1]
	v_lshl_add_u64 v[2:3], v[6:7], 3, v[4:5]
	s_cbranch_vccnz .LBB347_25
; %bb.24:
	flat_load_dwordx2 v[4:5], v[2:3]
	s_waitcnt vmcnt(0) lgkmcnt(0)
	v_fmac_f64_e32 v[0:1], s[10:11], v[4:5]
.LBB347_25:
	flat_store_dwordx2 v[2:3], v[0:1]
.LBB347_26:
	s_endpgm
	.section	.rodata,"a",@progbits
	.p2align	6, 0x0
	.amdhsa_kernel _ZL29rocblas_internal_gemmt_kernelIiLi16ELi32ELi8ELc84ELc67ELc85ELb0ELb0EddPKPKdPKPdEviT_T9_T10_S7_lS9_S7_lS8_T11_S7_li
		.amdhsa_group_segment_fixed_size 4096
		.amdhsa_private_segment_fixed_size 0
		.amdhsa_kernarg_size 100
		.amdhsa_user_sgpr_count 2
		.amdhsa_user_sgpr_dispatch_ptr 0
		.amdhsa_user_sgpr_queue_ptr 0
		.amdhsa_user_sgpr_kernarg_segment_ptr 1
		.amdhsa_user_sgpr_dispatch_id 0
		.amdhsa_user_sgpr_kernarg_preload_length 0
		.amdhsa_user_sgpr_kernarg_preload_offset 0
		.amdhsa_user_sgpr_private_segment_size 0
		.amdhsa_uses_dynamic_stack 0
		.amdhsa_enable_private_segment 0
		.amdhsa_system_sgpr_workgroup_id_x 1
		.amdhsa_system_sgpr_workgroup_id_y 1
		.amdhsa_system_sgpr_workgroup_id_z 1
		.amdhsa_system_sgpr_workgroup_info 0
		.amdhsa_system_vgpr_workitem_id 1
		.amdhsa_next_free_vgpr 52
		.amdhsa_next_free_sgpr 28
		.amdhsa_accum_offset 52
		.amdhsa_reserve_vcc 1
		.amdhsa_float_round_mode_32 0
		.amdhsa_float_round_mode_16_64 0
		.amdhsa_float_denorm_mode_32 3
		.amdhsa_float_denorm_mode_16_64 3
		.amdhsa_dx10_clamp 1
		.amdhsa_ieee_mode 1
		.amdhsa_fp16_overflow 0
		.amdhsa_tg_split 0
		.amdhsa_exception_fp_ieee_invalid_op 0
		.amdhsa_exception_fp_denorm_src 0
		.amdhsa_exception_fp_ieee_div_zero 0
		.amdhsa_exception_fp_ieee_overflow 0
		.amdhsa_exception_fp_ieee_underflow 0
		.amdhsa_exception_fp_ieee_inexact 0
		.amdhsa_exception_int_div_zero 0
	.end_amdhsa_kernel
	.section	.text._ZL29rocblas_internal_gemmt_kernelIiLi16ELi32ELi8ELc84ELc67ELc85ELb0ELb0EddPKPKdPKPdEviT_T9_T10_S7_lS9_S7_lS8_T11_S7_li,"axG",@progbits,_ZL29rocblas_internal_gemmt_kernelIiLi16ELi32ELi8ELc84ELc67ELc85ELb0ELb0EddPKPKdPKPdEviT_T9_T10_S7_lS9_S7_lS8_T11_S7_li,comdat
.Lfunc_end347:
	.size	_ZL29rocblas_internal_gemmt_kernelIiLi16ELi32ELi8ELc84ELc67ELc85ELb0ELb0EddPKPKdPKPdEviT_T9_T10_S7_lS9_S7_lS8_T11_S7_li, .Lfunc_end347-_ZL29rocblas_internal_gemmt_kernelIiLi16ELi32ELi8ELc84ELc67ELc85ELb0ELb0EddPKPKdPKPdEviT_T9_T10_S7_lS9_S7_lS8_T11_S7_li
                                        ; -- End function
	.set _ZL29rocblas_internal_gemmt_kernelIiLi16ELi32ELi8ELc84ELc67ELc85ELb0ELb0EddPKPKdPKPdEviT_T9_T10_S7_lS9_S7_lS8_T11_S7_li.num_vgpr, 52
	.set _ZL29rocblas_internal_gemmt_kernelIiLi16ELi32ELi8ELc84ELc67ELc85ELb0ELb0EddPKPKdPKPdEviT_T9_T10_S7_lS9_S7_lS8_T11_S7_li.num_agpr, 0
	.set _ZL29rocblas_internal_gemmt_kernelIiLi16ELi32ELi8ELc84ELc67ELc85ELb0ELb0EddPKPKdPKPdEviT_T9_T10_S7_lS9_S7_lS8_T11_S7_li.numbered_sgpr, 28
	.set _ZL29rocblas_internal_gemmt_kernelIiLi16ELi32ELi8ELc84ELc67ELc85ELb0ELb0EddPKPKdPKPdEviT_T9_T10_S7_lS9_S7_lS8_T11_S7_li.num_named_barrier, 0
	.set _ZL29rocblas_internal_gemmt_kernelIiLi16ELi32ELi8ELc84ELc67ELc85ELb0ELb0EddPKPKdPKPdEviT_T9_T10_S7_lS9_S7_lS8_T11_S7_li.private_seg_size, 0
	.set _ZL29rocblas_internal_gemmt_kernelIiLi16ELi32ELi8ELc84ELc67ELc85ELb0ELb0EddPKPKdPKPdEviT_T9_T10_S7_lS9_S7_lS8_T11_S7_li.uses_vcc, 1
	.set _ZL29rocblas_internal_gemmt_kernelIiLi16ELi32ELi8ELc84ELc67ELc85ELb0ELb0EddPKPKdPKPdEviT_T9_T10_S7_lS9_S7_lS8_T11_S7_li.uses_flat_scratch, 0
	.set _ZL29rocblas_internal_gemmt_kernelIiLi16ELi32ELi8ELc84ELc67ELc85ELb0ELb0EddPKPKdPKPdEviT_T9_T10_S7_lS9_S7_lS8_T11_S7_li.has_dyn_sized_stack, 0
	.set _ZL29rocblas_internal_gemmt_kernelIiLi16ELi32ELi8ELc84ELc67ELc85ELb0ELb0EddPKPKdPKPdEviT_T9_T10_S7_lS9_S7_lS8_T11_S7_li.has_recursion, 0
	.set _ZL29rocblas_internal_gemmt_kernelIiLi16ELi32ELi8ELc84ELc67ELc85ELb0ELb0EddPKPKdPKPdEviT_T9_T10_S7_lS9_S7_lS8_T11_S7_li.has_indirect_call, 0
	.section	.AMDGPU.csdata,"",@progbits
; Kernel info:
; codeLenInByte = 1300
; TotalNumSgprs: 34
; NumVgprs: 52
; NumAgprs: 0
; TotalNumVgprs: 52
; ScratchSize: 0
; MemoryBound: 0
; FloatMode: 240
; IeeeMode: 1
; LDSByteSize: 4096 bytes/workgroup (compile time only)
; SGPRBlocks: 4
; VGPRBlocks: 6
; NumSGPRsForWavesPerEU: 34
; NumVGPRsForWavesPerEU: 52
; AccumOffset: 52
; Occupancy: 8
; WaveLimiterHint : 1
; COMPUTE_PGM_RSRC2:SCRATCH_EN: 0
; COMPUTE_PGM_RSRC2:USER_SGPR: 2
; COMPUTE_PGM_RSRC2:TRAP_HANDLER: 0
; COMPUTE_PGM_RSRC2:TGID_X_EN: 1
; COMPUTE_PGM_RSRC2:TGID_Y_EN: 1
; COMPUTE_PGM_RSRC2:TGID_Z_EN: 1
; COMPUTE_PGM_RSRC2:TIDIG_COMP_CNT: 1
; COMPUTE_PGM_RSRC3_GFX90A:ACCUM_OFFSET: 12
; COMPUTE_PGM_RSRC3_GFX90A:TG_SPLIT: 0
	.section	.text._ZL29rocblas_internal_gemmt_kernelIiLi16ELi32ELi8ELc67ELc78ELc85ELb0ELb0EddPKPKdPKPdEviT_T9_T10_S7_lS9_S7_lS8_T11_S7_li,"axG",@progbits,_ZL29rocblas_internal_gemmt_kernelIiLi16ELi32ELi8ELc67ELc78ELc85ELb0ELb0EddPKPKdPKPdEviT_T9_T10_S7_lS9_S7_lS8_T11_S7_li,comdat
	.globl	_ZL29rocblas_internal_gemmt_kernelIiLi16ELi32ELi8ELc67ELc78ELc85ELb0ELb0EddPKPKdPKPdEviT_T9_T10_S7_lS9_S7_lS8_T11_S7_li ; -- Begin function _ZL29rocblas_internal_gemmt_kernelIiLi16ELi32ELi8ELc67ELc78ELc85ELb0ELb0EddPKPKdPKPdEviT_T9_T10_S7_lS9_S7_lS8_T11_S7_li
	.p2align	8
	.type	_ZL29rocblas_internal_gemmt_kernelIiLi16ELi32ELi8ELc67ELc78ELc85ELb0ELb0EddPKPKdPKPdEviT_T9_T10_S7_lS9_S7_lS8_T11_S7_li,@function
_ZL29rocblas_internal_gemmt_kernelIiLi16ELi32ELi8ELc67ELc78ELc85ELb0ELb0EddPKPKdPKPdEviT_T9_T10_S7_lS9_S7_lS8_T11_S7_li: ; @_ZL29rocblas_internal_gemmt_kernelIiLi16ELi32ELi8ELc67ELc78ELc85ELb0ELb0EddPKPKdPKPdEviT_T9_T10_S7_lS9_S7_lS8_T11_S7_li
; %bb.0:
	s_load_dwordx4 s[8:11], s[0:1], 0x38
	s_load_dwordx2 s[16:17], s[0:1], 0x0
	s_load_dwordx4 s[12:15], s[0:1], 0x8
	s_waitcnt lgkmcnt(0)
	v_cmp_neq_f64_e64 s[6:7], s[10:11], 1.0
	s_and_b64 vcc, exec, s[6:7]
	s_cbranch_vccnz .LBB348_2
; %bb.1:
	s_cmp_lg_u32 s17, 0
	s_cselect_b64 s[6:7], -1, 0
	v_cmp_neq_f64_e64 s[18:19], s[12:13], 0
	s_and_b64 s[6:7], s[6:7], s[18:19]
.LBB348_2:
	s_andn2_b64 vcc, exec, s[6:7]
	s_cbranch_vccnz .LBB348_26
; %bb.3:
	s_load_dwordx2 s[18:19], s[0:1], 0x48
	s_mov_b32 s5, 0
	s_lshl_b64 s[6:7], s[4:5], 3
	v_and_b32_e32 v12, 0x3ff, v0
	v_bfe_u32 v13, v0, 10, 10
	s_waitcnt lgkmcnt(0)
	s_add_u32 s18, s18, s6
	s_addc_u32 s19, s19, s7
	s_load_dwordx2 s[18:19], s[18:19], 0x0
	s_lshl_b32 s4, s2, 5
	s_lshl_b32 s20, s3, 5
	s_cmp_lt_i32 s17, 1
	v_cmp_eq_f64_e64 s[2:3], s[12:13], 0
	s_cselect_b64 s[22:23], -1, 0
	s_or_b64 s[2:3], s[2:3], s[22:23]
	v_mov_b64_e32 v[6:7], 0
	s_and_b64 vcc, exec, s[2:3]
	v_mov_b64_e32 v[4:5], 0
	v_mov_b64_e32 v[2:3], 0
	;; [unrolled: 1-line block ×3, first 2 shown]
	s_cbranch_vccnz .LBB348_10
; %bb.4:
	s_load_dword s21, s[0:1], 0x18
	s_load_dwordx4 s[24:27], s[0:1], 0x20
	s_load_dword s28, s[0:1], 0x30
	v_lshl_add_u32 v0, v13, 4, v12
	v_and_b32_e32 v2, 31, v0
	v_lshrrev_b32_e32 v15, 5, v0
	v_lshrrev_b32_e32 v1, 3, v0
	v_or_b32_e32 v0, s4, v2
	v_and_b32_e32 v14, 7, v12
	s_waitcnt lgkmcnt(0)
	s_add_u32 s2, s26, s6
	v_cmp_gt_i32_e32 vcc, s16, v0
	v_lshlrev_b32_e32 v0, 3, v2
	s_addc_u32 s3, s27, s7
	v_lshl_or_b32 v16, v15, 8, v0
	v_lshlrev_b32_e32 v0, 3, v14
	v_add_u32_e32 v6, s20, v1
	s_load_dwordx2 s[22:23], s[2:3], 0x0
	s_add_u32 s2, s14, s6
	v_lshl_or_b32 v1, v1, 6, v0
	s_addc_u32 s3, s15, s7
	v_add_u32_e32 v17, 0x800, v1
	v_mov_b32_e32 v1, 0x800
	s_load_dwordx2 s[6:7], s[2:3], 0x0
	v_lshl_add_u32 v19, v13, 6, v1
	v_add_u32_e32 v1, s4, v2
	v_mad_i64_i32 v[2:3], s[14:15], s21, v1, 0
	s_lshl_b64 s[14:15], s[24:25], 3
	s_nop 0
	v_lshl_add_u64 v[2:3], v[2:3], 3, s[14:15]
	v_lshlrev_b32_e32 v4, 3, v15
	v_mov_b32_e32 v5, 0
	v_lshl_add_u64 v[2:3], v[2:3], 0, v[4:5]
	s_waitcnt lgkmcnt(0)
	v_lshl_add_u64 v[8:9], s[6:7], 0, v[2:3]
	v_mad_i64_i32 v[2:3], s[6:7], s28, v6, 0
	s_lshl_b64 s[6:7], s[8:9], 3
	s_nop 0
	v_lshl_add_u64 v[2:3], v[2:3], 3, s[6:7]
	v_mov_b32_e32 v1, v5
	v_lshl_add_u64 v[0:1], v[2:3], 0, v[0:1]
	v_cmp_gt_i32_e64 s[2:3], s16, v6
	v_lshlrev_b32_e32 v18, 3, v12
	v_lshl_add_u64 v[10:11], s[22:23], 0, v[0:1]
	v_mov_b64_e32 v[0:1], 0
	v_mov_b64_e32 v[2:3], 0
	;; [unrolled: 1-line block ×4, first 2 shown]
	s_branch .LBB348_6
.LBB348_5:                              ;   in Loop: Header=BB348_6 Depth=1
	s_or_b64 exec, exec, s[6:7]
	s_waitcnt vmcnt(0) lgkmcnt(0)
	ds_write_b64 v17, v[20:21]
	s_waitcnt lgkmcnt(0)
	s_barrier
	ds_read2_b64 v[20:23], v18 offset1:16
	ds_read_b128 v[24:27], v19
	ds_read_b128 v[28:31], v19 offset:16
	ds_read_b128 v[32:35], v19 offset:32
	;; [unrolled: 1-line block ×4, first 2 shown]
	ds_read2_b64 v[44:47], v18 offset0:32 offset1:48
	s_waitcnt lgkmcnt(5)
	v_fmac_f64_e32 v[6:7], v[20:21], v[24:25]
	v_fmac_f64_e32 v[4:5], v[22:23], v[24:25]
	ds_read_b128 v[48:51], v19 offset:1040
	s_waitcnt lgkmcnt(2)
	v_fmac_f64_e32 v[2:3], v[20:21], v[40:41]
	v_fmac_f64_e32 v[0:1], v[22:23], v[40:41]
	ds_read2_b64 v[20:23], v18 offset0:64 offset1:80
	s_waitcnt lgkmcnt(2)
	v_fmac_f64_e32 v[6:7], v[44:45], v[26:27]
	v_fmac_f64_e32 v[4:5], v[46:47], v[26:27]
	ds_read2_b64 v[24:27], v18 offset0:96 offset1:112
	v_fmac_f64_e32 v[2:3], v[44:45], v[42:43]
	v_fmac_f64_e32 v[0:1], v[46:47], v[42:43]
	s_waitcnt lgkmcnt(1)
	v_fmac_f64_e32 v[6:7], v[20:21], v[28:29]
	v_fmac_f64_e32 v[4:5], v[22:23], v[28:29]
	ds_read_b128 v[40:43], v19 offset:1072
	v_fmac_f64_e32 v[2:3], v[20:21], v[48:49]
	v_fmac_f64_e32 v[0:1], v[22:23], v[48:49]
	s_waitcnt lgkmcnt(1)
	v_fmac_f64_e32 v[6:7], v[24:25], v[30:31]
	ds_read2_b64 v[20:23], v18 offset0:128 offset1:144
	v_fmac_f64_e32 v[4:5], v[26:27], v[30:31]
	v_fmac_f64_e32 v[2:3], v[24:25], v[50:51]
	v_fmac_f64_e32 v[0:1], v[26:27], v[50:51]
	ds_read_b128 v[24:27], v19 offset:1056
	ds_read2_b64 v[28:31], v18 offset0:160 offset1:176
	s_waitcnt lgkmcnt(2)
	v_fmac_f64_e32 v[6:7], v[20:21], v[32:33]
	v_fmac_f64_e32 v[4:5], v[22:23], v[32:33]
	s_add_i32 s5, s5, 8
	s_waitcnt lgkmcnt(1)
	v_fmac_f64_e32 v[2:3], v[20:21], v[24:25]
	v_fmac_f64_e32 v[0:1], v[22:23], v[24:25]
	ds_read2_b64 v[20:23], v18 offset0:192 offset1:208
	s_waitcnt lgkmcnt(1)
	v_fmac_f64_e32 v[2:3], v[28:29], v[26:27]
	v_fmac_f64_e32 v[0:1], v[30:31], v[26:27]
	ds_read2_b64 v[24:27], v18 offset0:224 offset1:240
	v_fmac_f64_e32 v[6:7], v[28:29], v[34:35]
	v_fmac_f64_e32 v[4:5], v[30:31], v[34:35]
	s_waitcnt lgkmcnt(1)
	v_fmac_f64_e32 v[6:7], v[20:21], v[36:37]
	v_fmac_f64_e32 v[4:5], v[22:23], v[36:37]
	;; [unrolled: 1-line block ×4, first 2 shown]
	s_waitcnt lgkmcnt(0)
	v_fmac_f64_e32 v[6:7], v[24:25], v[38:39]
	v_fmac_f64_e32 v[4:5], v[26:27], v[38:39]
	;; [unrolled: 1-line block ×4, first 2 shown]
	v_lshl_add_u64 v[8:9], v[8:9], 0, 64
	s_cmp_lt_i32 s5, s17
	v_lshl_add_u64 v[10:11], v[10:11], 0, 64
	s_barrier
	s_cbranch_scc0 .LBB348_10
.LBB348_6:                              ; =>This Inner Loop Header: Depth=1
	v_add_u32_e32 v20, s5, v15
	v_cmp_gt_i32_e64 s[6:7], s17, v20
	s_and_b64 s[8:9], vcc, s[6:7]
	v_mov_b64_e32 v[20:21], 0
	s_and_saveexec_b64 s[6:7], s[8:9]
	s_cbranch_execz .LBB348_8
; %bb.7:                                ;   in Loop: Header=BB348_6 Depth=1
	flat_load_dwordx2 v[20:21], v[8:9]
.LBB348_8:                              ;   in Loop: Header=BB348_6 Depth=1
	s_or_b64 exec, exec, s[6:7]
	s_waitcnt vmcnt(0) lgkmcnt(0)
	ds_write_b64 v16, v[20:21]
	v_add_u32_e32 v20, s5, v14
	v_cmp_gt_i32_e64 s[6:7], s17, v20
	s_and_b64 s[8:9], s[6:7], s[2:3]
	v_mov_b64_e32 v[20:21], 0
	s_and_saveexec_b64 s[6:7], s[8:9]
	s_cbranch_execz .LBB348_5
; %bb.9:                                ;   in Loop: Header=BB348_6 Depth=1
	flat_load_dwordx2 v[20:21], v[10:11]
	s_branch .LBB348_5
.LBB348_10:
	s_load_dwordx2 s[6:7], s[0:1], 0x58
	s_load_dword s8, s[0:1], 0x50
	v_add_u32_e32 v8, s4, v12
	v_add_u32_e32 v14, s20, v13
	v_cmp_gt_i32_e64 s[2:3], s16, v14
	s_waitcnt lgkmcnt(0)
	s_lshl_b64 s[0:1], s[6:7], 3
	s_add_u32 s4, s18, s0
	s_addc_u32 s5, s19, s1
	v_mad_i64_i32 v[10:11], s[0:1], v14, s8, 0
	v_cmp_neq_f64_e64 s[0:1], s[10:11], 0
	v_cmp_le_i32_e32 vcc, v8, v14
	v_lshl_add_u64 v[10:11], v[10:11], 3, s[4:5]
	v_cndmask_b32_e64 v12, 0, 1, s[0:1]
	s_and_b64 s[14:15], s[2:3], vcc
	v_ashrrev_i32_e32 v9, 31, v8
	v_cmp_ne_u32_e64 s[0:1], 1, v12
	s_and_saveexec_b64 s[6:7], s[14:15]
	s_cbranch_execz .LBB348_14
; %bb.11:
	v_mul_f64 v[6:7], s[12:13], v[6:7]
	s_and_b64 vcc, exec, s[0:1]
	v_lshl_add_u64 v[12:13], v[8:9], 3, v[10:11]
	s_cbranch_vccnz .LBB348_13
; %bb.12:
	flat_load_dwordx2 v[16:17], v[12:13]
	s_waitcnt vmcnt(0) lgkmcnt(0)
	v_fmac_f64_e32 v[6:7], s[10:11], v[16:17]
.LBB348_13:
	flat_store_dwordx2 v[12:13], v[6:7]
.LBB348_14:
	s_or_b64 exec, exec, s[6:7]
	v_add_u32_e32 v6, 16, v8
	v_cmp_le_i32_e32 vcc, v6, v14
	s_and_b64 s[6:7], s[2:3], vcc
	v_ashrrev_i32_e32 v7, 31, v6
	s_and_saveexec_b64 s[2:3], s[6:7]
	s_cbranch_execz .LBB348_18
; %bb.15:
	v_mul_f64 v[4:5], s[12:13], v[4:5]
	s_and_b64 vcc, exec, s[0:1]
	v_lshl_add_u64 v[10:11], v[6:7], 3, v[10:11]
	s_cbranch_vccnz .LBB348_17
; %bb.16:
	flat_load_dwordx2 v[12:13], v[10:11]
	s_waitcnt vmcnt(0) lgkmcnt(0)
	v_fmac_f64_e32 v[4:5], s[10:11], v[12:13]
.LBB348_17:
	flat_store_dwordx2 v[10:11], v[4:5]
.LBB348_18:
	s_or_b64 exec, exec, s[2:3]
	v_add_u32_e32 v10, 16, v14
	v_cmp_gt_i32_e64 s[2:3], s16, v10
	v_mad_i64_i32 v[4:5], s[6:7], v10, s8, 0
	v_cmp_le_i32_e32 vcc, v8, v10
	v_lshl_add_u64 v[4:5], v[4:5], 3, s[4:5]
	s_and_b64 s[6:7], s[2:3], vcc
	s_and_saveexec_b64 s[4:5], s[6:7]
	s_cbranch_execz .LBB348_22
; %bb.19:
	v_mul_f64 v[2:3], s[12:13], v[2:3]
	s_and_b64 vcc, exec, s[0:1]
	v_lshl_add_u64 v[8:9], v[8:9], 3, v[4:5]
	s_cbranch_vccnz .LBB348_21
; %bb.20:
	flat_load_dwordx2 v[12:13], v[8:9]
	s_waitcnt vmcnt(0) lgkmcnt(0)
	v_fmac_f64_e32 v[2:3], s[10:11], v[12:13]
.LBB348_21:
	flat_store_dwordx2 v[8:9], v[2:3]
.LBB348_22:
	s_or_b64 exec, exec, s[4:5]
	v_cmp_le_i32_e32 vcc, v6, v10
	s_and_b64 s[2:3], s[2:3], vcc
	s_and_saveexec_b64 s[4:5], s[2:3]
	s_cbranch_execz .LBB348_26
; %bb.23:
	v_mul_f64 v[0:1], s[12:13], v[0:1]
	s_and_b64 vcc, exec, s[0:1]
	v_lshl_add_u64 v[2:3], v[6:7], 3, v[4:5]
	s_cbranch_vccnz .LBB348_25
; %bb.24:
	flat_load_dwordx2 v[4:5], v[2:3]
	s_waitcnt vmcnt(0) lgkmcnt(0)
	v_fmac_f64_e32 v[0:1], s[10:11], v[4:5]
.LBB348_25:
	flat_store_dwordx2 v[2:3], v[0:1]
.LBB348_26:
	s_endpgm
	.section	.rodata,"a",@progbits
	.p2align	6, 0x0
	.amdhsa_kernel _ZL29rocblas_internal_gemmt_kernelIiLi16ELi32ELi8ELc67ELc78ELc85ELb0ELb0EddPKPKdPKPdEviT_T9_T10_S7_lS9_S7_lS8_T11_S7_li
		.amdhsa_group_segment_fixed_size 4096
		.amdhsa_private_segment_fixed_size 0
		.amdhsa_kernarg_size 100
		.amdhsa_user_sgpr_count 2
		.amdhsa_user_sgpr_dispatch_ptr 0
		.amdhsa_user_sgpr_queue_ptr 0
		.amdhsa_user_sgpr_kernarg_segment_ptr 1
		.amdhsa_user_sgpr_dispatch_id 0
		.amdhsa_user_sgpr_kernarg_preload_length 0
		.amdhsa_user_sgpr_kernarg_preload_offset 0
		.amdhsa_user_sgpr_private_segment_size 0
		.amdhsa_uses_dynamic_stack 0
		.amdhsa_enable_private_segment 0
		.amdhsa_system_sgpr_workgroup_id_x 1
		.amdhsa_system_sgpr_workgroup_id_y 1
		.amdhsa_system_sgpr_workgroup_id_z 1
		.amdhsa_system_sgpr_workgroup_info 0
		.amdhsa_system_vgpr_workitem_id 1
		.amdhsa_next_free_vgpr 52
		.amdhsa_next_free_sgpr 29
		.amdhsa_accum_offset 52
		.amdhsa_reserve_vcc 1
		.amdhsa_float_round_mode_32 0
		.amdhsa_float_round_mode_16_64 0
		.amdhsa_float_denorm_mode_32 3
		.amdhsa_float_denorm_mode_16_64 3
		.amdhsa_dx10_clamp 1
		.amdhsa_ieee_mode 1
		.amdhsa_fp16_overflow 0
		.amdhsa_tg_split 0
		.amdhsa_exception_fp_ieee_invalid_op 0
		.amdhsa_exception_fp_denorm_src 0
		.amdhsa_exception_fp_ieee_div_zero 0
		.amdhsa_exception_fp_ieee_overflow 0
		.amdhsa_exception_fp_ieee_underflow 0
		.amdhsa_exception_fp_ieee_inexact 0
		.amdhsa_exception_int_div_zero 0
	.end_amdhsa_kernel
	.section	.text._ZL29rocblas_internal_gemmt_kernelIiLi16ELi32ELi8ELc67ELc78ELc85ELb0ELb0EddPKPKdPKPdEviT_T9_T10_S7_lS9_S7_lS8_T11_S7_li,"axG",@progbits,_ZL29rocblas_internal_gemmt_kernelIiLi16ELi32ELi8ELc67ELc78ELc85ELb0ELb0EddPKPKdPKPdEviT_T9_T10_S7_lS9_S7_lS8_T11_S7_li,comdat
.Lfunc_end348:
	.size	_ZL29rocblas_internal_gemmt_kernelIiLi16ELi32ELi8ELc67ELc78ELc85ELb0ELb0EddPKPKdPKPdEviT_T9_T10_S7_lS9_S7_lS8_T11_S7_li, .Lfunc_end348-_ZL29rocblas_internal_gemmt_kernelIiLi16ELi32ELi8ELc67ELc78ELc85ELb0ELb0EddPKPKdPKPdEviT_T9_T10_S7_lS9_S7_lS8_T11_S7_li
                                        ; -- End function
	.set _ZL29rocblas_internal_gemmt_kernelIiLi16ELi32ELi8ELc67ELc78ELc85ELb0ELb0EddPKPKdPKPdEviT_T9_T10_S7_lS9_S7_lS8_T11_S7_li.num_vgpr, 52
	.set _ZL29rocblas_internal_gemmt_kernelIiLi16ELi32ELi8ELc67ELc78ELc85ELb0ELb0EddPKPKdPKPdEviT_T9_T10_S7_lS9_S7_lS8_T11_S7_li.num_agpr, 0
	.set _ZL29rocblas_internal_gemmt_kernelIiLi16ELi32ELi8ELc67ELc78ELc85ELb0ELb0EddPKPKdPKPdEviT_T9_T10_S7_lS9_S7_lS8_T11_S7_li.numbered_sgpr, 29
	.set _ZL29rocblas_internal_gemmt_kernelIiLi16ELi32ELi8ELc67ELc78ELc85ELb0ELb0EddPKPKdPKPdEviT_T9_T10_S7_lS9_S7_lS8_T11_S7_li.num_named_barrier, 0
	.set _ZL29rocblas_internal_gemmt_kernelIiLi16ELi32ELi8ELc67ELc78ELc85ELb0ELb0EddPKPKdPKPdEviT_T9_T10_S7_lS9_S7_lS8_T11_S7_li.private_seg_size, 0
	.set _ZL29rocblas_internal_gemmt_kernelIiLi16ELi32ELi8ELc67ELc78ELc85ELb0ELb0EddPKPKdPKPdEviT_T9_T10_S7_lS9_S7_lS8_T11_S7_li.uses_vcc, 1
	.set _ZL29rocblas_internal_gemmt_kernelIiLi16ELi32ELi8ELc67ELc78ELc85ELb0ELb0EddPKPKdPKPdEviT_T9_T10_S7_lS9_S7_lS8_T11_S7_li.uses_flat_scratch, 0
	.set _ZL29rocblas_internal_gemmt_kernelIiLi16ELi32ELi8ELc67ELc78ELc85ELb0ELb0EddPKPKdPKPdEviT_T9_T10_S7_lS9_S7_lS8_T11_S7_li.has_dyn_sized_stack, 0
	.set _ZL29rocblas_internal_gemmt_kernelIiLi16ELi32ELi8ELc67ELc78ELc85ELb0ELb0EddPKPKdPKPdEviT_T9_T10_S7_lS9_S7_lS8_T11_S7_li.has_recursion, 0
	.set _ZL29rocblas_internal_gemmt_kernelIiLi16ELi32ELi8ELc67ELc78ELc85ELb0ELb0EddPKPKdPKPdEviT_T9_T10_S7_lS9_S7_lS8_T11_S7_li.has_indirect_call, 0
	.section	.AMDGPU.csdata,"",@progbits
; Kernel info:
; codeLenInByte = 1296
; TotalNumSgprs: 35
; NumVgprs: 52
; NumAgprs: 0
; TotalNumVgprs: 52
; ScratchSize: 0
; MemoryBound: 0
; FloatMode: 240
; IeeeMode: 1
; LDSByteSize: 4096 bytes/workgroup (compile time only)
; SGPRBlocks: 4
; VGPRBlocks: 6
; NumSGPRsForWavesPerEU: 35
; NumVGPRsForWavesPerEU: 52
; AccumOffset: 52
; Occupancy: 8
; WaveLimiterHint : 1
; COMPUTE_PGM_RSRC2:SCRATCH_EN: 0
; COMPUTE_PGM_RSRC2:USER_SGPR: 2
; COMPUTE_PGM_RSRC2:TRAP_HANDLER: 0
; COMPUTE_PGM_RSRC2:TGID_X_EN: 1
; COMPUTE_PGM_RSRC2:TGID_Y_EN: 1
; COMPUTE_PGM_RSRC2:TGID_Z_EN: 1
; COMPUTE_PGM_RSRC2:TIDIG_COMP_CNT: 1
; COMPUTE_PGM_RSRC3_GFX90A:ACCUM_OFFSET: 12
; COMPUTE_PGM_RSRC3_GFX90A:TG_SPLIT: 0
	.section	.text._ZL29rocblas_internal_gemmt_kernelIiLi16ELi32ELi8ELc67ELc84ELc85ELb0ELb0EddPKPKdPKPdEviT_T9_T10_S7_lS9_S7_lS8_T11_S7_li,"axG",@progbits,_ZL29rocblas_internal_gemmt_kernelIiLi16ELi32ELi8ELc67ELc84ELc85ELb0ELb0EddPKPKdPKPdEviT_T9_T10_S7_lS9_S7_lS8_T11_S7_li,comdat
	.globl	_ZL29rocblas_internal_gemmt_kernelIiLi16ELi32ELi8ELc67ELc84ELc85ELb0ELb0EddPKPKdPKPdEviT_T9_T10_S7_lS9_S7_lS8_T11_S7_li ; -- Begin function _ZL29rocblas_internal_gemmt_kernelIiLi16ELi32ELi8ELc67ELc84ELc85ELb0ELb0EddPKPKdPKPdEviT_T9_T10_S7_lS9_S7_lS8_T11_S7_li
	.p2align	8
	.type	_ZL29rocblas_internal_gemmt_kernelIiLi16ELi32ELi8ELc67ELc84ELc85ELb0ELb0EddPKPKdPKPdEviT_T9_T10_S7_lS9_S7_lS8_T11_S7_li,@function
_ZL29rocblas_internal_gemmt_kernelIiLi16ELi32ELi8ELc67ELc84ELc85ELb0ELb0EddPKPKdPKPdEviT_T9_T10_S7_lS9_S7_lS8_T11_S7_li: ; @_ZL29rocblas_internal_gemmt_kernelIiLi16ELi32ELi8ELc67ELc84ELc85ELb0ELb0EddPKPKdPKPdEviT_T9_T10_S7_lS9_S7_lS8_T11_S7_li
; %bb.0:
	s_load_dwordx4 s[8:11], s[0:1], 0x38
	s_load_dwordx2 s[16:17], s[0:1], 0x0
	s_load_dwordx4 s[12:15], s[0:1], 0x8
	s_waitcnt lgkmcnt(0)
	v_cmp_neq_f64_e64 s[6:7], s[10:11], 1.0
	s_and_b64 vcc, exec, s[6:7]
	s_cbranch_vccnz .LBB349_2
; %bb.1:
	s_cmp_lg_u32 s17, 0
	s_cselect_b64 s[6:7], -1, 0
	v_cmp_neq_f64_e64 s[18:19], s[12:13], 0
	s_and_b64 s[6:7], s[6:7], s[18:19]
.LBB349_2:
	s_andn2_b64 vcc, exec, s[6:7]
	s_cbranch_vccnz .LBB349_26
; %bb.3:
	s_load_dwordx2 s[18:19], s[0:1], 0x48
	s_mov_b32 s5, 0
	s_lshl_b64 s[6:7], s[4:5], 3
	v_and_b32_e32 v12, 0x3ff, v0
	v_bfe_u32 v13, v0, 10, 10
	s_waitcnt lgkmcnt(0)
	s_add_u32 s18, s18, s6
	s_addc_u32 s19, s19, s7
	s_load_dwordx2 s[18:19], s[18:19], 0x0
	s_lshl_b32 s4, s2, 5
	s_lshl_b32 s20, s3, 5
	s_cmp_lt_i32 s17, 1
	v_cmp_eq_f64_e64 s[2:3], s[12:13], 0
	s_cselect_b64 s[22:23], -1, 0
	s_or_b64 s[2:3], s[2:3], s[22:23]
	v_mov_b64_e32 v[6:7], 0
	s_and_b64 vcc, exec, s[2:3]
	v_mov_b64_e32 v[4:5], 0
	v_mov_b64_e32 v[2:3], 0
	;; [unrolled: 1-line block ×3, first 2 shown]
	s_cbranch_vccnz .LBB349_10
; %bb.4:
	s_load_dword s21, s[0:1], 0x18
	s_load_dword s22, s[0:1], 0x30
	s_load_dwordx4 s[24:27], s[0:1], 0x20
	v_lshl_add_u32 v1, v13, 4, v12
	v_and_b32_e32 v3, 31, v1
	v_lshrrev_b32_e32 v15, 5, v1
	s_waitcnt lgkmcnt(0)
	s_ashr_i32 s23, s22, 31
	v_lshrrev_b32_e32 v2, 3, v1
	v_or_b32_e32 v1, s4, v3
	s_add_u32 s2, s26, s6
	v_and_b32_e32 v14, 7, v12
	s_addc_u32 s3, s27, s7
	v_cmp_gt_i32_e32 vcc, s16, v1
	v_lshlrev_b32_e32 v1, 3, v3
	s_load_dwordx2 s[26:27], s[2:3], 0x0
	s_add_u32 s2, s14, s6
	v_lshl_or_b32 v16, v15, 8, v1
	v_lshlrev_b32_e32 v1, 3, v14
	v_add_u32_e32 v0, s20, v2
	s_addc_u32 s3, s15, s7
	v_lshl_or_b32 v1, v2, 6, v1
	v_mov_b32_e32 v2, 0x800
	s_load_dwordx2 s[6:7], s[2:3], 0x0
	v_lshl_add_u32 v19, v13, 6, v2
	v_add_u32_e32 v2, s4, v3
	v_mad_i64_i32 v[2:3], s[14:15], s21, v2, 0
	s_lshl_b64 s[14:15], s[24:25], 3
	s_nop 0
	v_lshl_add_u64 v[2:3], v[2:3], 3, s[14:15]
	v_lshlrev_b32_e32 v4, 3, v15
	v_mov_b32_e32 v5, 0
	v_lshl_add_u64 v[2:3], v[2:3], 0, v[4:5]
	s_waitcnt lgkmcnt(0)
	v_lshl_add_u64 v[8:9], s[6:7], 0, v[2:3]
	v_mad_i64_i32 v[2:3], s[6:7], s22, v14, 0
	s_lshl_b64 s[6:7], s[8:9], 3
	v_add_u32_e32 v17, 0x800, v1
	v_ashrrev_i32_e32 v1, 31, v0
	v_lshl_add_u64 v[2:3], v[2:3], 3, s[6:7]
	v_cmp_gt_i32_e64 s[2:3], s16, v0
	v_lshl_add_u64 v[0:1], v[0:1], 3, v[2:3]
	v_lshlrev_b32_e32 v18, 3, v12
	v_lshl_add_u64 v[10:11], s[26:27], 0, v[0:1]
	s_lshl_b64 s[8:9], s[22:23], 6
	v_mov_b64_e32 v[0:1], 0
	v_mov_b64_e32 v[2:3], 0
	;; [unrolled: 1-line block ×4, first 2 shown]
	s_branch .LBB349_6
.LBB349_5:                              ;   in Loop: Header=BB349_6 Depth=1
	s_or_b64 exec, exec, s[6:7]
	s_waitcnt vmcnt(0) lgkmcnt(0)
	ds_write_b64 v17, v[20:21]
	s_waitcnt lgkmcnt(0)
	s_barrier
	ds_read2_b64 v[20:23], v18 offset1:16
	ds_read_b128 v[24:27], v19
	ds_read_b128 v[28:31], v19 offset:16
	ds_read_b128 v[32:35], v19 offset:32
	;; [unrolled: 1-line block ×4, first 2 shown]
	ds_read2_b64 v[44:47], v18 offset0:32 offset1:48
	s_waitcnt lgkmcnt(5)
	v_fmac_f64_e32 v[6:7], v[20:21], v[24:25]
	v_fmac_f64_e32 v[4:5], v[22:23], v[24:25]
	ds_read_b128 v[48:51], v19 offset:1040
	s_waitcnt lgkmcnt(2)
	v_fmac_f64_e32 v[2:3], v[20:21], v[40:41]
	v_fmac_f64_e32 v[0:1], v[22:23], v[40:41]
	ds_read2_b64 v[20:23], v18 offset0:64 offset1:80
	s_waitcnt lgkmcnt(2)
	v_fmac_f64_e32 v[6:7], v[44:45], v[26:27]
	v_fmac_f64_e32 v[4:5], v[46:47], v[26:27]
	ds_read2_b64 v[24:27], v18 offset0:96 offset1:112
	v_fmac_f64_e32 v[2:3], v[44:45], v[42:43]
	v_fmac_f64_e32 v[0:1], v[46:47], v[42:43]
	s_waitcnt lgkmcnt(1)
	v_fmac_f64_e32 v[6:7], v[20:21], v[28:29]
	v_fmac_f64_e32 v[4:5], v[22:23], v[28:29]
	ds_read_b128 v[40:43], v19 offset:1072
	v_fmac_f64_e32 v[2:3], v[20:21], v[48:49]
	v_fmac_f64_e32 v[0:1], v[22:23], v[48:49]
	s_waitcnt lgkmcnt(1)
	v_fmac_f64_e32 v[6:7], v[24:25], v[30:31]
	ds_read2_b64 v[20:23], v18 offset0:128 offset1:144
	v_fmac_f64_e32 v[4:5], v[26:27], v[30:31]
	v_fmac_f64_e32 v[2:3], v[24:25], v[50:51]
	;; [unrolled: 1-line block ×3, first 2 shown]
	ds_read_b128 v[24:27], v19 offset:1056
	ds_read2_b64 v[28:31], v18 offset0:160 offset1:176
	s_waitcnt lgkmcnt(2)
	v_fmac_f64_e32 v[6:7], v[20:21], v[32:33]
	v_fmac_f64_e32 v[4:5], v[22:23], v[32:33]
	s_add_i32 s5, s5, 8
	s_waitcnt lgkmcnt(1)
	v_fmac_f64_e32 v[2:3], v[20:21], v[24:25]
	v_fmac_f64_e32 v[0:1], v[22:23], v[24:25]
	ds_read2_b64 v[20:23], v18 offset0:192 offset1:208
	s_waitcnt lgkmcnt(1)
	v_fmac_f64_e32 v[2:3], v[28:29], v[26:27]
	v_fmac_f64_e32 v[0:1], v[30:31], v[26:27]
	ds_read2_b64 v[24:27], v18 offset0:224 offset1:240
	v_fmac_f64_e32 v[6:7], v[28:29], v[34:35]
	v_fmac_f64_e32 v[4:5], v[30:31], v[34:35]
	s_waitcnt lgkmcnt(1)
	v_fmac_f64_e32 v[6:7], v[20:21], v[36:37]
	v_fmac_f64_e32 v[4:5], v[22:23], v[36:37]
	;; [unrolled: 1-line block ×4, first 2 shown]
	s_waitcnt lgkmcnt(0)
	v_fmac_f64_e32 v[6:7], v[24:25], v[38:39]
	v_fmac_f64_e32 v[4:5], v[26:27], v[38:39]
	;; [unrolled: 1-line block ×4, first 2 shown]
	v_lshl_add_u64 v[8:9], v[8:9], 0, 64
	s_cmp_lt_i32 s5, s17
	v_lshl_add_u64 v[10:11], v[10:11], 0, s[8:9]
	s_barrier
	s_cbranch_scc0 .LBB349_10
.LBB349_6:                              ; =>This Inner Loop Header: Depth=1
	v_add_u32_e32 v20, s5, v15
	v_cmp_gt_i32_e64 s[6:7], s17, v20
	s_and_b64 s[14:15], vcc, s[6:7]
	v_mov_b64_e32 v[20:21], 0
	s_and_saveexec_b64 s[6:7], s[14:15]
	s_cbranch_execz .LBB349_8
; %bb.7:                                ;   in Loop: Header=BB349_6 Depth=1
	flat_load_dwordx2 v[20:21], v[8:9]
.LBB349_8:                              ;   in Loop: Header=BB349_6 Depth=1
	s_or_b64 exec, exec, s[6:7]
	s_waitcnt vmcnt(0) lgkmcnt(0)
	ds_write_b64 v16, v[20:21]
	v_add_u32_e32 v20, s5, v14
	v_cmp_gt_i32_e64 s[6:7], s17, v20
	s_and_b64 s[14:15], s[6:7], s[2:3]
	v_mov_b64_e32 v[20:21], 0
	s_and_saveexec_b64 s[6:7], s[14:15]
	s_cbranch_execz .LBB349_5
; %bb.9:                                ;   in Loop: Header=BB349_6 Depth=1
	flat_load_dwordx2 v[20:21], v[10:11]
	s_branch .LBB349_5
.LBB349_10:
	s_load_dwordx2 s[6:7], s[0:1], 0x58
	s_load_dword s8, s[0:1], 0x50
	v_add_u32_e32 v8, s4, v12
	v_add_u32_e32 v14, s20, v13
	v_cmp_gt_i32_e64 s[2:3], s16, v14
	s_waitcnt lgkmcnt(0)
	s_lshl_b64 s[0:1], s[6:7], 3
	s_add_u32 s4, s18, s0
	s_addc_u32 s5, s19, s1
	v_mad_i64_i32 v[10:11], s[0:1], v14, s8, 0
	v_cmp_neq_f64_e64 s[0:1], s[10:11], 0
	v_cmp_le_i32_e32 vcc, v8, v14
	v_lshl_add_u64 v[10:11], v[10:11], 3, s[4:5]
	v_cndmask_b32_e64 v12, 0, 1, s[0:1]
	s_and_b64 s[14:15], s[2:3], vcc
	v_ashrrev_i32_e32 v9, 31, v8
	v_cmp_ne_u32_e64 s[0:1], 1, v12
	s_and_saveexec_b64 s[6:7], s[14:15]
	s_cbranch_execz .LBB349_14
; %bb.11:
	v_mul_f64 v[6:7], s[12:13], v[6:7]
	s_and_b64 vcc, exec, s[0:1]
	v_lshl_add_u64 v[12:13], v[8:9], 3, v[10:11]
	s_cbranch_vccnz .LBB349_13
; %bb.12:
	flat_load_dwordx2 v[16:17], v[12:13]
	s_waitcnt vmcnt(0) lgkmcnt(0)
	v_fmac_f64_e32 v[6:7], s[10:11], v[16:17]
.LBB349_13:
	flat_store_dwordx2 v[12:13], v[6:7]
.LBB349_14:
	s_or_b64 exec, exec, s[6:7]
	v_add_u32_e32 v6, 16, v8
	v_cmp_le_i32_e32 vcc, v6, v14
	s_and_b64 s[6:7], s[2:3], vcc
	v_ashrrev_i32_e32 v7, 31, v6
	s_and_saveexec_b64 s[2:3], s[6:7]
	s_cbranch_execz .LBB349_18
; %bb.15:
	v_mul_f64 v[4:5], s[12:13], v[4:5]
	s_and_b64 vcc, exec, s[0:1]
	v_lshl_add_u64 v[10:11], v[6:7], 3, v[10:11]
	s_cbranch_vccnz .LBB349_17
; %bb.16:
	flat_load_dwordx2 v[12:13], v[10:11]
	s_waitcnt vmcnt(0) lgkmcnt(0)
	v_fmac_f64_e32 v[4:5], s[10:11], v[12:13]
.LBB349_17:
	flat_store_dwordx2 v[10:11], v[4:5]
.LBB349_18:
	s_or_b64 exec, exec, s[2:3]
	v_add_u32_e32 v10, 16, v14
	v_cmp_gt_i32_e64 s[2:3], s16, v10
	v_mad_i64_i32 v[4:5], s[6:7], v10, s8, 0
	v_cmp_le_i32_e32 vcc, v8, v10
	v_lshl_add_u64 v[4:5], v[4:5], 3, s[4:5]
	s_and_b64 s[6:7], s[2:3], vcc
	s_and_saveexec_b64 s[4:5], s[6:7]
	s_cbranch_execz .LBB349_22
; %bb.19:
	v_mul_f64 v[2:3], s[12:13], v[2:3]
	s_and_b64 vcc, exec, s[0:1]
	v_lshl_add_u64 v[8:9], v[8:9], 3, v[4:5]
	s_cbranch_vccnz .LBB349_21
; %bb.20:
	flat_load_dwordx2 v[12:13], v[8:9]
	s_waitcnt vmcnt(0) lgkmcnt(0)
	v_fmac_f64_e32 v[2:3], s[10:11], v[12:13]
.LBB349_21:
	flat_store_dwordx2 v[8:9], v[2:3]
.LBB349_22:
	s_or_b64 exec, exec, s[4:5]
	v_cmp_le_i32_e32 vcc, v6, v10
	s_and_b64 s[2:3], s[2:3], vcc
	s_and_saveexec_b64 s[4:5], s[2:3]
	s_cbranch_execz .LBB349_26
; %bb.23:
	v_mul_f64 v[0:1], s[12:13], v[0:1]
	s_and_b64 vcc, exec, s[0:1]
	v_lshl_add_u64 v[2:3], v[6:7], 3, v[4:5]
	s_cbranch_vccnz .LBB349_25
; %bb.24:
	flat_load_dwordx2 v[4:5], v[2:3]
	s_waitcnt vmcnt(0) lgkmcnt(0)
	v_fmac_f64_e32 v[0:1], s[10:11], v[4:5]
.LBB349_25:
	flat_store_dwordx2 v[2:3], v[0:1]
.LBB349_26:
	s_endpgm
	.section	.rodata,"a",@progbits
	.p2align	6, 0x0
	.amdhsa_kernel _ZL29rocblas_internal_gemmt_kernelIiLi16ELi32ELi8ELc67ELc84ELc85ELb0ELb0EddPKPKdPKPdEviT_T9_T10_S7_lS9_S7_lS8_T11_S7_li
		.amdhsa_group_segment_fixed_size 4096
		.amdhsa_private_segment_fixed_size 0
		.amdhsa_kernarg_size 100
		.amdhsa_user_sgpr_count 2
		.amdhsa_user_sgpr_dispatch_ptr 0
		.amdhsa_user_sgpr_queue_ptr 0
		.amdhsa_user_sgpr_kernarg_segment_ptr 1
		.amdhsa_user_sgpr_dispatch_id 0
		.amdhsa_user_sgpr_kernarg_preload_length 0
		.amdhsa_user_sgpr_kernarg_preload_offset 0
		.amdhsa_user_sgpr_private_segment_size 0
		.amdhsa_uses_dynamic_stack 0
		.amdhsa_enable_private_segment 0
		.amdhsa_system_sgpr_workgroup_id_x 1
		.amdhsa_system_sgpr_workgroup_id_y 1
		.amdhsa_system_sgpr_workgroup_id_z 1
		.amdhsa_system_sgpr_workgroup_info 0
		.amdhsa_system_vgpr_workitem_id 1
		.amdhsa_next_free_vgpr 52
		.amdhsa_next_free_sgpr 28
		.amdhsa_accum_offset 52
		.amdhsa_reserve_vcc 1
		.amdhsa_float_round_mode_32 0
		.amdhsa_float_round_mode_16_64 0
		.amdhsa_float_denorm_mode_32 3
		.amdhsa_float_denorm_mode_16_64 3
		.amdhsa_dx10_clamp 1
		.amdhsa_ieee_mode 1
		.amdhsa_fp16_overflow 0
		.amdhsa_tg_split 0
		.amdhsa_exception_fp_ieee_invalid_op 0
		.amdhsa_exception_fp_denorm_src 0
		.amdhsa_exception_fp_ieee_div_zero 0
		.amdhsa_exception_fp_ieee_overflow 0
		.amdhsa_exception_fp_ieee_underflow 0
		.amdhsa_exception_fp_ieee_inexact 0
		.amdhsa_exception_int_div_zero 0
	.end_amdhsa_kernel
	.section	.text._ZL29rocblas_internal_gemmt_kernelIiLi16ELi32ELi8ELc67ELc84ELc85ELb0ELb0EddPKPKdPKPdEviT_T9_T10_S7_lS9_S7_lS8_T11_S7_li,"axG",@progbits,_ZL29rocblas_internal_gemmt_kernelIiLi16ELi32ELi8ELc67ELc84ELc85ELb0ELb0EddPKPKdPKPdEviT_T9_T10_S7_lS9_S7_lS8_T11_S7_li,comdat
.Lfunc_end349:
	.size	_ZL29rocblas_internal_gemmt_kernelIiLi16ELi32ELi8ELc67ELc84ELc85ELb0ELb0EddPKPKdPKPdEviT_T9_T10_S7_lS9_S7_lS8_T11_S7_li, .Lfunc_end349-_ZL29rocblas_internal_gemmt_kernelIiLi16ELi32ELi8ELc67ELc84ELc85ELb0ELb0EddPKPKdPKPdEviT_T9_T10_S7_lS9_S7_lS8_T11_S7_li
                                        ; -- End function
	.set _ZL29rocblas_internal_gemmt_kernelIiLi16ELi32ELi8ELc67ELc84ELc85ELb0ELb0EddPKPKdPKPdEviT_T9_T10_S7_lS9_S7_lS8_T11_S7_li.num_vgpr, 52
	.set _ZL29rocblas_internal_gemmt_kernelIiLi16ELi32ELi8ELc67ELc84ELc85ELb0ELb0EddPKPKdPKPdEviT_T9_T10_S7_lS9_S7_lS8_T11_S7_li.num_agpr, 0
	.set _ZL29rocblas_internal_gemmt_kernelIiLi16ELi32ELi8ELc67ELc84ELc85ELb0ELb0EddPKPKdPKPdEviT_T9_T10_S7_lS9_S7_lS8_T11_S7_li.numbered_sgpr, 28
	.set _ZL29rocblas_internal_gemmt_kernelIiLi16ELi32ELi8ELc67ELc84ELc85ELb0ELb0EddPKPKdPKPdEviT_T9_T10_S7_lS9_S7_lS8_T11_S7_li.num_named_barrier, 0
	.set _ZL29rocblas_internal_gemmt_kernelIiLi16ELi32ELi8ELc67ELc84ELc85ELb0ELb0EddPKPKdPKPdEviT_T9_T10_S7_lS9_S7_lS8_T11_S7_li.private_seg_size, 0
	.set _ZL29rocblas_internal_gemmt_kernelIiLi16ELi32ELi8ELc67ELc84ELc85ELb0ELb0EddPKPKdPKPdEviT_T9_T10_S7_lS9_S7_lS8_T11_S7_li.uses_vcc, 1
	.set _ZL29rocblas_internal_gemmt_kernelIiLi16ELi32ELi8ELc67ELc84ELc85ELb0ELb0EddPKPKdPKPdEviT_T9_T10_S7_lS9_S7_lS8_T11_S7_li.uses_flat_scratch, 0
	.set _ZL29rocblas_internal_gemmt_kernelIiLi16ELi32ELi8ELc67ELc84ELc85ELb0ELb0EddPKPKdPKPdEviT_T9_T10_S7_lS9_S7_lS8_T11_S7_li.has_dyn_sized_stack, 0
	.set _ZL29rocblas_internal_gemmt_kernelIiLi16ELi32ELi8ELc67ELc84ELc85ELb0ELb0EddPKPKdPKPdEviT_T9_T10_S7_lS9_S7_lS8_T11_S7_li.has_recursion, 0
	.set _ZL29rocblas_internal_gemmt_kernelIiLi16ELi32ELi8ELc67ELc84ELc85ELb0ELb0EddPKPKdPKPdEviT_T9_T10_S7_lS9_S7_lS8_T11_S7_li.has_indirect_call, 0
	.section	.AMDGPU.csdata,"",@progbits
; Kernel info:
; codeLenInByte = 1300
; TotalNumSgprs: 34
; NumVgprs: 52
; NumAgprs: 0
; TotalNumVgprs: 52
; ScratchSize: 0
; MemoryBound: 0
; FloatMode: 240
; IeeeMode: 1
; LDSByteSize: 4096 bytes/workgroup (compile time only)
; SGPRBlocks: 4
; VGPRBlocks: 6
; NumSGPRsForWavesPerEU: 34
; NumVGPRsForWavesPerEU: 52
; AccumOffset: 52
; Occupancy: 8
; WaveLimiterHint : 1
; COMPUTE_PGM_RSRC2:SCRATCH_EN: 0
; COMPUTE_PGM_RSRC2:USER_SGPR: 2
; COMPUTE_PGM_RSRC2:TRAP_HANDLER: 0
; COMPUTE_PGM_RSRC2:TGID_X_EN: 1
; COMPUTE_PGM_RSRC2:TGID_Y_EN: 1
; COMPUTE_PGM_RSRC2:TGID_Z_EN: 1
; COMPUTE_PGM_RSRC2:TIDIG_COMP_CNT: 1
; COMPUTE_PGM_RSRC3_GFX90A:ACCUM_OFFSET: 12
; COMPUTE_PGM_RSRC3_GFX90A:TG_SPLIT: 0
	.section	.text._ZL29rocblas_internal_gemmt_kernelIiLi16ELi32ELi8ELc67ELc67ELc85ELb0ELb0EddPKPKdPKPdEviT_T9_T10_S7_lS9_S7_lS8_T11_S7_li,"axG",@progbits,_ZL29rocblas_internal_gemmt_kernelIiLi16ELi32ELi8ELc67ELc67ELc85ELb0ELb0EddPKPKdPKPdEviT_T9_T10_S7_lS9_S7_lS8_T11_S7_li,comdat
	.globl	_ZL29rocblas_internal_gemmt_kernelIiLi16ELi32ELi8ELc67ELc67ELc85ELb0ELb0EddPKPKdPKPdEviT_T9_T10_S7_lS9_S7_lS8_T11_S7_li ; -- Begin function _ZL29rocblas_internal_gemmt_kernelIiLi16ELi32ELi8ELc67ELc67ELc85ELb0ELb0EddPKPKdPKPdEviT_T9_T10_S7_lS9_S7_lS8_T11_S7_li
	.p2align	8
	.type	_ZL29rocblas_internal_gemmt_kernelIiLi16ELi32ELi8ELc67ELc67ELc85ELb0ELb0EddPKPKdPKPdEviT_T9_T10_S7_lS9_S7_lS8_T11_S7_li,@function
_ZL29rocblas_internal_gemmt_kernelIiLi16ELi32ELi8ELc67ELc67ELc85ELb0ELb0EddPKPKdPKPdEviT_T9_T10_S7_lS9_S7_lS8_T11_S7_li: ; @_ZL29rocblas_internal_gemmt_kernelIiLi16ELi32ELi8ELc67ELc67ELc85ELb0ELb0EddPKPKdPKPdEviT_T9_T10_S7_lS9_S7_lS8_T11_S7_li
; %bb.0:
	s_load_dwordx4 s[8:11], s[0:1], 0x38
	s_load_dwordx2 s[16:17], s[0:1], 0x0
	s_load_dwordx4 s[12:15], s[0:1], 0x8
	s_waitcnt lgkmcnt(0)
	v_cmp_neq_f64_e64 s[6:7], s[10:11], 1.0
	s_and_b64 vcc, exec, s[6:7]
	s_cbranch_vccnz .LBB350_2
; %bb.1:
	s_cmp_lg_u32 s17, 0
	s_cselect_b64 s[6:7], -1, 0
	v_cmp_neq_f64_e64 s[18:19], s[12:13], 0
	s_and_b64 s[6:7], s[6:7], s[18:19]
.LBB350_2:
	s_andn2_b64 vcc, exec, s[6:7]
	s_cbranch_vccnz .LBB350_26
; %bb.3:
	s_load_dwordx2 s[18:19], s[0:1], 0x48
	s_mov_b32 s5, 0
	s_lshl_b64 s[6:7], s[4:5], 3
	v_and_b32_e32 v12, 0x3ff, v0
	v_bfe_u32 v13, v0, 10, 10
	s_waitcnt lgkmcnt(0)
	s_add_u32 s18, s18, s6
	s_addc_u32 s19, s19, s7
	s_load_dwordx2 s[18:19], s[18:19], 0x0
	s_lshl_b32 s4, s2, 5
	s_lshl_b32 s20, s3, 5
	s_cmp_lt_i32 s17, 1
	v_cmp_eq_f64_e64 s[2:3], s[12:13], 0
	s_cselect_b64 s[22:23], -1, 0
	s_or_b64 s[2:3], s[2:3], s[22:23]
	v_mov_b64_e32 v[6:7], 0
	s_and_b64 vcc, exec, s[2:3]
	v_mov_b64_e32 v[4:5], 0
	v_mov_b64_e32 v[2:3], 0
	;; [unrolled: 1-line block ×3, first 2 shown]
	s_cbranch_vccnz .LBB350_10
; %bb.4:
	s_load_dword s21, s[0:1], 0x18
	s_load_dword s22, s[0:1], 0x30
	s_load_dwordx4 s[24:27], s[0:1], 0x20
	v_lshl_add_u32 v1, v13, 4, v12
	v_and_b32_e32 v3, 31, v1
	v_lshrrev_b32_e32 v15, 5, v1
	s_waitcnt lgkmcnt(0)
	s_ashr_i32 s23, s22, 31
	v_lshrrev_b32_e32 v2, 3, v1
	v_or_b32_e32 v1, s4, v3
	s_add_u32 s2, s26, s6
	v_and_b32_e32 v14, 7, v12
	s_addc_u32 s3, s27, s7
	v_cmp_gt_i32_e32 vcc, s16, v1
	v_lshlrev_b32_e32 v1, 3, v3
	s_load_dwordx2 s[26:27], s[2:3], 0x0
	s_add_u32 s2, s14, s6
	v_lshl_or_b32 v16, v15, 8, v1
	v_lshlrev_b32_e32 v1, 3, v14
	v_add_u32_e32 v0, s20, v2
	s_addc_u32 s3, s15, s7
	v_lshl_or_b32 v1, v2, 6, v1
	v_mov_b32_e32 v2, 0x800
	s_load_dwordx2 s[6:7], s[2:3], 0x0
	v_lshl_add_u32 v19, v13, 6, v2
	v_add_u32_e32 v2, s4, v3
	v_mad_i64_i32 v[2:3], s[14:15], s21, v2, 0
	s_lshl_b64 s[14:15], s[24:25], 3
	s_nop 0
	v_lshl_add_u64 v[2:3], v[2:3], 3, s[14:15]
	v_lshlrev_b32_e32 v4, 3, v15
	v_mov_b32_e32 v5, 0
	v_lshl_add_u64 v[2:3], v[2:3], 0, v[4:5]
	s_waitcnt lgkmcnt(0)
	v_lshl_add_u64 v[8:9], s[6:7], 0, v[2:3]
	v_mad_i64_i32 v[2:3], s[6:7], s22, v14, 0
	s_lshl_b64 s[6:7], s[8:9], 3
	v_add_u32_e32 v17, 0x800, v1
	v_ashrrev_i32_e32 v1, 31, v0
	v_lshl_add_u64 v[2:3], v[2:3], 3, s[6:7]
	v_cmp_gt_i32_e64 s[2:3], s16, v0
	v_lshl_add_u64 v[0:1], v[0:1], 3, v[2:3]
	v_lshlrev_b32_e32 v18, 3, v12
	v_lshl_add_u64 v[10:11], s[26:27], 0, v[0:1]
	s_lshl_b64 s[8:9], s[22:23], 6
	v_mov_b64_e32 v[0:1], 0
	v_mov_b64_e32 v[2:3], 0
	;; [unrolled: 1-line block ×4, first 2 shown]
	s_branch .LBB350_6
.LBB350_5:                              ;   in Loop: Header=BB350_6 Depth=1
	s_or_b64 exec, exec, s[6:7]
	s_waitcnt vmcnt(0) lgkmcnt(0)
	ds_write_b64 v17, v[20:21]
	s_waitcnt lgkmcnt(0)
	s_barrier
	ds_read2_b64 v[20:23], v18 offset1:16
	ds_read_b128 v[24:27], v19
	ds_read_b128 v[28:31], v19 offset:16
	ds_read_b128 v[32:35], v19 offset:32
	;; [unrolled: 1-line block ×4, first 2 shown]
	ds_read2_b64 v[44:47], v18 offset0:32 offset1:48
	s_waitcnt lgkmcnt(5)
	v_fmac_f64_e32 v[6:7], v[20:21], v[24:25]
	v_fmac_f64_e32 v[4:5], v[22:23], v[24:25]
	ds_read_b128 v[48:51], v19 offset:1040
	s_waitcnt lgkmcnt(2)
	v_fmac_f64_e32 v[2:3], v[20:21], v[40:41]
	v_fmac_f64_e32 v[0:1], v[22:23], v[40:41]
	ds_read2_b64 v[20:23], v18 offset0:64 offset1:80
	s_waitcnt lgkmcnt(2)
	v_fmac_f64_e32 v[6:7], v[44:45], v[26:27]
	v_fmac_f64_e32 v[4:5], v[46:47], v[26:27]
	ds_read2_b64 v[24:27], v18 offset0:96 offset1:112
	v_fmac_f64_e32 v[2:3], v[44:45], v[42:43]
	v_fmac_f64_e32 v[0:1], v[46:47], v[42:43]
	s_waitcnt lgkmcnt(1)
	v_fmac_f64_e32 v[6:7], v[20:21], v[28:29]
	v_fmac_f64_e32 v[4:5], v[22:23], v[28:29]
	ds_read_b128 v[40:43], v19 offset:1072
	v_fmac_f64_e32 v[2:3], v[20:21], v[48:49]
	v_fmac_f64_e32 v[0:1], v[22:23], v[48:49]
	s_waitcnt lgkmcnt(1)
	v_fmac_f64_e32 v[6:7], v[24:25], v[30:31]
	ds_read2_b64 v[20:23], v18 offset0:128 offset1:144
	v_fmac_f64_e32 v[4:5], v[26:27], v[30:31]
	v_fmac_f64_e32 v[2:3], v[24:25], v[50:51]
	;; [unrolled: 1-line block ×3, first 2 shown]
	ds_read_b128 v[24:27], v19 offset:1056
	ds_read2_b64 v[28:31], v18 offset0:160 offset1:176
	s_waitcnt lgkmcnt(2)
	v_fmac_f64_e32 v[6:7], v[20:21], v[32:33]
	v_fmac_f64_e32 v[4:5], v[22:23], v[32:33]
	s_add_i32 s5, s5, 8
	s_waitcnt lgkmcnt(1)
	v_fmac_f64_e32 v[2:3], v[20:21], v[24:25]
	v_fmac_f64_e32 v[0:1], v[22:23], v[24:25]
	ds_read2_b64 v[20:23], v18 offset0:192 offset1:208
	s_waitcnt lgkmcnt(1)
	v_fmac_f64_e32 v[2:3], v[28:29], v[26:27]
	v_fmac_f64_e32 v[0:1], v[30:31], v[26:27]
	ds_read2_b64 v[24:27], v18 offset0:224 offset1:240
	v_fmac_f64_e32 v[6:7], v[28:29], v[34:35]
	v_fmac_f64_e32 v[4:5], v[30:31], v[34:35]
	s_waitcnt lgkmcnt(1)
	v_fmac_f64_e32 v[6:7], v[20:21], v[36:37]
	v_fmac_f64_e32 v[4:5], v[22:23], v[36:37]
	;; [unrolled: 1-line block ×4, first 2 shown]
	s_waitcnt lgkmcnt(0)
	v_fmac_f64_e32 v[6:7], v[24:25], v[38:39]
	v_fmac_f64_e32 v[4:5], v[26:27], v[38:39]
	;; [unrolled: 1-line block ×4, first 2 shown]
	v_lshl_add_u64 v[8:9], v[8:9], 0, 64
	s_cmp_lt_i32 s5, s17
	v_lshl_add_u64 v[10:11], v[10:11], 0, s[8:9]
	s_barrier
	s_cbranch_scc0 .LBB350_10
.LBB350_6:                              ; =>This Inner Loop Header: Depth=1
	v_add_u32_e32 v20, s5, v15
	v_cmp_gt_i32_e64 s[6:7], s17, v20
	s_and_b64 s[14:15], vcc, s[6:7]
	v_mov_b64_e32 v[20:21], 0
	s_and_saveexec_b64 s[6:7], s[14:15]
	s_cbranch_execz .LBB350_8
; %bb.7:                                ;   in Loop: Header=BB350_6 Depth=1
	flat_load_dwordx2 v[20:21], v[8:9]
.LBB350_8:                              ;   in Loop: Header=BB350_6 Depth=1
	s_or_b64 exec, exec, s[6:7]
	s_waitcnt vmcnt(0) lgkmcnt(0)
	ds_write_b64 v16, v[20:21]
	v_add_u32_e32 v20, s5, v14
	v_cmp_gt_i32_e64 s[6:7], s17, v20
	s_and_b64 s[14:15], s[6:7], s[2:3]
	v_mov_b64_e32 v[20:21], 0
	s_and_saveexec_b64 s[6:7], s[14:15]
	s_cbranch_execz .LBB350_5
; %bb.9:                                ;   in Loop: Header=BB350_6 Depth=1
	flat_load_dwordx2 v[20:21], v[10:11]
	s_branch .LBB350_5
.LBB350_10:
	s_load_dwordx2 s[6:7], s[0:1], 0x58
	s_load_dword s8, s[0:1], 0x50
	v_add_u32_e32 v8, s4, v12
	v_add_u32_e32 v14, s20, v13
	v_cmp_gt_i32_e64 s[2:3], s16, v14
	s_waitcnt lgkmcnt(0)
	s_lshl_b64 s[0:1], s[6:7], 3
	s_add_u32 s4, s18, s0
	s_addc_u32 s5, s19, s1
	v_mad_i64_i32 v[10:11], s[0:1], v14, s8, 0
	v_cmp_neq_f64_e64 s[0:1], s[10:11], 0
	v_cmp_le_i32_e32 vcc, v8, v14
	v_lshl_add_u64 v[10:11], v[10:11], 3, s[4:5]
	v_cndmask_b32_e64 v12, 0, 1, s[0:1]
	s_and_b64 s[14:15], s[2:3], vcc
	v_ashrrev_i32_e32 v9, 31, v8
	v_cmp_ne_u32_e64 s[0:1], 1, v12
	s_and_saveexec_b64 s[6:7], s[14:15]
	s_cbranch_execz .LBB350_14
; %bb.11:
	v_mul_f64 v[6:7], s[12:13], v[6:7]
	s_and_b64 vcc, exec, s[0:1]
	v_lshl_add_u64 v[12:13], v[8:9], 3, v[10:11]
	s_cbranch_vccnz .LBB350_13
; %bb.12:
	flat_load_dwordx2 v[16:17], v[12:13]
	s_waitcnt vmcnt(0) lgkmcnt(0)
	v_fmac_f64_e32 v[6:7], s[10:11], v[16:17]
.LBB350_13:
	flat_store_dwordx2 v[12:13], v[6:7]
.LBB350_14:
	s_or_b64 exec, exec, s[6:7]
	v_add_u32_e32 v6, 16, v8
	v_cmp_le_i32_e32 vcc, v6, v14
	s_and_b64 s[6:7], s[2:3], vcc
	v_ashrrev_i32_e32 v7, 31, v6
	s_and_saveexec_b64 s[2:3], s[6:7]
	s_cbranch_execz .LBB350_18
; %bb.15:
	v_mul_f64 v[4:5], s[12:13], v[4:5]
	s_and_b64 vcc, exec, s[0:1]
	v_lshl_add_u64 v[10:11], v[6:7], 3, v[10:11]
	s_cbranch_vccnz .LBB350_17
; %bb.16:
	flat_load_dwordx2 v[12:13], v[10:11]
	s_waitcnt vmcnt(0) lgkmcnt(0)
	v_fmac_f64_e32 v[4:5], s[10:11], v[12:13]
.LBB350_17:
	flat_store_dwordx2 v[10:11], v[4:5]
.LBB350_18:
	s_or_b64 exec, exec, s[2:3]
	v_add_u32_e32 v10, 16, v14
	v_cmp_gt_i32_e64 s[2:3], s16, v10
	v_mad_i64_i32 v[4:5], s[6:7], v10, s8, 0
	v_cmp_le_i32_e32 vcc, v8, v10
	v_lshl_add_u64 v[4:5], v[4:5], 3, s[4:5]
	s_and_b64 s[6:7], s[2:3], vcc
	s_and_saveexec_b64 s[4:5], s[6:7]
	s_cbranch_execz .LBB350_22
; %bb.19:
	v_mul_f64 v[2:3], s[12:13], v[2:3]
	s_and_b64 vcc, exec, s[0:1]
	v_lshl_add_u64 v[8:9], v[8:9], 3, v[4:5]
	s_cbranch_vccnz .LBB350_21
; %bb.20:
	flat_load_dwordx2 v[12:13], v[8:9]
	s_waitcnt vmcnt(0) lgkmcnt(0)
	v_fmac_f64_e32 v[2:3], s[10:11], v[12:13]
.LBB350_21:
	flat_store_dwordx2 v[8:9], v[2:3]
.LBB350_22:
	s_or_b64 exec, exec, s[4:5]
	v_cmp_le_i32_e32 vcc, v6, v10
	s_and_b64 s[2:3], s[2:3], vcc
	s_and_saveexec_b64 s[4:5], s[2:3]
	s_cbranch_execz .LBB350_26
; %bb.23:
	v_mul_f64 v[0:1], s[12:13], v[0:1]
	s_and_b64 vcc, exec, s[0:1]
	v_lshl_add_u64 v[2:3], v[6:7], 3, v[4:5]
	s_cbranch_vccnz .LBB350_25
; %bb.24:
	flat_load_dwordx2 v[4:5], v[2:3]
	s_waitcnt vmcnt(0) lgkmcnt(0)
	v_fmac_f64_e32 v[0:1], s[10:11], v[4:5]
.LBB350_25:
	flat_store_dwordx2 v[2:3], v[0:1]
.LBB350_26:
	s_endpgm
	.section	.rodata,"a",@progbits
	.p2align	6, 0x0
	.amdhsa_kernel _ZL29rocblas_internal_gemmt_kernelIiLi16ELi32ELi8ELc67ELc67ELc85ELb0ELb0EddPKPKdPKPdEviT_T9_T10_S7_lS9_S7_lS8_T11_S7_li
		.amdhsa_group_segment_fixed_size 4096
		.amdhsa_private_segment_fixed_size 0
		.amdhsa_kernarg_size 100
		.amdhsa_user_sgpr_count 2
		.amdhsa_user_sgpr_dispatch_ptr 0
		.amdhsa_user_sgpr_queue_ptr 0
		.amdhsa_user_sgpr_kernarg_segment_ptr 1
		.amdhsa_user_sgpr_dispatch_id 0
		.amdhsa_user_sgpr_kernarg_preload_length 0
		.amdhsa_user_sgpr_kernarg_preload_offset 0
		.amdhsa_user_sgpr_private_segment_size 0
		.amdhsa_uses_dynamic_stack 0
		.amdhsa_enable_private_segment 0
		.amdhsa_system_sgpr_workgroup_id_x 1
		.amdhsa_system_sgpr_workgroup_id_y 1
		.amdhsa_system_sgpr_workgroup_id_z 1
		.amdhsa_system_sgpr_workgroup_info 0
		.amdhsa_system_vgpr_workitem_id 1
		.amdhsa_next_free_vgpr 52
		.amdhsa_next_free_sgpr 28
		.amdhsa_accum_offset 52
		.amdhsa_reserve_vcc 1
		.amdhsa_float_round_mode_32 0
		.amdhsa_float_round_mode_16_64 0
		.amdhsa_float_denorm_mode_32 3
		.amdhsa_float_denorm_mode_16_64 3
		.amdhsa_dx10_clamp 1
		.amdhsa_ieee_mode 1
		.amdhsa_fp16_overflow 0
		.amdhsa_tg_split 0
		.amdhsa_exception_fp_ieee_invalid_op 0
		.amdhsa_exception_fp_denorm_src 0
		.amdhsa_exception_fp_ieee_div_zero 0
		.amdhsa_exception_fp_ieee_overflow 0
		.amdhsa_exception_fp_ieee_underflow 0
		.amdhsa_exception_fp_ieee_inexact 0
		.amdhsa_exception_int_div_zero 0
	.end_amdhsa_kernel
	.section	.text._ZL29rocblas_internal_gemmt_kernelIiLi16ELi32ELi8ELc67ELc67ELc85ELb0ELb0EddPKPKdPKPdEviT_T9_T10_S7_lS9_S7_lS8_T11_S7_li,"axG",@progbits,_ZL29rocblas_internal_gemmt_kernelIiLi16ELi32ELi8ELc67ELc67ELc85ELb0ELb0EddPKPKdPKPdEviT_T9_T10_S7_lS9_S7_lS8_T11_S7_li,comdat
.Lfunc_end350:
	.size	_ZL29rocblas_internal_gemmt_kernelIiLi16ELi32ELi8ELc67ELc67ELc85ELb0ELb0EddPKPKdPKPdEviT_T9_T10_S7_lS9_S7_lS8_T11_S7_li, .Lfunc_end350-_ZL29rocblas_internal_gemmt_kernelIiLi16ELi32ELi8ELc67ELc67ELc85ELb0ELb0EddPKPKdPKPdEviT_T9_T10_S7_lS9_S7_lS8_T11_S7_li
                                        ; -- End function
	.set _ZL29rocblas_internal_gemmt_kernelIiLi16ELi32ELi8ELc67ELc67ELc85ELb0ELb0EddPKPKdPKPdEviT_T9_T10_S7_lS9_S7_lS8_T11_S7_li.num_vgpr, 52
	.set _ZL29rocblas_internal_gemmt_kernelIiLi16ELi32ELi8ELc67ELc67ELc85ELb0ELb0EddPKPKdPKPdEviT_T9_T10_S7_lS9_S7_lS8_T11_S7_li.num_agpr, 0
	.set _ZL29rocblas_internal_gemmt_kernelIiLi16ELi32ELi8ELc67ELc67ELc85ELb0ELb0EddPKPKdPKPdEviT_T9_T10_S7_lS9_S7_lS8_T11_S7_li.numbered_sgpr, 28
	.set _ZL29rocblas_internal_gemmt_kernelIiLi16ELi32ELi8ELc67ELc67ELc85ELb0ELb0EddPKPKdPKPdEviT_T9_T10_S7_lS9_S7_lS8_T11_S7_li.num_named_barrier, 0
	.set _ZL29rocblas_internal_gemmt_kernelIiLi16ELi32ELi8ELc67ELc67ELc85ELb0ELb0EddPKPKdPKPdEviT_T9_T10_S7_lS9_S7_lS8_T11_S7_li.private_seg_size, 0
	.set _ZL29rocblas_internal_gemmt_kernelIiLi16ELi32ELi8ELc67ELc67ELc85ELb0ELb0EddPKPKdPKPdEviT_T9_T10_S7_lS9_S7_lS8_T11_S7_li.uses_vcc, 1
	.set _ZL29rocblas_internal_gemmt_kernelIiLi16ELi32ELi8ELc67ELc67ELc85ELb0ELb0EddPKPKdPKPdEviT_T9_T10_S7_lS9_S7_lS8_T11_S7_li.uses_flat_scratch, 0
	.set _ZL29rocblas_internal_gemmt_kernelIiLi16ELi32ELi8ELc67ELc67ELc85ELb0ELb0EddPKPKdPKPdEviT_T9_T10_S7_lS9_S7_lS8_T11_S7_li.has_dyn_sized_stack, 0
	.set _ZL29rocblas_internal_gemmt_kernelIiLi16ELi32ELi8ELc67ELc67ELc85ELb0ELb0EddPKPKdPKPdEviT_T9_T10_S7_lS9_S7_lS8_T11_S7_li.has_recursion, 0
	.set _ZL29rocblas_internal_gemmt_kernelIiLi16ELi32ELi8ELc67ELc67ELc85ELb0ELb0EddPKPKdPKPdEviT_T9_T10_S7_lS9_S7_lS8_T11_S7_li.has_indirect_call, 0
	.section	.AMDGPU.csdata,"",@progbits
; Kernel info:
; codeLenInByte = 1300
; TotalNumSgprs: 34
; NumVgprs: 52
; NumAgprs: 0
; TotalNumVgprs: 52
; ScratchSize: 0
; MemoryBound: 0
; FloatMode: 240
; IeeeMode: 1
; LDSByteSize: 4096 bytes/workgroup (compile time only)
; SGPRBlocks: 4
; VGPRBlocks: 6
; NumSGPRsForWavesPerEU: 34
; NumVGPRsForWavesPerEU: 52
; AccumOffset: 52
; Occupancy: 8
; WaveLimiterHint : 1
; COMPUTE_PGM_RSRC2:SCRATCH_EN: 0
; COMPUTE_PGM_RSRC2:USER_SGPR: 2
; COMPUTE_PGM_RSRC2:TRAP_HANDLER: 0
; COMPUTE_PGM_RSRC2:TGID_X_EN: 1
; COMPUTE_PGM_RSRC2:TGID_Y_EN: 1
; COMPUTE_PGM_RSRC2:TGID_Z_EN: 1
; COMPUTE_PGM_RSRC2:TIDIG_COMP_CNT: 1
; COMPUTE_PGM_RSRC3_GFX90A:ACCUM_OFFSET: 12
; COMPUTE_PGM_RSRC3_GFX90A:TG_SPLIT: 0
	.section	.text._ZL29rocblas_internal_gemmt_kernelIiLi16ELi32ELi8ELc78ELc78ELc76ELb0ELb0EddPKPKdPKPdEviT_T9_T10_S7_lS9_S7_lS8_T11_S7_li,"axG",@progbits,_ZL29rocblas_internal_gemmt_kernelIiLi16ELi32ELi8ELc78ELc78ELc76ELb0ELb0EddPKPKdPKPdEviT_T9_T10_S7_lS9_S7_lS8_T11_S7_li,comdat
	.globl	_ZL29rocblas_internal_gemmt_kernelIiLi16ELi32ELi8ELc78ELc78ELc76ELb0ELb0EddPKPKdPKPdEviT_T9_T10_S7_lS9_S7_lS8_T11_S7_li ; -- Begin function _ZL29rocblas_internal_gemmt_kernelIiLi16ELi32ELi8ELc78ELc78ELc76ELb0ELb0EddPKPKdPKPdEviT_T9_T10_S7_lS9_S7_lS8_T11_S7_li
	.p2align	8
	.type	_ZL29rocblas_internal_gemmt_kernelIiLi16ELi32ELi8ELc78ELc78ELc76ELb0ELb0EddPKPKdPKPdEviT_T9_T10_S7_lS9_S7_lS8_T11_S7_li,@function
_ZL29rocblas_internal_gemmt_kernelIiLi16ELi32ELi8ELc78ELc78ELc76ELb0ELb0EddPKPKdPKPdEviT_T9_T10_S7_lS9_S7_lS8_T11_S7_li: ; @_ZL29rocblas_internal_gemmt_kernelIiLi16ELi32ELi8ELc78ELc78ELc76ELb0ELb0EddPKPKdPKPdEviT_T9_T10_S7_lS9_S7_lS8_T11_S7_li
; %bb.0:
	s_load_dwordx4 s[8:11], s[0:1], 0x38
	s_load_dwordx2 s[16:17], s[0:1], 0x0
	s_load_dwordx4 s[12:15], s[0:1], 0x8
	s_waitcnt lgkmcnt(0)
	v_cmp_neq_f64_e64 s[6:7], s[10:11], 1.0
	s_and_b64 vcc, exec, s[6:7]
	s_cbranch_vccnz .LBB351_2
; %bb.1:
	s_cmp_lg_u32 s17, 0
	s_cselect_b64 s[6:7], -1, 0
	v_cmp_neq_f64_e64 s[18:19], s[12:13], 0
	s_and_b64 s[6:7], s[6:7], s[18:19]
.LBB351_2:
	s_andn2_b64 vcc, exec, s[6:7]
	s_cbranch_vccnz .LBB351_26
; %bb.3:
	s_load_dwordx2 s[18:19], s[0:1], 0x48
	s_mov_b32 s5, 0
	s_lshl_b64 s[6:7], s[4:5], 3
	v_and_b32_e32 v12, 0x3ff, v0
	v_bfe_u32 v13, v0, 10, 10
	s_waitcnt lgkmcnt(0)
	s_add_u32 s18, s18, s6
	s_addc_u32 s19, s19, s7
	s_load_dwordx2 s[18:19], s[18:19], 0x0
	s_lshl_b32 s4, s2, 5
	s_lshl_b32 s20, s3, 5
	s_cmp_lt_i32 s17, 1
	v_cmp_eq_f64_e64 s[2:3], s[12:13], 0
	s_cselect_b64 s[22:23], -1, 0
	s_or_b64 s[2:3], s[2:3], s[22:23]
	v_mov_b64_e32 v[6:7], 0
	s_and_b64 vcc, exec, s[2:3]
	v_mov_b64_e32 v[4:5], 0
	v_mov_b64_e32 v[2:3], 0
	;; [unrolled: 1-line block ×3, first 2 shown]
	s_cbranch_vccnz .LBB351_10
; %bb.4:
	s_load_dword s22, s[0:1], 0x18
	s_load_dwordx4 s[24:27], s[0:1], 0x20
	s_load_dword s21, s[0:1], 0x30
	v_lshl_add_u32 v0, v13, 4, v12
	v_lshrrev_b32_e32 v15, 5, v0
	v_and_b32_e32 v4, 31, v0
	s_waitcnt lgkmcnt(0)
	s_ashr_i32 s23, s22, 31
	s_add_u32 s2, s26, s6
	s_addc_u32 s3, s27, s7
	s_load_dwordx2 s[26:27], s[2:3], 0x0
	s_add_u32 s2, s14, s6
	s_addc_u32 s3, s15, s7
	s_load_dwordx2 s[6:7], s[2:3], 0x0
	v_lshrrev_b32_e32 v1, 3, v0
	v_or_b32_e32 v0, s4, v4
	v_mad_i64_i32 v[2:3], s[14:15], v15, s22, 0
	v_cmp_gt_i32_e32 vcc, s16, v0
	v_lshlrev_b32_e32 v0, 3, v4
	s_lshl_b64 s[14:15], s[24:25], 3
	v_add_u32_e32 v4, s4, v4
	v_and_b32_e32 v14, 7, v12
	v_lshl_add_u64 v[2:3], v[2:3], 3, s[14:15]
	v_ashrrev_i32_e32 v5, 31, v4
	v_add_u32_e32 v6, s20, v1
	v_lshl_or_b32 v16, v15, 8, v0
	v_lshlrev_b32_e32 v0, 3, v14
	v_lshl_add_u64 v[2:3], v[4:5], 3, v[2:3]
	v_lshl_or_b32 v1, v1, 6, v0
	s_waitcnt lgkmcnt(0)
	v_lshl_add_u64 v[8:9], s[6:7], 0, v[2:3]
	v_mad_i64_i32 v[2:3], s[6:7], s21, v6, 0
	v_add_u32_e32 v17, 0x800, v1
	v_mov_b32_e32 v1, 0x800
	s_lshl_b64 s[6:7], s[8:9], 3
	v_lshl_add_u32 v19, v13, 6, v1
	v_lshl_add_u64 v[2:3], v[2:3], 3, s[6:7]
	v_mov_b32_e32 v1, 0
	v_lshl_add_u64 v[0:1], v[2:3], 0, v[0:1]
	v_cmp_gt_i32_e64 s[2:3], s16, v6
	v_lshlrev_b32_e32 v18, 3, v12
	s_lshl_b64 s[14:15], s[22:23], 6
	v_lshl_add_u64 v[10:11], s[26:27], 0, v[0:1]
	v_mov_b64_e32 v[0:1], 0
	v_mov_b64_e32 v[2:3], 0
	;; [unrolled: 1-line block ×4, first 2 shown]
	s_branch .LBB351_6
.LBB351_5:                              ;   in Loop: Header=BB351_6 Depth=1
	s_or_b64 exec, exec, s[6:7]
	s_waitcnt vmcnt(0) lgkmcnt(0)
	ds_write_b64 v17, v[20:21]
	s_waitcnt lgkmcnt(0)
	s_barrier
	ds_read2_b64 v[20:23], v18 offset1:16
	ds_read_b128 v[24:27], v19
	ds_read_b128 v[28:31], v19 offset:16
	ds_read_b128 v[32:35], v19 offset:32
	;; [unrolled: 1-line block ×4, first 2 shown]
	ds_read2_b64 v[44:47], v18 offset0:32 offset1:48
	s_waitcnt lgkmcnt(5)
	v_fmac_f64_e32 v[6:7], v[20:21], v[24:25]
	v_fmac_f64_e32 v[4:5], v[22:23], v[24:25]
	ds_read_b128 v[48:51], v19 offset:1040
	s_waitcnt lgkmcnt(2)
	v_fmac_f64_e32 v[2:3], v[20:21], v[40:41]
	v_fmac_f64_e32 v[0:1], v[22:23], v[40:41]
	ds_read2_b64 v[20:23], v18 offset0:64 offset1:80
	s_waitcnt lgkmcnt(2)
	v_fmac_f64_e32 v[6:7], v[44:45], v[26:27]
	v_fmac_f64_e32 v[4:5], v[46:47], v[26:27]
	ds_read2_b64 v[24:27], v18 offset0:96 offset1:112
	v_fmac_f64_e32 v[2:3], v[44:45], v[42:43]
	v_fmac_f64_e32 v[0:1], v[46:47], v[42:43]
	s_waitcnt lgkmcnt(1)
	v_fmac_f64_e32 v[6:7], v[20:21], v[28:29]
	v_fmac_f64_e32 v[4:5], v[22:23], v[28:29]
	ds_read_b128 v[40:43], v19 offset:1072
	v_fmac_f64_e32 v[2:3], v[20:21], v[48:49]
	v_fmac_f64_e32 v[0:1], v[22:23], v[48:49]
	s_waitcnt lgkmcnt(1)
	v_fmac_f64_e32 v[6:7], v[24:25], v[30:31]
	ds_read2_b64 v[20:23], v18 offset0:128 offset1:144
	v_fmac_f64_e32 v[4:5], v[26:27], v[30:31]
	v_fmac_f64_e32 v[2:3], v[24:25], v[50:51]
	;; [unrolled: 1-line block ×3, first 2 shown]
	ds_read_b128 v[24:27], v19 offset:1056
	ds_read2_b64 v[28:31], v18 offset0:160 offset1:176
	s_waitcnt lgkmcnt(2)
	v_fmac_f64_e32 v[6:7], v[20:21], v[32:33]
	v_fmac_f64_e32 v[4:5], v[22:23], v[32:33]
	s_add_i32 s5, s5, 8
	s_waitcnt lgkmcnt(1)
	v_fmac_f64_e32 v[2:3], v[20:21], v[24:25]
	v_fmac_f64_e32 v[0:1], v[22:23], v[24:25]
	ds_read2_b64 v[20:23], v18 offset0:192 offset1:208
	s_waitcnt lgkmcnt(1)
	v_fmac_f64_e32 v[2:3], v[28:29], v[26:27]
	v_fmac_f64_e32 v[0:1], v[30:31], v[26:27]
	ds_read2_b64 v[24:27], v18 offset0:224 offset1:240
	v_fmac_f64_e32 v[6:7], v[28:29], v[34:35]
	v_fmac_f64_e32 v[4:5], v[30:31], v[34:35]
	s_waitcnt lgkmcnt(1)
	v_fmac_f64_e32 v[6:7], v[20:21], v[36:37]
	v_fmac_f64_e32 v[4:5], v[22:23], v[36:37]
	;; [unrolled: 1-line block ×4, first 2 shown]
	s_waitcnt lgkmcnt(0)
	v_fmac_f64_e32 v[6:7], v[24:25], v[38:39]
	v_fmac_f64_e32 v[4:5], v[26:27], v[38:39]
	;; [unrolled: 1-line block ×4, first 2 shown]
	v_lshl_add_u64 v[8:9], v[8:9], 0, s[14:15]
	s_cmp_lt_i32 s5, s17
	v_lshl_add_u64 v[10:11], v[10:11], 0, 64
	s_barrier
	s_cbranch_scc0 .LBB351_10
.LBB351_6:                              ; =>This Inner Loop Header: Depth=1
	v_add_u32_e32 v20, s5, v15
	v_cmp_gt_i32_e64 s[6:7], s17, v20
	s_and_b64 s[8:9], vcc, s[6:7]
	v_mov_b64_e32 v[20:21], 0
	s_and_saveexec_b64 s[6:7], s[8:9]
	s_cbranch_execz .LBB351_8
; %bb.7:                                ;   in Loop: Header=BB351_6 Depth=1
	flat_load_dwordx2 v[20:21], v[8:9]
.LBB351_8:                              ;   in Loop: Header=BB351_6 Depth=1
	s_or_b64 exec, exec, s[6:7]
	s_waitcnt vmcnt(0) lgkmcnt(0)
	ds_write_b64 v16, v[20:21]
	v_add_u32_e32 v20, s5, v14
	v_cmp_gt_i32_e64 s[6:7], s17, v20
	s_and_b64 s[8:9], s[6:7], s[2:3]
	v_mov_b64_e32 v[20:21], 0
	s_and_saveexec_b64 s[6:7], s[8:9]
	s_cbranch_execz .LBB351_5
; %bb.9:                                ;   in Loop: Header=BB351_6 Depth=1
	flat_load_dwordx2 v[20:21], v[10:11]
	s_branch .LBB351_5
.LBB351_10:
	s_load_dwordx2 s[2:3], s[0:1], 0x58
	s_load_dword s14, s[0:1], 0x50
	v_add_u32_e32 v14, s20, v13
	v_add_u32_e32 v8, s4, v12
	v_cmp_le_i32_e32 vcc, v14, v8
	s_waitcnt lgkmcnt(0)
	s_lshl_b64 s[0:1], s[2:3], 3
	s_add_u32 s6, s18, s0
	s_addc_u32 s7, s19, s1
	v_mad_i64_i32 v[10:11], s[0:1], v14, s14, 0
	v_cmp_neq_f64_e64 s[0:1], s[10:11], 0
	v_cmp_gt_i32_e64 s[2:3], s16, v8
	v_lshl_add_u64 v[10:11], v[10:11], 3, s[6:7]
	v_cndmask_b32_e64 v12, 0, 1, s[0:1]
	s_and_b64 s[8:9], vcc, s[2:3]
	v_ashrrev_i32_e32 v9, 31, v8
	v_cmp_ne_u32_e64 s[0:1], 1, v12
	s_and_saveexec_b64 s[4:5], s[8:9]
	s_cbranch_execz .LBB351_14
; %bb.11:
	v_mul_f64 v[6:7], s[12:13], v[6:7]
	s_and_b64 vcc, exec, s[0:1]
	v_lshl_add_u64 v[12:13], v[8:9], 3, v[10:11]
	s_cbranch_vccnz .LBB351_13
; %bb.12:
	flat_load_dwordx2 v[16:17], v[12:13]
	s_waitcnt vmcnt(0) lgkmcnt(0)
	v_fmac_f64_e32 v[6:7], s[10:11], v[16:17]
.LBB351_13:
	flat_store_dwordx2 v[12:13], v[6:7]
.LBB351_14:
	s_or_b64 exec, exec, s[4:5]
	v_add_u32_e32 v6, 16, v8
	v_cmp_le_i32_e32 vcc, v14, v6
	v_cmp_gt_i32_e64 s[4:5], s16, v6
	s_and_b64 s[16:17], vcc, s[4:5]
	v_ashrrev_i32_e32 v7, 31, v6
	s_and_saveexec_b64 s[8:9], s[16:17]
	s_cbranch_execz .LBB351_18
; %bb.15:
	v_mul_f64 v[4:5], s[12:13], v[4:5]
	s_and_b64 vcc, exec, s[0:1]
	v_lshl_add_u64 v[10:11], v[6:7], 3, v[10:11]
	s_cbranch_vccnz .LBB351_17
; %bb.16:
	flat_load_dwordx2 v[12:13], v[10:11]
	s_waitcnt vmcnt(0) lgkmcnt(0)
	v_fmac_f64_e32 v[4:5], s[10:11], v[12:13]
.LBB351_17:
	flat_store_dwordx2 v[10:11], v[4:5]
.LBB351_18:
	s_or_b64 exec, exec, s[8:9]
	v_add_u32_e32 v10, 16, v14
	v_mad_i64_i32 v[4:5], s[8:9], v10, s14, 0
	v_cmp_le_i32_e32 vcc, v10, v8
	v_lshl_add_u64 v[4:5], v[4:5], 3, s[6:7]
	s_and_b64 s[6:7], vcc, s[2:3]
	s_and_saveexec_b64 s[2:3], s[6:7]
	s_cbranch_execz .LBB351_22
; %bb.19:
	v_mul_f64 v[2:3], s[12:13], v[2:3]
	s_and_b64 vcc, exec, s[0:1]
	v_lshl_add_u64 v[8:9], v[8:9], 3, v[4:5]
	s_cbranch_vccnz .LBB351_21
; %bb.20:
	flat_load_dwordx2 v[12:13], v[8:9]
	s_waitcnt vmcnt(0) lgkmcnt(0)
	v_fmac_f64_e32 v[2:3], s[10:11], v[12:13]
.LBB351_21:
	flat_store_dwordx2 v[8:9], v[2:3]
.LBB351_22:
	s_or_b64 exec, exec, s[2:3]
	v_cmp_le_i32_e32 vcc, v10, v6
	s_and_b64 s[2:3], vcc, s[4:5]
	s_and_saveexec_b64 s[4:5], s[2:3]
	s_cbranch_execz .LBB351_26
; %bb.23:
	v_mul_f64 v[0:1], s[12:13], v[0:1]
	s_and_b64 vcc, exec, s[0:1]
	v_lshl_add_u64 v[2:3], v[6:7], 3, v[4:5]
	s_cbranch_vccnz .LBB351_25
; %bb.24:
	flat_load_dwordx2 v[4:5], v[2:3]
	s_waitcnt vmcnt(0) lgkmcnt(0)
	v_fmac_f64_e32 v[0:1], s[10:11], v[4:5]
.LBB351_25:
	flat_store_dwordx2 v[2:3], v[0:1]
.LBB351_26:
	s_endpgm
	.section	.rodata,"a",@progbits
	.p2align	6, 0x0
	.amdhsa_kernel _ZL29rocblas_internal_gemmt_kernelIiLi16ELi32ELi8ELc78ELc78ELc76ELb0ELb0EddPKPKdPKPdEviT_T9_T10_S7_lS9_S7_lS8_T11_S7_li
		.amdhsa_group_segment_fixed_size 4096
		.amdhsa_private_segment_fixed_size 0
		.amdhsa_kernarg_size 100
		.amdhsa_user_sgpr_count 2
		.amdhsa_user_sgpr_dispatch_ptr 0
		.amdhsa_user_sgpr_queue_ptr 0
		.amdhsa_user_sgpr_kernarg_segment_ptr 1
		.amdhsa_user_sgpr_dispatch_id 0
		.amdhsa_user_sgpr_kernarg_preload_length 0
		.amdhsa_user_sgpr_kernarg_preload_offset 0
		.amdhsa_user_sgpr_private_segment_size 0
		.amdhsa_uses_dynamic_stack 0
		.amdhsa_enable_private_segment 0
		.amdhsa_system_sgpr_workgroup_id_x 1
		.amdhsa_system_sgpr_workgroup_id_y 1
		.amdhsa_system_sgpr_workgroup_id_z 1
		.amdhsa_system_sgpr_workgroup_info 0
		.amdhsa_system_vgpr_workitem_id 1
		.amdhsa_next_free_vgpr 52
		.amdhsa_next_free_sgpr 28
		.amdhsa_accum_offset 52
		.amdhsa_reserve_vcc 1
		.amdhsa_float_round_mode_32 0
		.amdhsa_float_round_mode_16_64 0
		.amdhsa_float_denorm_mode_32 3
		.amdhsa_float_denorm_mode_16_64 3
		.amdhsa_dx10_clamp 1
		.amdhsa_ieee_mode 1
		.amdhsa_fp16_overflow 0
		.amdhsa_tg_split 0
		.amdhsa_exception_fp_ieee_invalid_op 0
		.amdhsa_exception_fp_denorm_src 0
		.amdhsa_exception_fp_ieee_div_zero 0
		.amdhsa_exception_fp_ieee_overflow 0
		.amdhsa_exception_fp_ieee_underflow 0
		.amdhsa_exception_fp_ieee_inexact 0
		.amdhsa_exception_int_div_zero 0
	.end_amdhsa_kernel
	.section	.text._ZL29rocblas_internal_gemmt_kernelIiLi16ELi32ELi8ELc78ELc78ELc76ELb0ELb0EddPKPKdPKPdEviT_T9_T10_S7_lS9_S7_lS8_T11_S7_li,"axG",@progbits,_ZL29rocblas_internal_gemmt_kernelIiLi16ELi32ELi8ELc78ELc78ELc76ELb0ELb0EddPKPKdPKPdEviT_T9_T10_S7_lS9_S7_lS8_T11_S7_li,comdat
.Lfunc_end351:
	.size	_ZL29rocblas_internal_gemmt_kernelIiLi16ELi32ELi8ELc78ELc78ELc76ELb0ELb0EddPKPKdPKPdEviT_T9_T10_S7_lS9_S7_lS8_T11_S7_li, .Lfunc_end351-_ZL29rocblas_internal_gemmt_kernelIiLi16ELi32ELi8ELc78ELc78ELc76ELb0ELb0EddPKPKdPKPdEviT_T9_T10_S7_lS9_S7_lS8_T11_S7_li
                                        ; -- End function
	.set _ZL29rocblas_internal_gemmt_kernelIiLi16ELi32ELi8ELc78ELc78ELc76ELb0ELb0EddPKPKdPKPdEviT_T9_T10_S7_lS9_S7_lS8_T11_S7_li.num_vgpr, 52
	.set _ZL29rocblas_internal_gemmt_kernelIiLi16ELi32ELi8ELc78ELc78ELc76ELb0ELb0EddPKPKdPKPdEviT_T9_T10_S7_lS9_S7_lS8_T11_S7_li.num_agpr, 0
	.set _ZL29rocblas_internal_gemmt_kernelIiLi16ELi32ELi8ELc78ELc78ELc76ELb0ELb0EddPKPKdPKPdEviT_T9_T10_S7_lS9_S7_lS8_T11_S7_li.numbered_sgpr, 28
	.set _ZL29rocblas_internal_gemmt_kernelIiLi16ELi32ELi8ELc78ELc78ELc76ELb0ELb0EddPKPKdPKPdEviT_T9_T10_S7_lS9_S7_lS8_T11_S7_li.num_named_barrier, 0
	.set _ZL29rocblas_internal_gemmt_kernelIiLi16ELi32ELi8ELc78ELc78ELc76ELb0ELb0EddPKPKdPKPdEviT_T9_T10_S7_lS9_S7_lS8_T11_S7_li.private_seg_size, 0
	.set _ZL29rocblas_internal_gemmt_kernelIiLi16ELi32ELi8ELc78ELc78ELc76ELb0ELb0EddPKPKdPKPdEviT_T9_T10_S7_lS9_S7_lS8_T11_S7_li.uses_vcc, 1
	.set _ZL29rocblas_internal_gemmt_kernelIiLi16ELi32ELi8ELc78ELc78ELc76ELb0ELb0EddPKPKdPKPdEviT_T9_T10_S7_lS9_S7_lS8_T11_S7_li.uses_flat_scratch, 0
	.set _ZL29rocblas_internal_gemmt_kernelIiLi16ELi32ELi8ELc78ELc78ELc76ELb0ELb0EddPKPKdPKPdEviT_T9_T10_S7_lS9_S7_lS8_T11_S7_li.has_dyn_sized_stack, 0
	.set _ZL29rocblas_internal_gemmt_kernelIiLi16ELi32ELi8ELc78ELc78ELc76ELb0ELb0EddPKPKdPKPdEviT_T9_T10_S7_lS9_S7_lS8_T11_S7_li.has_recursion, 0
	.set _ZL29rocblas_internal_gemmt_kernelIiLi16ELi32ELi8ELc78ELc78ELc76ELb0ELb0EddPKPKdPKPdEviT_T9_T10_S7_lS9_S7_lS8_T11_S7_li.has_indirect_call, 0
	.section	.AMDGPU.csdata,"",@progbits
; Kernel info:
; codeLenInByte = 1292
; TotalNumSgprs: 34
; NumVgprs: 52
; NumAgprs: 0
; TotalNumVgprs: 52
; ScratchSize: 0
; MemoryBound: 0
; FloatMode: 240
; IeeeMode: 1
; LDSByteSize: 4096 bytes/workgroup (compile time only)
; SGPRBlocks: 4
; VGPRBlocks: 6
; NumSGPRsForWavesPerEU: 34
; NumVGPRsForWavesPerEU: 52
; AccumOffset: 52
; Occupancy: 8
; WaveLimiterHint : 1
; COMPUTE_PGM_RSRC2:SCRATCH_EN: 0
; COMPUTE_PGM_RSRC2:USER_SGPR: 2
; COMPUTE_PGM_RSRC2:TRAP_HANDLER: 0
; COMPUTE_PGM_RSRC2:TGID_X_EN: 1
; COMPUTE_PGM_RSRC2:TGID_Y_EN: 1
; COMPUTE_PGM_RSRC2:TGID_Z_EN: 1
; COMPUTE_PGM_RSRC2:TIDIG_COMP_CNT: 1
; COMPUTE_PGM_RSRC3_GFX90A:ACCUM_OFFSET: 12
; COMPUTE_PGM_RSRC3_GFX90A:TG_SPLIT: 0
	.section	.text._ZL29rocblas_internal_gemmt_kernelIiLi16ELi32ELi8ELc78ELc84ELc76ELb0ELb0EddPKPKdPKPdEviT_T9_T10_S7_lS9_S7_lS8_T11_S7_li,"axG",@progbits,_ZL29rocblas_internal_gemmt_kernelIiLi16ELi32ELi8ELc78ELc84ELc76ELb0ELb0EddPKPKdPKPdEviT_T9_T10_S7_lS9_S7_lS8_T11_S7_li,comdat
	.globl	_ZL29rocblas_internal_gemmt_kernelIiLi16ELi32ELi8ELc78ELc84ELc76ELb0ELb0EddPKPKdPKPdEviT_T9_T10_S7_lS9_S7_lS8_T11_S7_li ; -- Begin function _ZL29rocblas_internal_gemmt_kernelIiLi16ELi32ELi8ELc78ELc84ELc76ELb0ELb0EddPKPKdPKPdEviT_T9_T10_S7_lS9_S7_lS8_T11_S7_li
	.p2align	8
	.type	_ZL29rocblas_internal_gemmt_kernelIiLi16ELi32ELi8ELc78ELc84ELc76ELb0ELb0EddPKPKdPKPdEviT_T9_T10_S7_lS9_S7_lS8_T11_S7_li,@function
_ZL29rocblas_internal_gemmt_kernelIiLi16ELi32ELi8ELc78ELc84ELc76ELb0ELb0EddPKPKdPKPdEviT_T9_T10_S7_lS9_S7_lS8_T11_S7_li: ; @_ZL29rocblas_internal_gemmt_kernelIiLi16ELi32ELi8ELc78ELc84ELc76ELb0ELb0EddPKPKdPKPdEviT_T9_T10_S7_lS9_S7_lS8_T11_S7_li
; %bb.0:
	s_load_dwordx4 s[8:11], s[0:1], 0x38
	s_load_dwordx2 s[16:17], s[0:1], 0x0
	s_load_dwordx4 s[12:15], s[0:1], 0x8
	s_waitcnt lgkmcnt(0)
	v_cmp_neq_f64_e64 s[6:7], s[10:11], 1.0
	s_and_b64 vcc, exec, s[6:7]
	s_cbranch_vccnz .LBB352_2
; %bb.1:
	s_cmp_lg_u32 s17, 0
	s_cselect_b64 s[6:7], -1, 0
	v_cmp_neq_f64_e64 s[18:19], s[12:13], 0
	s_and_b64 s[6:7], s[6:7], s[18:19]
.LBB352_2:
	s_andn2_b64 vcc, exec, s[6:7]
	s_cbranch_vccnz .LBB352_26
; %bb.3:
	s_load_dwordx2 s[18:19], s[0:1], 0x48
	s_mov_b32 s5, 0
	s_lshl_b64 s[6:7], s[4:5], 3
	v_and_b32_e32 v12, 0x3ff, v0
	v_bfe_u32 v13, v0, 10, 10
	s_waitcnt lgkmcnt(0)
	s_add_u32 s18, s18, s6
	s_addc_u32 s19, s19, s7
	s_load_dwordx2 s[18:19], s[18:19], 0x0
	s_lshl_b32 s4, s2, 5
	s_lshl_b32 s20, s3, 5
	s_cmp_lt_i32 s17, 1
	v_cmp_eq_f64_e64 s[2:3], s[12:13], 0
	s_cselect_b64 s[22:23], -1, 0
	s_or_b64 s[2:3], s[2:3], s[22:23]
	v_mov_b64_e32 v[6:7], 0
	s_and_b64 vcc, exec, s[2:3]
	v_mov_b64_e32 v[4:5], 0
	v_mov_b64_e32 v[2:3], 0
	;; [unrolled: 1-line block ×3, first 2 shown]
	s_cbranch_vccnz .LBB352_10
; %bb.4:
	s_load_dword s22, s[0:1], 0x18
	s_load_dwordx4 s[24:27], s[0:1], 0x20
	s_load_dword s28, s[0:1], 0x30
	v_lshl_add_u32 v1, v13, 4, v12
	v_and_b32_e32 v4, 31, v1
	s_waitcnt lgkmcnt(0)
	s_ashr_i32 s23, s22, 31
	v_lshrrev_b32_e32 v15, 5, v1
	s_ashr_i32 s29, s28, 31
	s_add_u32 s2, s26, s6
	v_lshrrev_b32_e32 v2, 3, v1
	v_or_b32_e32 v1, s4, v4
	s_addc_u32 s3, s27, s7
	v_and_b32_e32 v14, 7, v12
	s_load_dwordx2 s[26:27], s[2:3], 0x0
	s_add_u32 s2, s14, s6
	v_cmp_gt_i32_e32 vcc, s16, v1
	v_lshlrev_b32_e32 v1, 3, v4
	s_addc_u32 s3, s15, s7
	v_lshl_or_b32 v16, v15, 8, v1
	v_lshlrev_b32_e32 v1, 3, v14
	v_add_u32_e32 v0, s20, v2
	s_load_dwordx2 s[6:7], s[2:3], 0x0
	v_lshl_or_b32 v1, v2, 6, v1
	v_mov_b32_e32 v2, 0x800
	v_lshl_add_u32 v19, v13, 6, v2
	v_mad_i64_i32 v[2:3], s[14:15], v15, s22, 0
	s_lshl_b64 s[14:15], s[24:25], 3
	v_add_u32_e32 v4, s4, v4
	v_lshl_add_u64 v[2:3], v[2:3], 3, s[14:15]
	v_ashrrev_i32_e32 v5, 31, v4
	v_lshl_add_u64 v[2:3], v[4:5], 3, v[2:3]
	s_waitcnt lgkmcnt(0)
	v_lshl_add_u64 v[8:9], s[6:7], 0, v[2:3]
	v_mad_i64_i32 v[2:3], s[6:7], s28, v14, 0
	s_lshl_b64 s[6:7], s[8:9], 3
	v_add_u32_e32 v17, 0x800, v1
	v_ashrrev_i32_e32 v1, 31, v0
	v_lshl_add_u64 v[2:3], v[2:3], 3, s[6:7]
	v_cmp_gt_i32_e64 s[2:3], s16, v0
	v_lshl_add_u64 v[0:1], v[0:1], 3, v[2:3]
	v_lshlrev_b32_e32 v18, 3, v12
	s_lshl_b64 s[14:15], s[22:23], 6
	v_lshl_add_u64 v[10:11], s[26:27], 0, v[0:1]
	s_lshl_b64 s[8:9], s[28:29], 6
	v_mov_b64_e32 v[0:1], 0
	v_mov_b64_e32 v[2:3], 0
	;; [unrolled: 1-line block ×4, first 2 shown]
	s_branch .LBB352_6
.LBB352_5:                              ;   in Loop: Header=BB352_6 Depth=1
	s_or_b64 exec, exec, s[6:7]
	s_waitcnt vmcnt(0) lgkmcnt(0)
	ds_write_b64 v17, v[20:21]
	s_waitcnt lgkmcnt(0)
	s_barrier
	ds_read2_b64 v[20:23], v18 offset1:16
	ds_read_b128 v[24:27], v19
	ds_read_b128 v[28:31], v19 offset:16
	ds_read_b128 v[32:35], v19 offset:32
	;; [unrolled: 1-line block ×4, first 2 shown]
	ds_read2_b64 v[44:47], v18 offset0:32 offset1:48
	s_waitcnt lgkmcnt(5)
	v_fmac_f64_e32 v[6:7], v[20:21], v[24:25]
	v_fmac_f64_e32 v[4:5], v[22:23], v[24:25]
	ds_read_b128 v[48:51], v19 offset:1040
	s_waitcnt lgkmcnt(2)
	v_fmac_f64_e32 v[2:3], v[20:21], v[40:41]
	v_fmac_f64_e32 v[0:1], v[22:23], v[40:41]
	ds_read2_b64 v[20:23], v18 offset0:64 offset1:80
	s_waitcnt lgkmcnt(2)
	v_fmac_f64_e32 v[6:7], v[44:45], v[26:27]
	v_fmac_f64_e32 v[4:5], v[46:47], v[26:27]
	ds_read2_b64 v[24:27], v18 offset0:96 offset1:112
	v_fmac_f64_e32 v[2:3], v[44:45], v[42:43]
	v_fmac_f64_e32 v[0:1], v[46:47], v[42:43]
	s_waitcnt lgkmcnt(1)
	v_fmac_f64_e32 v[6:7], v[20:21], v[28:29]
	v_fmac_f64_e32 v[4:5], v[22:23], v[28:29]
	ds_read_b128 v[40:43], v19 offset:1072
	v_fmac_f64_e32 v[2:3], v[20:21], v[48:49]
	v_fmac_f64_e32 v[0:1], v[22:23], v[48:49]
	s_waitcnt lgkmcnt(1)
	v_fmac_f64_e32 v[6:7], v[24:25], v[30:31]
	ds_read2_b64 v[20:23], v18 offset0:128 offset1:144
	v_fmac_f64_e32 v[4:5], v[26:27], v[30:31]
	v_fmac_f64_e32 v[2:3], v[24:25], v[50:51]
	;; [unrolled: 1-line block ×3, first 2 shown]
	ds_read_b128 v[24:27], v19 offset:1056
	ds_read2_b64 v[28:31], v18 offset0:160 offset1:176
	s_waitcnt lgkmcnt(2)
	v_fmac_f64_e32 v[6:7], v[20:21], v[32:33]
	v_fmac_f64_e32 v[4:5], v[22:23], v[32:33]
	s_add_i32 s5, s5, 8
	s_waitcnt lgkmcnt(1)
	v_fmac_f64_e32 v[2:3], v[20:21], v[24:25]
	v_fmac_f64_e32 v[0:1], v[22:23], v[24:25]
	ds_read2_b64 v[20:23], v18 offset0:192 offset1:208
	s_waitcnt lgkmcnt(1)
	v_fmac_f64_e32 v[2:3], v[28:29], v[26:27]
	v_fmac_f64_e32 v[0:1], v[30:31], v[26:27]
	ds_read2_b64 v[24:27], v18 offset0:224 offset1:240
	v_fmac_f64_e32 v[6:7], v[28:29], v[34:35]
	v_fmac_f64_e32 v[4:5], v[30:31], v[34:35]
	s_waitcnt lgkmcnt(1)
	v_fmac_f64_e32 v[6:7], v[20:21], v[36:37]
	v_fmac_f64_e32 v[4:5], v[22:23], v[36:37]
	;; [unrolled: 1-line block ×4, first 2 shown]
	s_waitcnt lgkmcnt(0)
	v_fmac_f64_e32 v[6:7], v[24:25], v[38:39]
	v_fmac_f64_e32 v[4:5], v[26:27], v[38:39]
	v_fmac_f64_e32 v[2:3], v[24:25], v[42:43]
	v_fmac_f64_e32 v[0:1], v[26:27], v[42:43]
	v_lshl_add_u64 v[8:9], v[8:9], 0, s[14:15]
	s_cmp_lt_i32 s5, s17
	v_lshl_add_u64 v[10:11], v[10:11], 0, s[8:9]
	s_barrier
	s_cbranch_scc0 .LBB352_10
.LBB352_6:                              ; =>This Inner Loop Header: Depth=1
	v_add_u32_e32 v20, s5, v15
	v_cmp_gt_i32_e64 s[6:7], s17, v20
	s_and_b64 s[22:23], vcc, s[6:7]
	v_mov_b64_e32 v[20:21], 0
	s_and_saveexec_b64 s[6:7], s[22:23]
	s_cbranch_execz .LBB352_8
; %bb.7:                                ;   in Loop: Header=BB352_6 Depth=1
	flat_load_dwordx2 v[20:21], v[8:9]
.LBB352_8:                              ;   in Loop: Header=BB352_6 Depth=1
	s_or_b64 exec, exec, s[6:7]
	s_waitcnt vmcnt(0) lgkmcnt(0)
	ds_write_b64 v16, v[20:21]
	v_add_u32_e32 v20, s5, v14
	v_cmp_gt_i32_e64 s[6:7], s17, v20
	s_and_b64 s[22:23], s[6:7], s[2:3]
	v_mov_b64_e32 v[20:21], 0
	s_and_saveexec_b64 s[6:7], s[22:23]
	s_cbranch_execz .LBB352_5
; %bb.9:                                ;   in Loop: Header=BB352_6 Depth=1
	flat_load_dwordx2 v[20:21], v[10:11]
	s_branch .LBB352_5
.LBB352_10:
	s_load_dwordx2 s[2:3], s[0:1], 0x58
	s_load_dword s14, s[0:1], 0x50
	v_add_u32_e32 v14, s20, v13
	v_add_u32_e32 v8, s4, v12
	v_cmp_le_i32_e32 vcc, v14, v8
	s_waitcnt lgkmcnt(0)
	s_lshl_b64 s[0:1], s[2:3], 3
	s_add_u32 s6, s18, s0
	s_addc_u32 s7, s19, s1
	v_mad_i64_i32 v[10:11], s[0:1], v14, s14, 0
	v_cmp_neq_f64_e64 s[0:1], s[10:11], 0
	v_cmp_gt_i32_e64 s[2:3], s16, v8
	v_lshl_add_u64 v[10:11], v[10:11], 3, s[6:7]
	v_cndmask_b32_e64 v12, 0, 1, s[0:1]
	s_and_b64 s[8:9], vcc, s[2:3]
	v_ashrrev_i32_e32 v9, 31, v8
	v_cmp_ne_u32_e64 s[0:1], 1, v12
	s_and_saveexec_b64 s[4:5], s[8:9]
	s_cbranch_execz .LBB352_14
; %bb.11:
	v_mul_f64 v[6:7], s[12:13], v[6:7]
	s_and_b64 vcc, exec, s[0:1]
	v_lshl_add_u64 v[12:13], v[8:9], 3, v[10:11]
	s_cbranch_vccnz .LBB352_13
; %bb.12:
	flat_load_dwordx2 v[16:17], v[12:13]
	s_waitcnt vmcnt(0) lgkmcnt(0)
	v_fmac_f64_e32 v[6:7], s[10:11], v[16:17]
.LBB352_13:
	flat_store_dwordx2 v[12:13], v[6:7]
.LBB352_14:
	s_or_b64 exec, exec, s[4:5]
	v_add_u32_e32 v6, 16, v8
	v_cmp_le_i32_e32 vcc, v14, v6
	v_cmp_gt_i32_e64 s[4:5], s16, v6
	s_and_b64 s[16:17], vcc, s[4:5]
	v_ashrrev_i32_e32 v7, 31, v6
	s_and_saveexec_b64 s[8:9], s[16:17]
	s_cbranch_execz .LBB352_18
; %bb.15:
	v_mul_f64 v[4:5], s[12:13], v[4:5]
	s_and_b64 vcc, exec, s[0:1]
	v_lshl_add_u64 v[10:11], v[6:7], 3, v[10:11]
	s_cbranch_vccnz .LBB352_17
; %bb.16:
	flat_load_dwordx2 v[12:13], v[10:11]
	s_waitcnt vmcnt(0) lgkmcnt(0)
	v_fmac_f64_e32 v[4:5], s[10:11], v[12:13]
.LBB352_17:
	flat_store_dwordx2 v[10:11], v[4:5]
.LBB352_18:
	s_or_b64 exec, exec, s[8:9]
	v_add_u32_e32 v10, 16, v14
	v_mad_i64_i32 v[4:5], s[8:9], v10, s14, 0
	v_cmp_le_i32_e32 vcc, v10, v8
	v_lshl_add_u64 v[4:5], v[4:5], 3, s[6:7]
	s_and_b64 s[6:7], vcc, s[2:3]
	s_and_saveexec_b64 s[2:3], s[6:7]
	s_cbranch_execz .LBB352_22
; %bb.19:
	v_mul_f64 v[2:3], s[12:13], v[2:3]
	s_and_b64 vcc, exec, s[0:1]
	v_lshl_add_u64 v[8:9], v[8:9], 3, v[4:5]
	s_cbranch_vccnz .LBB352_21
; %bb.20:
	flat_load_dwordx2 v[12:13], v[8:9]
	s_waitcnt vmcnt(0) lgkmcnt(0)
	v_fmac_f64_e32 v[2:3], s[10:11], v[12:13]
.LBB352_21:
	flat_store_dwordx2 v[8:9], v[2:3]
.LBB352_22:
	s_or_b64 exec, exec, s[2:3]
	v_cmp_le_i32_e32 vcc, v10, v6
	s_and_b64 s[2:3], vcc, s[4:5]
	s_and_saveexec_b64 s[4:5], s[2:3]
	s_cbranch_execz .LBB352_26
; %bb.23:
	v_mul_f64 v[0:1], s[12:13], v[0:1]
	s_and_b64 vcc, exec, s[0:1]
	v_lshl_add_u64 v[2:3], v[6:7], 3, v[4:5]
	s_cbranch_vccnz .LBB352_25
; %bb.24:
	flat_load_dwordx2 v[4:5], v[2:3]
	s_waitcnt vmcnt(0) lgkmcnt(0)
	v_fmac_f64_e32 v[0:1], s[10:11], v[4:5]
.LBB352_25:
	flat_store_dwordx2 v[2:3], v[0:1]
.LBB352_26:
	s_endpgm
	.section	.rodata,"a",@progbits
	.p2align	6, 0x0
	.amdhsa_kernel _ZL29rocblas_internal_gemmt_kernelIiLi16ELi32ELi8ELc78ELc84ELc76ELb0ELb0EddPKPKdPKPdEviT_T9_T10_S7_lS9_S7_lS8_T11_S7_li
		.amdhsa_group_segment_fixed_size 4096
		.amdhsa_private_segment_fixed_size 0
		.amdhsa_kernarg_size 100
		.amdhsa_user_sgpr_count 2
		.amdhsa_user_sgpr_dispatch_ptr 0
		.amdhsa_user_sgpr_queue_ptr 0
		.amdhsa_user_sgpr_kernarg_segment_ptr 1
		.amdhsa_user_sgpr_dispatch_id 0
		.amdhsa_user_sgpr_kernarg_preload_length 0
		.amdhsa_user_sgpr_kernarg_preload_offset 0
		.amdhsa_user_sgpr_private_segment_size 0
		.amdhsa_uses_dynamic_stack 0
		.amdhsa_enable_private_segment 0
		.amdhsa_system_sgpr_workgroup_id_x 1
		.amdhsa_system_sgpr_workgroup_id_y 1
		.amdhsa_system_sgpr_workgroup_id_z 1
		.amdhsa_system_sgpr_workgroup_info 0
		.amdhsa_system_vgpr_workitem_id 1
		.amdhsa_next_free_vgpr 52
		.amdhsa_next_free_sgpr 30
		.amdhsa_accum_offset 52
		.amdhsa_reserve_vcc 1
		.amdhsa_float_round_mode_32 0
		.amdhsa_float_round_mode_16_64 0
		.amdhsa_float_denorm_mode_32 3
		.amdhsa_float_denorm_mode_16_64 3
		.amdhsa_dx10_clamp 1
		.amdhsa_ieee_mode 1
		.amdhsa_fp16_overflow 0
		.amdhsa_tg_split 0
		.amdhsa_exception_fp_ieee_invalid_op 0
		.amdhsa_exception_fp_denorm_src 0
		.amdhsa_exception_fp_ieee_div_zero 0
		.amdhsa_exception_fp_ieee_overflow 0
		.amdhsa_exception_fp_ieee_underflow 0
		.amdhsa_exception_fp_ieee_inexact 0
		.amdhsa_exception_int_div_zero 0
	.end_amdhsa_kernel
	.section	.text._ZL29rocblas_internal_gemmt_kernelIiLi16ELi32ELi8ELc78ELc84ELc76ELb0ELb0EddPKPKdPKPdEviT_T9_T10_S7_lS9_S7_lS8_T11_S7_li,"axG",@progbits,_ZL29rocblas_internal_gemmt_kernelIiLi16ELi32ELi8ELc78ELc84ELc76ELb0ELb0EddPKPKdPKPdEviT_T9_T10_S7_lS9_S7_lS8_T11_S7_li,comdat
.Lfunc_end352:
	.size	_ZL29rocblas_internal_gemmt_kernelIiLi16ELi32ELi8ELc78ELc84ELc76ELb0ELb0EddPKPKdPKPdEviT_T9_T10_S7_lS9_S7_lS8_T11_S7_li, .Lfunc_end352-_ZL29rocblas_internal_gemmt_kernelIiLi16ELi32ELi8ELc78ELc84ELc76ELb0ELb0EddPKPKdPKPdEviT_T9_T10_S7_lS9_S7_lS8_T11_S7_li
                                        ; -- End function
	.set _ZL29rocblas_internal_gemmt_kernelIiLi16ELi32ELi8ELc78ELc84ELc76ELb0ELb0EddPKPKdPKPdEviT_T9_T10_S7_lS9_S7_lS8_T11_S7_li.num_vgpr, 52
	.set _ZL29rocblas_internal_gemmt_kernelIiLi16ELi32ELi8ELc78ELc84ELc76ELb0ELb0EddPKPKdPKPdEviT_T9_T10_S7_lS9_S7_lS8_T11_S7_li.num_agpr, 0
	.set _ZL29rocblas_internal_gemmt_kernelIiLi16ELi32ELi8ELc78ELc84ELc76ELb0ELb0EddPKPKdPKPdEviT_T9_T10_S7_lS9_S7_lS8_T11_S7_li.numbered_sgpr, 30
	.set _ZL29rocblas_internal_gemmt_kernelIiLi16ELi32ELi8ELc78ELc84ELc76ELb0ELb0EddPKPKdPKPdEviT_T9_T10_S7_lS9_S7_lS8_T11_S7_li.num_named_barrier, 0
	.set _ZL29rocblas_internal_gemmt_kernelIiLi16ELi32ELi8ELc78ELc84ELc76ELb0ELb0EddPKPKdPKPdEviT_T9_T10_S7_lS9_S7_lS8_T11_S7_li.private_seg_size, 0
	.set _ZL29rocblas_internal_gemmt_kernelIiLi16ELi32ELi8ELc78ELc84ELc76ELb0ELb0EddPKPKdPKPdEviT_T9_T10_S7_lS9_S7_lS8_T11_S7_li.uses_vcc, 1
	.set _ZL29rocblas_internal_gemmt_kernelIiLi16ELi32ELi8ELc78ELc84ELc76ELb0ELb0EddPKPKdPKPdEviT_T9_T10_S7_lS9_S7_lS8_T11_S7_li.uses_flat_scratch, 0
	.set _ZL29rocblas_internal_gemmt_kernelIiLi16ELi32ELi8ELc78ELc84ELc76ELb0ELb0EddPKPKdPKPdEviT_T9_T10_S7_lS9_S7_lS8_T11_S7_li.has_dyn_sized_stack, 0
	.set _ZL29rocblas_internal_gemmt_kernelIiLi16ELi32ELi8ELc78ELc84ELc76ELb0ELb0EddPKPKdPKPdEviT_T9_T10_S7_lS9_S7_lS8_T11_S7_li.has_recursion, 0
	.set _ZL29rocblas_internal_gemmt_kernelIiLi16ELi32ELi8ELc78ELc84ELc76ELb0ELb0EddPKPKdPKPdEviT_T9_T10_S7_lS9_S7_lS8_T11_S7_li.has_indirect_call, 0
	.section	.AMDGPU.csdata,"",@progbits
; Kernel info:
; codeLenInByte = 1300
; TotalNumSgprs: 36
; NumVgprs: 52
; NumAgprs: 0
; TotalNumVgprs: 52
; ScratchSize: 0
; MemoryBound: 0
; FloatMode: 240
; IeeeMode: 1
; LDSByteSize: 4096 bytes/workgroup (compile time only)
; SGPRBlocks: 4
; VGPRBlocks: 6
; NumSGPRsForWavesPerEU: 36
; NumVGPRsForWavesPerEU: 52
; AccumOffset: 52
; Occupancy: 8
; WaveLimiterHint : 1
; COMPUTE_PGM_RSRC2:SCRATCH_EN: 0
; COMPUTE_PGM_RSRC2:USER_SGPR: 2
; COMPUTE_PGM_RSRC2:TRAP_HANDLER: 0
; COMPUTE_PGM_RSRC2:TGID_X_EN: 1
; COMPUTE_PGM_RSRC2:TGID_Y_EN: 1
; COMPUTE_PGM_RSRC2:TGID_Z_EN: 1
; COMPUTE_PGM_RSRC2:TIDIG_COMP_CNT: 1
; COMPUTE_PGM_RSRC3_GFX90A:ACCUM_OFFSET: 12
; COMPUTE_PGM_RSRC3_GFX90A:TG_SPLIT: 0
	.section	.text._ZL29rocblas_internal_gemmt_kernelIiLi16ELi32ELi8ELc78ELc67ELc76ELb0ELb0EddPKPKdPKPdEviT_T9_T10_S7_lS9_S7_lS8_T11_S7_li,"axG",@progbits,_ZL29rocblas_internal_gemmt_kernelIiLi16ELi32ELi8ELc78ELc67ELc76ELb0ELb0EddPKPKdPKPdEviT_T9_T10_S7_lS9_S7_lS8_T11_S7_li,comdat
	.globl	_ZL29rocblas_internal_gemmt_kernelIiLi16ELi32ELi8ELc78ELc67ELc76ELb0ELb0EddPKPKdPKPdEviT_T9_T10_S7_lS9_S7_lS8_T11_S7_li ; -- Begin function _ZL29rocblas_internal_gemmt_kernelIiLi16ELi32ELi8ELc78ELc67ELc76ELb0ELb0EddPKPKdPKPdEviT_T9_T10_S7_lS9_S7_lS8_T11_S7_li
	.p2align	8
	.type	_ZL29rocblas_internal_gemmt_kernelIiLi16ELi32ELi8ELc78ELc67ELc76ELb0ELb0EddPKPKdPKPdEviT_T9_T10_S7_lS9_S7_lS8_T11_S7_li,@function
_ZL29rocblas_internal_gemmt_kernelIiLi16ELi32ELi8ELc78ELc67ELc76ELb0ELb0EddPKPKdPKPdEviT_T9_T10_S7_lS9_S7_lS8_T11_S7_li: ; @_ZL29rocblas_internal_gemmt_kernelIiLi16ELi32ELi8ELc78ELc67ELc76ELb0ELb0EddPKPKdPKPdEviT_T9_T10_S7_lS9_S7_lS8_T11_S7_li
; %bb.0:
	s_load_dwordx4 s[8:11], s[0:1], 0x38
	s_load_dwordx2 s[16:17], s[0:1], 0x0
	s_load_dwordx4 s[12:15], s[0:1], 0x8
	s_waitcnt lgkmcnt(0)
	v_cmp_neq_f64_e64 s[6:7], s[10:11], 1.0
	s_and_b64 vcc, exec, s[6:7]
	s_cbranch_vccnz .LBB353_2
; %bb.1:
	s_cmp_lg_u32 s17, 0
	s_cselect_b64 s[6:7], -1, 0
	v_cmp_neq_f64_e64 s[18:19], s[12:13], 0
	s_and_b64 s[6:7], s[6:7], s[18:19]
.LBB353_2:
	s_andn2_b64 vcc, exec, s[6:7]
	s_cbranch_vccnz .LBB353_26
; %bb.3:
	s_load_dwordx2 s[18:19], s[0:1], 0x48
	s_mov_b32 s5, 0
	s_lshl_b64 s[6:7], s[4:5], 3
	v_and_b32_e32 v12, 0x3ff, v0
	v_bfe_u32 v13, v0, 10, 10
	s_waitcnt lgkmcnt(0)
	s_add_u32 s18, s18, s6
	s_addc_u32 s19, s19, s7
	s_load_dwordx2 s[18:19], s[18:19], 0x0
	s_lshl_b32 s4, s2, 5
	s_lshl_b32 s20, s3, 5
	s_cmp_lt_i32 s17, 1
	v_cmp_eq_f64_e64 s[2:3], s[12:13], 0
	s_cselect_b64 s[22:23], -1, 0
	s_or_b64 s[2:3], s[2:3], s[22:23]
	v_mov_b64_e32 v[6:7], 0
	s_and_b64 vcc, exec, s[2:3]
	v_mov_b64_e32 v[4:5], 0
	v_mov_b64_e32 v[2:3], 0
	;; [unrolled: 1-line block ×3, first 2 shown]
	s_cbranch_vccnz .LBB353_10
; %bb.4:
	s_load_dword s22, s[0:1], 0x18
	s_load_dwordx4 s[24:27], s[0:1], 0x20
	s_load_dword s28, s[0:1], 0x30
	v_lshl_add_u32 v1, v13, 4, v12
	v_and_b32_e32 v4, 31, v1
	s_waitcnt lgkmcnt(0)
	s_ashr_i32 s23, s22, 31
	v_lshrrev_b32_e32 v15, 5, v1
	s_ashr_i32 s29, s28, 31
	s_add_u32 s2, s26, s6
	v_lshrrev_b32_e32 v2, 3, v1
	v_or_b32_e32 v1, s4, v4
	s_addc_u32 s3, s27, s7
	v_and_b32_e32 v14, 7, v12
	s_load_dwordx2 s[26:27], s[2:3], 0x0
	s_add_u32 s2, s14, s6
	v_cmp_gt_i32_e32 vcc, s16, v1
	v_lshlrev_b32_e32 v1, 3, v4
	s_addc_u32 s3, s15, s7
	v_lshl_or_b32 v16, v15, 8, v1
	v_lshlrev_b32_e32 v1, 3, v14
	v_add_u32_e32 v0, s20, v2
	s_load_dwordx2 s[6:7], s[2:3], 0x0
	v_lshl_or_b32 v1, v2, 6, v1
	v_mov_b32_e32 v2, 0x800
	v_lshl_add_u32 v19, v13, 6, v2
	v_mad_i64_i32 v[2:3], s[14:15], v15, s22, 0
	s_lshl_b64 s[14:15], s[24:25], 3
	v_add_u32_e32 v4, s4, v4
	v_lshl_add_u64 v[2:3], v[2:3], 3, s[14:15]
	v_ashrrev_i32_e32 v5, 31, v4
	v_lshl_add_u64 v[2:3], v[4:5], 3, v[2:3]
	s_waitcnt lgkmcnt(0)
	v_lshl_add_u64 v[8:9], s[6:7], 0, v[2:3]
	v_mad_i64_i32 v[2:3], s[6:7], s28, v14, 0
	s_lshl_b64 s[6:7], s[8:9], 3
	v_add_u32_e32 v17, 0x800, v1
	v_ashrrev_i32_e32 v1, 31, v0
	v_lshl_add_u64 v[2:3], v[2:3], 3, s[6:7]
	v_cmp_gt_i32_e64 s[2:3], s16, v0
	v_lshl_add_u64 v[0:1], v[0:1], 3, v[2:3]
	v_lshlrev_b32_e32 v18, 3, v12
	s_lshl_b64 s[14:15], s[22:23], 6
	v_lshl_add_u64 v[10:11], s[26:27], 0, v[0:1]
	s_lshl_b64 s[8:9], s[28:29], 6
	v_mov_b64_e32 v[0:1], 0
	v_mov_b64_e32 v[2:3], 0
	;; [unrolled: 1-line block ×4, first 2 shown]
	s_branch .LBB353_6
.LBB353_5:                              ;   in Loop: Header=BB353_6 Depth=1
	s_or_b64 exec, exec, s[6:7]
	s_waitcnt vmcnt(0) lgkmcnt(0)
	ds_write_b64 v17, v[20:21]
	s_waitcnt lgkmcnt(0)
	s_barrier
	ds_read2_b64 v[20:23], v18 offset1:16
	ds_read_b128 v[24:27], v19
	ds_read_b128 v[28:31], v19 offset:16
	ds_read_b128 v[32:35], v19 offset:32
	;; [unrolled: 1-line block ×4, first 2 shown]
	ds_read2_b64 v[44:47], v18 offset0:32 offset1:48
	s_waitcnt lgkmcnt(5)
	v_fmac_f64_e32 v[6:7], v[20:21], v[24:25]
	v_fmac_f64_e32 v[4:5], v[22:23], v[24:25]
	ds_read_b128 v[48:51], v19 offset:1040
	s_waitcnt lgkmcnt(2)
	v_fmac_f64_e32 v[2:3], v[20:21], v[40:41]
	v_fmac_f64_e32 v[0:1], v[22:23], v[40:41]
	ds_read2_b64 v[20:23], v18 offset0:64 offset1:80
	s_waitcnt lgkmcnt(2)
	v_fmac_f64_e32 v[6:7], v[44:45], v[26:27]
	v_fmac_f64_e32 v[4:5], v[46:47], v[26:27]
	ds_read2_b64 v[24:27], v18 offset0:96 offset1:112
	v_fmac_f64_e32 v[2:3], v[44:45], v[42:43]
	v_fmac_f64_e32 v[0:1], v[46:47], v[42:43]
	s_waitcnt lgkmcnt(1)
	v_fmac_f64_e32 v[6:7], v[20:21], v[28:29]
	v_fmac_f64_e32 v[4:5], v[22:23], v[28:29]
	ds_read_b128 v[40:43], v19 offset:1072
	v_fmac_f64_e32 v[2:3], v[20:21], v[48:49]
	v_fmac_f64_e32 v[0:1], v[22:23], v[48:49]
	s_waitcnt lgkmcnt(1)
	v_fmac_f64_e32 v[6:7], v[24:25], v[30:31]
	ds_read2_b64 v[20:23], v18 offset0:128 offset1:144
	v_fmac_f64_e32 v[4:5], v[26:27], v[30:31]
	v_fmac_f64_e32 v[2:3], v[24:25], v[50:51]
	;; [unrolled: 1-line block ×3, first 2 shown]
	ds_read_b128 v[24:27], v19 offset:1056
	ds_read2_b64 v[28:31], v18 offset0:160 offset1:176
	s_waitcnt lgkmcnt(2)
	v_fmac_f64_e32 v[6:7], v[20:21], v[32:33]
	v_fmac_f64_e32 v[4:5], v[22:23], v[32:33]
	s_add_i32 s5, s5, 8
	s_waitcnt lgkmcnt(1)
	v_fmac_f64_e32 v[2:3], v[20:21], v[24:25]
	v_fmac_f64_e32 v[0:1], v[22:23], v[24:25]
	ds_read2_b64 v[20:23], v18 offset0:192 offset1:208
	s_waitcnt lgkmcnt(1)
	v_fmac_f64_e32 v[2:3], v[28:29], v[26:27]
	v_fmac_f64_e32 v[0:1], v[30:31], v[26:27]
	ds_read2_b64 v[24:27], v18 offset0:224 offset1:240
	v_fmac_f64_e32 v[6:7], v[28:29], v[34:35]
	v_fmac_f64_e32 v[4:5], v[30:31], v[34:35]
	s_waitcnt lgkmcnt(1)
	v_fmac_f64_e32 v[6:7], v[20:21], v[36:37]
	v_fmac_f64_e32 v[4:5], v[22:23], v[36:37]
	;; [unrolled: 1-line block ×4, first 2 shown]
	s_waitcnt lgkmcnt(0)
	v_fmac_f64_e32 v[6:7], v[24:25], v[38:39]
	v_fmac_f64_e32 v[4:5], v[26:27], v[38:39]
	;; [unrolled: 1-line block ×4, first 2 shown]
	v_lshl_add_u64 v[8:9], v[8:9], 0, s[14:15]
	s_cmp_lt_i32 s5, s17
	v_lshl_add_u64 v[10:11], v[10:11], 0, s[8:9]
	s_barrier
	s_cbranch_scc0 .LBB353_10
.LBB353_6:                              ; =>This Inner Loop Header: Depth=1
	v_add_u32_e32 v20, s5, v15
	v_cmp_gt_i32_e64 s[6:7], s17, v20
	s_and_b64 s[22:23], vcc, s[6:7]
	v_mov_b64_e32 v[20:21], 0
	s_and_saveexec_b64 s[6:7], s[22:23]
	s_cbranch_execz .LBB353_8
; %bb.7:                                ;   in Loop: Header=BB353_6 Depth=1
	flat_load_dwordx2 v[20:21], v[8:9]
.LBB353_8:                              ;   in Loop: Header=BB353_6 Depth=1
	s_or_b64 exec, exec, s[6:7]
	s_waitcnt vmcnt(0) lgkmcnt(0)
	ds_write_b64 v16, v[20:21]
	v_add_u32_e32 v20, s5, v14
	v_cmp_gt_i32_e64 s[6:7], s17, v20
	s_and_b64 s[22:23], s[6:7], s[2:3]
	v_mov_b64_e32 v[20:21], 0
	s_and_saveexec_b64 s[6:7], s[22:23]
	s_cbranch_execz .LBB353_5
; %bb.9:                                ;   in Loop: Header=BB353_6 Depth=1
	flat_load_dwordx2 v[20:21], v[10:11]
	s_branch .LBB353_5
.LBB353_10:
	s_load_dwordx2 s[2:3], s[0:1], 0x58
	s_load_dword s14, s[0:1], 0x50
	v_add_u32_e32 v14, s20, v13
	v_add_u32_e32 v8, s4, v12
	v_cmp_le_i32_e32 vcc, v14, v8
	s_waitcnt lgkmcnt(0)
	s_lshl_b64 s[0:1], s[2:3], 3
	s_add_u32 s6, s18, s0
	s_addc_u32 s7, s19, s1
	v_mad_i64_i32 v[10:11], s[0:1], v14, s14, 0
	v_cmp_neq_f64_e64 s[0:1], s[10:11], 0
	v_cmp_gt_i32_e64 s[2:3], s16, v8
	v_lshl_add_u64 v[10:11], v[10:11], 3, s[6:7]
	v_cndmask_b32_e64 v12, 0, 1, s[0:1]
	s_and_b64 s[8:9], vcc, s[2:3]
	v_ashrrev_i32_e32 v9, 31, v8
	v_cmp_ne_u32_e64 s[0:1], 1, v12
	s_and_saveexec_b64 s[4:5], s[8:9]
	s_cbranch_execz .LBB353_14
; %bb.11:
	v_mul_f64 v[6:7], s[12:13], v[6:7]
	s_and_b64 vcc, exec, s[0:1]
	v_lshl_add_u64 v[12:13], v[8:9], 3, v[10:11]
	s_cbranch_vccnz .LBB353_13
; %bb.12:
	flat_load_dwordx2 v[16:17], v[12:13]
	s_waitcnt vmcnt(0) lgkmcnt(0)
	v_fmac_f64_e32 v[6:7], s[10:11], v[16:17]
.LBB353_13:
	flat_store_dwordx2 v[12:13], v[6:7]
.LBB353_14:
	s_or_b64 exec, exec, s[4:5]
	v_add_u32_e32 v6, 16, v8
	v_cmp_le_i32_e32 vcc, v14, v6
	v_cmp_gt_i32_e64 s[4:5], s16, v6
	s_and_b64 s[16:17], vcc, s[4:5]
	v_ashrrev_i32_e32 v7, 31, v6
	s_and_saveexec_b64 s[8:9], s[16:17]
	s_cbranch_execz .LBB353_18
; %bb.15:
	v_mul_f64 v[4:5], s[12:13], v[4:5]
	s_and_b64 vcc, exec, s[0:1]
	v_lshl_add_u64 v[10:11], v[6:7], 3, v[10:11]
	s_cbranch_vccnz .LBB353_17
; %bb.16:
	flat_load_dwordx2 v[12:13], v[10:11]
	s_waitcnt vmcnt(0) lgkmcnt(0)
	v_fmac_f64_e32 v[4:5], s[10:11], v[12:13]
.LBB353_17:
	flat_store_dwordx2 v[10:11], v[4:5]
.LBB353_18:
	s_or_b64 exec, exec, s[8:9]
	v_add_u32_e32 v10, 16, v14
	v_mad_i64_i32 v[4:5], s[8:9], v10, s14, 0
	v_cmp_le_i32_e32 vcc, v10, v8
	v_lshl_add_u64 v[4:5], v[4:5], 3, s[6:7]
	s_and_b64 s[6:7], vcc, s[2:3]
	s_and_saveexec_b64 s[2:3], s[6:7]
	s_cbranch_execz .LBB353_22
; %bb.19:
	v_mul_f64 v[2:3], s[12:13], v[2:3]
	s_and_b64 vcc, exec, s[0:1]
	v_lshl_add_u64 v[8:9], v[8:9], 3, v[4:5]
	s_cbranch_vccnz .LBB353_21
; %bb.20:
	flat_load_dwordx2 v[12:13], v[8:9]
	s_waitcnt vmcnt(0) lgkmcnt(0)
	v_fmac_f64_e32 v[2:3], s[10:11], v[12:13]
.LBB353_21:
	flat_store_dwordx2 v[8:9], v[2:3]
.LBB353_22:
	s_or_b64 exec, exec, s[2:3]
	v_cmp_le_i32_e32 vcc, v10, v6
	s_and_b64 s[2:3], vcc, s[4:5]
	s_and_saveexec_b64 s[4:5], s[2:3]
	s_cbranch_execz .LBB353_26
; %bb.23:
	v_mul_f64 v[0:1], s[12:13], v[0:1]
	s_and_b64 vcc, exec, s[0:1]
	v_lshl_add_u64 v[2:3], v[6:7], 3, v[4:5]
	s_cbranch_vccnz .LBB353_25
; %bb.24:
	flat_load_dwordx2 v[4:5], v[2:3]
	s_waitcnt vmcnt(0) lgkmcnt(0)
	v_fmac_f64_e32 v[0:1], s[10:11], v[4:5]
.LBB353_25:
	flat_store_dwordx2 v[2:3], v[0:1]
.LBB353_26:
	s_endpgm
	.section	.rodata,"a",@progbits
	.p2align	6, 0x0
	.amdhsa_kernel _ZL29rocblas_internal_gemmt_kernelIiLi16ELi32ELi8ELc78ELc67ELc76ELb0ELb0EddPKPKdPKPdEviT_T9_T10_S7_lS9_S7_lS8_T11_S7_li
		.amdhsa_group_segment_fixed_size 4096
		.amdhsa_private_segment_fixed_size 0
		.amdhsa_kernarg_size 100
		.amdhsa_user_sgpr_count 2
		.amdhsa_user_sgpr_dispatch_ptr 0
		.amdhsa_user_sgpr_queue_ptr 0
		.amdhsa_user_sgpr_kernarg_segment_ptr 1
		.amdhsa_user_sgpr_dispatch_id 0
		.amdhsa_user_sgpr_kernarg_preload_length 0
		.amdhsa_user_sgpr_kernarg_preload_offset 0
		.amdhsa_user_sgpr_private_segment_size 0
		.amdhsa_uses_dynamic_stack 0
		.amdhsa_enable_private_segment 0
		.amdhsa_system_sgpr_workgroup_id_x 1
		.amdhsa_system_sgpr_workgroup_id_y 1
		.amdhsa_system_sgpr_workgroup_id_z 1
		.amdhsa_system_sgpr_workgroup_info 0
		.amdhsa_system_vgpr_workitem_id 1
		.amdhsa_next_free_vgpr 52
		.amdhsa_next_free_sgpr 30
		.amdhsa_accum_offset 52
		.amdhsa_reserve_vcc 1
		.amdhsa_float_round_mode_32 0
		.amdhsa_float_round_mode_16_64 0
		.amdhsa_float_denorm_mode_32 3
		.amdhsa_float_denorm_mode_16_64 3
		.amdhsa_dx10_clamp 1
		.amdhsa_ieee_mode 1
		.amdhsa_fp16_overflow 0
		.amdhsa_tg_split 0
		.amdhsa_exception_fp_ieee_invalid_op 0
		.amdhsa_exception_fp_denorm_src 0
		.amdhsa_exception_fp_ieee_div_zero 0
		.amdhsa_exception_fp_ieee_overflow 0
		.amdhsa_exception_fp_ieee_underflow 0
		.amdhsa_exception_fp_ieee_inexact 0
		.amdhsa_exception_int_div_zero 0
	.end_amdhsa_kernel
	.section	.text._ZL29rocblas_internal_gemmt_kernelIiLi16ELi32ELi8ELc78ELc67ELc76ELb0ELb0EddPKPKdPKPdEviT_T9_T10_S7_lS9_S7_lS8_T11_S7_li,"axG",@progbits,_ZL29rocblas_internal_gemmt_kernelIiLi16ELi32ELi8ELc78ELc67ELc76ELb0ELb0EddPKPKdPKPdEviT_T9_T10_S7_lS9_S7_lS8_T11_S7_li,comdat
.Lfunc_end353:
	.size	_ZL29rocblas_internal_gemmt_kernelIiLi16ELi32ELi8ELc78ELc67ELc76ELb0ELb0EddPKPKdPKPdEviT_T9_T10_S7_lS9_S7_lS8_T11_S7_li, .Lfunc_end353-_ZL29rocblas_internal_gemmt_kernelIiLi16ELi32ELi8ELc78ELc67ELc76ELb0ELb0EddPKPKdPKPdEviT_T9_T10_S7_lS9_S7_lS8_T11_S7_li
                                        ; -- End function
	.set _ZL29rocblas_internal_gemmt_kernelIiLi16ELi32ELi8ELc78ELc67ELc76ELb0ELb0EddPKPKdPKPdEviT_T9_T10_S7_lS9_S7_lS8_T11_S7_li.num_vgpr, 52
	.set _ZL29rocblas_internal_gemmt_kernelIiLi16ELi32ELi8ELc78ELc67ELc76ELb0ELb0EddPKPKdPKPdEviT_T9_T10_S7_lS9_S7_lS8_T11_S7_li.num_agpr, 0
	.set _ZL29rocblas_internal_gemmt_kernelIiLi16ELi32ELi8ELc78ELc67ELc76ELb0ELb0EddPKPKdPKPdEviT_T9_T10_S7_lS9_S7_lS8_T11_S7_li.numbered_sgpr, 30
	.set _ZL29rocblas_internal_gemmt_kernelIiLi16ELi32ELi8ELc78ELc67ELc76ELb0ELb0EddPKPKdPKPdEviT_T9_T10_S7_lS9_S7_lS8_T11_S7_li.num_named_barrier, 0
	.set _ZL29rocblas_internal_gemmt_kernelIiLi16ELi32ELi8ELc78ELc67ELc76ELb0ELb0EddPKPKdPKPdEviT_T9_T10_S7_lS9_S7_lS8_T11_S7_li.private_seg_size, 0
	.set _ZL29rocblas_internal_gemmt_kernelIiLi16ELi32ELi8ELc78ELc67ELc76ELb0ELb0EddPKPKdPKPdEviT_T9_T10_S7_lS9_S7_lS8_T11_S7_li.uses_vcc, 1
	.set _ZL29rocblas_internal_gemmt_kernelIiLi16ELi32ELi8ELc78ELc67ELc76ELb0ELb0EddPKPKdPKPdEviT_T9_T10_S7_lS9_S7_lS8_T11_S7_li.uses_flat_scratch, 0
	.set _ZL29rocblas_internal_gemmt_kernelIiLi16ELi32ELi8ELc78ELc67ELc76ELb0ELb0EddPKPKdPKPdEviT_T9_T10_S7_lS9_S7_lS8_T11_S7_li.has_dyn_sized_stack, 0
	.set _ZL29rocblas_internal_gemmt_kernelIiLi16ELi32ELi8ELc78ELc67ELc76ELb0ELb0EddPKPKdPKPdEviT_T9_T10_S7_lS9_S7_lS8_T11_S7_li.has_recursion, 0
	.set _ZL29rocblas_internal_gemmt_kernelIiLi16ELi32ELi8ELc78ELc67ELc76ELb0ELb0EddPKPKdPKPdEviT_T9_T10_S7_lS9_S7_lS8_T11_S7_li.has_indirect_call, 0
	.section	.AMDGPU.csdata,"",@progbits
; Kernel info:
; codeLenInByte = 1300
; TotalNumSgprs: 36
; NumVgprs: 52
; NumAgprs: 0
; TotalNumVgprs: 52
; ScratchSize: 0
; MemoryBound: 0
; FloatMode: 240
; IeeeMode: 1
; LDSByteSize: 4096 bytes/workgroup (compile time only)
; SGPRBlocks: 4
; VGPRBlocks: 6
; NumSGPRsForWavesPerEU: 36
; NumVGPRsForWavesPerEU: 52
; AccumOffset: 52
; Occupancy: 8
; WaveLimiterHint : 1
; COMPUTE_PGM_RSRC2:SCRATCH_EN: 0
; COMPUTE_PGM_RSRC2:USER_SGPR: 2
; COMPUTE_PGM_RSRC2:TRAP_HANDLER: 0
; COMPUTE_PGM_RSRC2:TGID_X_EN: 1
; COMPUTE_PGM_RSRC2:TGID_Y_EN: 1
; COMPUTE_PGM_RSRC2:TGID_Z_EN: 1
; COMPUTE_PGM_RSRC2:TIDIG_COMP_CNT: 1
; COMPUTE_PGM_RSRC3_GFX90A:ACCUM_OFFSET: 12
; COMPUTE_PGM_RSRC3_GFX90A:TG_SPLIT: 0
	.section	.text._ZL29rocblas_internal_gemmt_kernelIiLi16ELi32ELi8ELc84ELc78ELc76ELb0ELb0EddPKPKdPKPdEviT_T9_T10_S7_lS9_S7_lS8_T11_S7_li,"axG",@progbits,_ZL29rocblas_internal_gemmt_kernelIiLi16ELi32ELi8ELc84ELc78ELc76ELb0ELb0EddPKPKdPKPdEviT_T9_T10_S7_lS9_S7_lS8_T11_S7_li,comdat
	.globl	_ZL29rocblas_internal_gemmt_kernelIiLi16ELi32ELi8ELc84ELc78ELc76ELb0ELb0EddPKPKdPKPdEviT_T9_T10_S7_lS9_S7_lS8_T11_S7_li ; -- Begin function _ZL29rocblas_internal_gemmt_kernelIiLi16ELi32ELi8ELc84ELc78ELc76ELb0ELb0EddPKPKdPKPdEviT_T9_T10_S7_lS9_S7_lS8_T11_S7_li
	.p2align	8
	.type	_ZL29rocblas_internal_gemmt_kernelIiLi16ELi32ELi8ELc84ELc78ELc76ELb0ELb0EddPKPKdPKPdEviT_T9_T10_S7_lS9_S7_lS8_T11_S7_li,@function
_ZL29rocblas_internal_gemmt_kernelIiLi16ELi32ELi8ELc84ELc78ELc76ELb0ELb0EddPKPKdPKPdEviT_T9_T10_S7_lS9_S7_lS8_T11_S7_li: ; @_ZL29rocblas_internal_gemmt_kernelIiLi16ELi32ELi8ELc84ELc78ELc76ELb0ELb0EddPKPKdPKPdEviT_T9_T10_S7_lS9_S7_lS8_T11_S7_li
; %bb.0:
	s_load_dwordx4 s[8:11], s[0:1], 0x38
	s_load_dwordx2 s[16:17], s[0:1], 0x0
	s_load_dwordx4 s[12:15], s[0:1], 0x8
	s_waitcnt lgkmcnt(0)
	v_cmp_neq_f64_e64 s[6:7], s[10:11], 1.0
	s_and_b64 vcc, exec, s[6:7]
	s_cbranch_vccnz .LBB354_2
; %bb.1:
	s_cmp_lg_u32 s17, 0
	s_cselect_b64 s[6:7], -1, 0
	v_cmp_neq_f64_e64 s[18:19], s[12:13], 0
	s_and_b64 s[6:7], s[6:7], s[18:19]
.LBB354_2:
	s_andn2_b64 vcc, exec, s[6:7]
	s_cbranch_vccnz .LBB354_26
; %bb.3:
	s_load_dwordx2 s[18:19], s[0:1], 0x48
	s_mov_b32 s5, 0
	s_lshl_b64 s[6:7], s[4:5], 3
	v_and_b32_e32 v12, 0x3ff, v0
	v_bfe_u32 v13, v0, 10, 10
	s_waitcnt lgkmcnt(0)
	s_add_u32 s18, s18, s6
	s_addc_u32 s19, s19, s7
	s_load_dwordx2 s[18:19], s[18:19], 0x0
	s_lshl_b32 s4, s2, 5
	s_lshl_b32 s20, s3, 5
	s_cmp_lt_i32 s17, 1
	v_cmp_eq_f64_e64 s[2:3], s[12:13], 0
	s_cselect_b64 s[22:23], -1, 0
	s_or_b64 s[2:3], s[2:3], s[22:23]
	v_mov_b64_e32 v[6:7], 0
	s_and_b64 vcc, exec, s[2:3]
	v_mov_b64_e32 v[4:5], 0
	v_mov_b64_e32 v[2:3], 0
	v_mov_b64_e32 v[0:1], 0
	s_cbranch_vccnz .LBB354_10
; %bb.4:
	s_load_dword s21, s[0:1], 0x18
	s_load_dwordx4 s[24:27], s[0:1], 0x20
	s_load_dword s28, s[0:1], 0x30
	v_lshl_add_u32 v0, v13, 4, v12
	v_and_b32_e32 v2, 31, v0
	v_lshrrev_b32_e32 v15, 5, v0
	v_lshrrev_b32_e32 v1, 3, v0
	v_or_b32_e32 v0, s4, v2
	v_and_b32_e32 v14, 7, v12
	s_waitcnt lgkmcnt(0)
	s_add_u32 s2, s26, s6
	v_cmp_gt_i32_e32 vcc, s16, v0
	v_lshlrev_b32_e32 v0, 3, v2
	s_addc_u32 s3, s27, s7
	v_lshl_or_b32 v16, v15, 8, v0
	v_lshlrev_b32_e32 v0, 3, v14
	v_add_u32_e32 v6, s20, v1
	s_load_dwordx2 s[22:23], s[2:3], 0x0
	s_add_u32 s2, s14, s6
	v_lshl_or_b32 v1, v1, 6, v0
	s_addc_u32 s3, s15, s7
	v_add_u32_e32 v17, 0x800, v1
	v_mov_b32_e32 v1, 0x800
	s_load_dwordx2 s[6:7], s[2:3], 0x0
	v_lshl_add_u32 v19, v13, 6, v1
	v_add_u32_e32 v1, s4, v2
	v_mad_i64_i32 v[2:3], s[14:15], s21, v1, 0
	s_lshl_b64 s[14:15], s[24:25], 3
	s_nop 0
	v_lshl_add_u64 v[2:3], v[2:3], 3, s[14:15]
	v_lshlrev_b32_e32 v4, 3, v15
	v_mov_b32_e32 v5, 0
	v_lshl_add_u64 v[2:3], v[2:3], 0, v[4:5]
	s_waitcnt lgkmcnt(0)
	v_lshl_add_u64 v[8:9], s[6:7], 0, v[2:3]
	v_mad_i64_i32 v[2:3], s[6:7], s28, v6, 0
	s_lshl_b64 s[6:7], s[8:9], 3
	s_nop 0
	v_lshl_add_u64 v[2:3], v[2:3], 3, s[6:7]
	v_mov_b32_e32 v1, v5
	v_lshl_add_u64 v[0:1], v[2:3], 0, v[0:1]
	v_cmp_gt_i32_e64 s[2:3], s16, v6
	v_lshlrev_b32_e32 v18, 3, v12
	v_lshl_add_u64 v[10:11], s[22:23], 0, v[0:1]
	v_mov_b64_e32 v[0:1], 0
	v_mov_b64_e32 v[2:3], 0
	;; [unrolled: 1-line block ×4, first 2 shown]
	s_branch .LBB354_6
.LBB354_5:                              ;   in Loop: Header=BB354_6 Depth=1
	s_or_b64 exec, exec, s[6:7]
	s_waitcnt vmcnt(0) lgkmcnt(0)
	ds_write_b64 v17, v[20:21]
	s_waitcnt lgkmcnt(0)
	s_barrier
	ds_read2_b64 v[20:23], v18 offset1:16
	ds_read_b128 v[24:27], v19
	ds_read_b128 v[28:31], v19 offset:16
	ds_read_b128 v[32:35], v19 offset:32
	;; [unrolled: 1-line block ×4, first 2 shown]
	ds_read2_b64 v[44:47], v18 offset0:32 offset1:48
	s_waitcnt lgkmcnt(5)
	v_fmac_f64_e32 v[6:7], v[20:21], v[24:25]
	v_fmac_f64_e32 v[4:5], v[22:23], v[24:25]
	ds_read_b128 v[48:51], v19 offset:1040
	s_waitcnt lgkmcnt(2)
	v_fmac_f64_e32 v[2:3], v[20:21], v[40:41]
	v_fmac_f64_e32 v[0:1], v[22:23], v[40:41]
	ds_read2_b64 v[20:23], v18 offset0:64 offset1:80
	s_waitcnt lgkmcnt(2)
	v_fmac_f64_e32 v[6:7], v[44:45], v[26:27]
	v_fmac_f64_e32 v[4:5], v[46:47], v[26:27]
	ds_read2_b64 v[24:27], v18 offset0:96 offset1:112
	v_fmac_f64_e32 v[2:3], v[44:45], v[42:43]
	v_fmac_f64_e32 v[0:1], v[46:47], v[42:43]
	s_waitcnt lgkmcnt(1)
	v_fmac_f64_e32 v[6:7], v[20:21], v[28:29]
	v_fmac_f64_e32 v[4:5], v[22:23], v[28:29]
	ds_read_b128 v[40:43], v19 offset:1072
	v_fmac_f64_e32 v[2:3], v[20:21], v[48:49]
	v_fmac_f64_e32 v[0:1], v[22:23], v[48:49]
	s_waitcnt lgkmcnt(1)
	v_fmac_f64_e32 v[6:7], v[24:25], v[30:31]
	ds_read2_b64 v[20:23], v18 offset0:128 offset1:144
	v_fmac_f64_e32 v[4:5], v[26:27], v[30:31]
	v_fmac_f64_e32 v[2:3], v[24:25], v[50:51]
	;; [unrolled: 1-line block ×3, first 2 shown]
	ds_read_b128 v[24:27], v19 offset:1056
	ds_read2_b64 v[28:31], v18 offset0:160 offset1:176
	s_waitcnt lgkmcnt(2)
	v_fmac_f64_e32 v[6:7], v[20:21], v[32:33]
	v_fmac_f64_e32 v[4:5], v[22:23], v[32:33]
	s_add_i32 s5, s5, 8
	s_waitcnt lgkmcnt(1)
	v_fmac_f64_e32 v[2:3], v[20:21], v[24:25]
	v_fmac_f64_e32 v[0:1], v[22:23], v[24:25]
	ds_read2_b64 v[20:23], v18 offset0:192 offset1:208
	s_waitcnt lgkmcnt(1)
	v_fmac_f64_e32 v[2:3], v[28:29], v[26:27]
	v_fmac_f64_e32 v[0:1], v[30:31], v[26:27]
	ds_read2_b64 v[24:27], v18 offset0:224 offset1:240
	v_fmac_f64_e32 v[6:7], v[28:29], v[34:35]
	v_fmac_f64_e32 v[4:5], v[30:31], v[34:35]
	s_waitcnt lgkmcnt(1)
	v_fmac_f64_e32 v[6:7], v[20:21], v[36:37]
	v_fmac_f64_e32 v[4:5], v[22:23], v[36:37]
	;; [unrolled: 1-line block ×4, first 2 shown]
	s_waitcnt lgkmcnt(0)
	v_fmac_f64_e32 v[6:7], v[24:25], v[38:39]
	v_fmac_f64_e32 v[4:5], v[26:27], v[38:39]
	;; [unrolled: 1-line block ×4, first 2 shown]
	v_lshl_add_u64 v[8:9], v[8:9], 0, 64
	s_cmp_lt_i32 s5, s17
	v_lshl_add_u64 v[10:11], v[10:11], 0, 64
	s_barrier
	s_cbranch_scc0 .LBB354_10
.LBB354_6:                              ; =>This Inner Loop Header: Depth=1
	v_add_u32_e32 v20, s5, v15
	v_cmp_gt_i32_e64 s[6:7], s17, v20
	s_and_b64 s[8:9], vcc, s[6:7]
	v_mov_b64_e32 v[20:21], 0
	s_and_saveexec_b64 s[6:7], s[8:9]
	s_cbranch_execz .LBB354_8
; %bb.7:                                ;   in Loop: Header=BB354_6 Depth=1
	flat_load_dwordx2 v[20:21], v[8:9]
.LBB354_8:                              ;   in Loop: Header=BB354_6 Depth=1
	s_or_b64 exec, exec, s[6:7]
	s_waitcnt vmcnt(0) lgkmcnt(0)
	ds_write_b64 v16, v[20:21]
	v_add_u32_e32 v20, s5, v14
	v_cmp_gt_i32_e64 s[6:7], s17, v20
	s_and_b64 s[8:9], s[6:7], s[2:3]
	v_mov_b64_e32 v[20:21], 0
	s_and_saveexec_b64 s[6:7], s[8:9]
	s_cbranch_execz .LBB354_5
; %bb.9:                                ;   in Loop: Header=BB354_6 Depth=1
	flat_load_dwordx2 v[20:21], v[10:11]
	s_branch .LBB354_5
.LBB354_10:
	s_load_dwordx2 s[2:3], s[0:1], 0x58
	s_load_dword s14, s[0:1], 0x50
	v_add_u32_e32 v14, s20, v13
	v_add_u32_e32 v8, s4, v12
	v_cmp_le_i32_e32 vcc, v14, v8
	s_waitcnt lgkmcnt(0)
	s_lshl_b64 s[0:1], s[2:3], 3
	s_add_u32 s6, s18, s0
	s_addc_u32 s7, s19, s1
	v_mad_i64_i32 v[10:11], s[0:1], v14, s14, 0
	v_cmp_neq_f64_e64 s[0:1], s[10:11], 0
	v_cmp_gt_i32_e64 s[2:3], s16, v8
	v_lshl_add_u64 v[10:11], v[10:11], 3, s[6:7]
	v_cndmask_b32_e64 v12, 0, 1, s[0:1]
	s_and_b64 s[8:9], vcc, s[2:3]
	v_ashrrev_i32_e32 v9, 31, v8
	v_cmp_ne_u32_e64 s[0:1], 1, v12
	s_and_saveexec_b64 s[4:5], s[8:9]
	s_cbranch_execz .LBB354_14
; %bb.11:
	v_mul_f64 v[6:7], s[12:13], v[6:7]
	s_and_b64 vcc, exec, s[0:1]
	v_lshl_add_u64 v[12:13], v[8:9], 3, v[10:11]
	s_cbranch_vccnz .LBB354_13
; %bb.12:
	flat_load_dwordx2 v[16:17], v[12:13]
	s_waitcnt vmcnt(0) lgkmcnt(0)
	v_fmac_f64_e32 v[6:7], s[10:11], v[16:17]
.LBB354_13:
	flat_store_dwordx2 v[12:13], v[6:7]
.LBB354_14:
	s_or_b64 exec, exec, s[4:5]
	v_add_u32_e32 v6, 16, v8
	v_cmp_le_i32_e32 vcc, v14, v6
	v_cmp_gt_i32_e64 s[4:5], s16, v6
	s_and_b64 s[16:17], vcc, s[4:5]
	v_ashrrev_i32_e32 v7, 31, v6
	s_and_saveexec_b64 s[8:9], s[16:17]
	s_cbranch_execz .LBB354_18
; %bb.15:
	v_mul_f64 v[4:5], s[12:13], v[4:5]
	s_and_b64 vcc, exec, s[0:1]
	v_lshl_add_u64 v[10:11], v[6:7], 3, v[10:11]
	s_cbranch_vccnz .LBB354_17
; %bb.16:
	flat_load_dwordx2 v[12:13], v[10:11]
	s_waitcnt vmcnt(0) lgkmcnt(0)
	v_fmac_f64_e32 v[4:5], s[10:11], v[12:13]
.LBB354_17:
	flat_store_dwordx2 v[10:11], v[4:5]
.LBB354_18:
	s_or_b64 exec, exec, s[8:9]
	v_add_u32_e32 v10, 16, v14
	v_mad_i64_i32 v[4:5], s[8:9], v10, s14, 0
	v_cmp_le_i32_e32 vcc, v10, v8
	v_lshl_add_u64 v[4:5], v[4:5], 3, s[6:7]
	s_and_b64 s[6:7], vcc, s[2:3]
	s_and_saveexec_b64 s[2:3], s[6:7]
	s_cbranch_execz .LBB354_22
; %bb.19:
	v_mul_f64 v[2:3], s[12:13], v[2:3]
	s_and_b64 vcc, exec, s[0:1]
	v_lshl_add_u64 v[8:9], v[8:9], 3, v[4:5]
	s_cbranch_vccnz .LBB354_21
; %bb.20:
	flat_load_dwordx2 v[12:13], v[8:9]
	s_waitcnt vmcnt(0) lgkmcnt(0)
	v_fmac_f64_e32 v[2:3], s[10:11], v[12:13]
.LBB354_21:
	flat_store_dwordx2 v[8:9], v[2:3]
.LBB354_22:
	s_or_b64 exec, exec, s[2:3]
	v_cmp_le_i32_e32 vcc, v10, v6
	s_and_b64 s[2:3], vcc, s[4:5]
	s_and_saveexec_b64 s[4:5], s[2:3]
	s_cbranch_execz .LBB354_26
; %bb.23:
	v_mul_f64 v[0:1], s[12:13], v[0:1]
	s_and_b64 vcc, exec, s[0:1]
	v_lshl_add_u64 v[2:3], v[6:7], 3, v[4:5]
	s_cbranch_vccnz .LBB354_25
; %bb.24:
	flat_load_dwordx2 v[4:5], v[2:3]
	s_waitcnt vmcnt(0) lgkmcnt(0)
	v_fmac_f64_e32 v[0:1], s[10:11], v[4:5]
.LBB354_25:
	flat_store_dwordx2 v[2:3], v[0:1]
.LBB354_26:
	s_endpgm
	.section	.rodata,"a",@progbits
	.p2align	6, 0x0
	.amdhsa_kernel _ZL29rocblas_internal_gemmt_kernelIiLi16ELi32ELi8ELc84ELc78ELc76ELb0ELb0EddPKPKdPKPdEviT_T9_T10_S7_lS9_S7_lS8_T11_S7_li
		.amdhsa_group_segment_fixed_size 4096
		.amdhsa_private_segment_fixed_size 0
		.amdhsa_kernarg_size 100
		.amdhsa_user_sgpr_count 2
		.amdhsa_user_sgpr_dispatch_ptr 0
		.amdhsa_user_sgpr_queue_ptr 0
		.amdhsa_user_sgpr_kernarg_segment_ptr 1
		.amdhsa_user_sgpr_dispatch_id 0
		.amdhsa_user_sgpr_kernarg_preload_length 0
		.amdhsa_user_sgpr_kernarg_preload_offset 0
		.amdhsa_user_sgpr_private_segment_size 0
		.amdhsa_uses_dynamic_stack 0
		.amdhsa_enable_private_segment 0
		.amdhsa_system_sgpr_workgroup_id_x 1
		.amdhsa_system_sgpr_workgroup_id_y 1
		.amdhsa_system_sgpr_workgroup_id_z 1
		.amdhsa_system_sgpr_workgroup_info 0
		.amdhsa_system_vgpr_workitem_id 1
		.amdhsa_next_free_vgpr 52
		.amdhsa_next_free_sgpr 29
		.amdhsa_accum_offset 52
		.amdhsa_reserve_vcc 1
		.amdhsa_float_round_mode_32 0
		.amdhsa_float_round_mode_16_64 0
		.amdhsa_float_denorm_mode_32 3
		.amdhsa_float_denorm_mode_16_64 3
		.amdhsa_dx10_clamp 1
		.amdhsa_ieee_mode 1
		.amdhsa_fp16_overflow 0
		.amdhsa_tg_split 0
		.amdhsa_exception_fp_ieee_invalid_op 0
		.amdhsa_exception_fp_denorm_src 0
		.amdhsa_exception_fp_ieee_div_zero 0
		.amdhsa_exception_fp_ieee_overflow 0
		.amdhsa_exception_fp_ieee_underflow 0
		.amdhsa_exception_fp_ieee_inexact 0
		.amdhsa_exception_int_div_zero 0
	.end_amdhsa_kernel
	.section	.text._ZL29rocblas_internal_gemmt_kernelIiLi16ELi32ELi8ELc84ELc78ELc76ELb0ELb0EddPKPKdPKPdEviT_T9_T10_S7_lS9_S7_lS8_T11_S7_li,"axG",@progbits,_ZL29rocblas_internal_gemmt_kernelIiLi16ELi32ELi8ELc84ELc78ELc76ELb0ELb0EddPKPKdPKPdEviT_T9_T10_S7_lS9_S7_lS8_T11_S7_li,comdat
.Lfunc_end354:
	.size	_ZL29rocblas_internal_gemmt_kernelIiLi16ELi32ELi8ELc84ELc78ELc76ELb0ELb0EddPKPKdPKPdEviT_T9_T10_S7_lS9_S7_lS8_T11_S7_li, .Lfunc_end354-_ZL29rocblas_internal_gemmt_kernelIiLi16ELi32ELi8ELc84ELc78ELc76ELb0ELb0EddPKPKdPKPdEviT_T9_T10_S7_lS9_S7_lS8_T11_S7_li
                                        ; -- End function
	.set _ZL29rocblas_internal_gemmt_kernelIiLi16ELi32ELi8ELc84ELc78ELc76ELb0ELb0EddPKPKdPKPdEviT_T9_T10_S7_lS9_S7_lS8_T11_S7_li.num_vgpr, 52
	.set _ZL29rocblas_internal_gemmt_kernelIiLi16ELi32ELi8ELc84ELc78ELc76ELb0ELb0EddPKPKdPKPdEviT_T9_T10_S7_lS9_S7_lS8_T11_S7_li.num_agpr, 0
	.set _ZL29rocblas_internal_gemmt_kernelIiLi16ELi32ELi8ELc84ELc78ELc76ELb0ELb0EddPKPKdPKPdEviT_T9_T10_S7_lS9_S7_lS8_T11_S7_li.numbered_sgpr, 29
	.set _ZL29rocblas_internal_gemmt_kernelIiLi16ELi32ELi8ELc84ELc78ELc76ELb0ELb0EddPKPKdPKPdEviT_T9_T10_S7_lS9_S7_lS8_T11_S7_li.num_named_barrier, 0
	.set _ZL29rocblas_internal_gemmt_kernelIiLi16ELi32ELi8ELc84ELc78ELc76ELb0ELb0EddPKPKdPKPdEviT_T9_T10_S7_lS9_S7_lS8_T11_S7_li.private_seg_size, 0
	.set _ZL29rocblas_internal_gemmt_kernelIiLi16ELi32ELi8ELc84ELc78ELc76ELb0ELb0EddPKPKdPKPdEviT_T9_T10_S7_lS9_S7_lS8_T11_S7_li.uses_vcc, 1
	.set _ZL29rocblas_internal_gemmt_kernelIiLi16ELi32ELi8ELc84ELc78ELc76ELb0ELb0EddPKPKdPKPdEviT_T9_T10_S7_lS9_S7_lS8_T11_S7_li.uses_flat_scratch, 0
	.set _ZL29rocblas_internal_gemmt_kernelIiLi16ELi32ELi8ELc84ELc78ELc76ELb0ELb0EddPKPKdPKPdEviT_T9_T10_S7_lS9_S7_lS8_T11_S7_li.has_dyn_sized_stack, 0
	.set _ZL29rocblas_internal_gemmt_kernelIiLi16ELi32ELi8ELc84ELc78ELc76ELb0ELb0EddPKPKdPKPdEviT_T9_T10_S7_lS9_S7_lS8_T11_S7_li.has_recursion, 0
	.set _ZL29rocblas_internal_gemmt_kernelIiLi16ELi32ELi8ELc84ELc78ELc76ELb0ELb0EddPKPKdPKPdEviT_T9_T10_S7_lS9_S7_lS8_T11_S7_li.has_indirect_call, 0
	.section	.AMDGPU.csdata,"",@progbits
; Kernel info:
; codeLenInByte = 1296
; TotalNumSgprs: 35
; NumVgprs: 52
; NumAgprs: 0
; TotalNumVgprs: 52
; ScratchSize: 0
; MemoryBound: 0
; FloatMode: 240
; IeeeMode: 1
; LDSByteSize: 4096 bytes/workgroup (compile time only)
; SGPRBlocks: 4
; VGPRBlocks: 6
; NumSGPRsForWavesPerEU: 35
; NumVGPRsForWavesPerEU: 52
; AccumOffset: 52
; Occupancy: 8
; WaveLimiterHint : 1
; COMPUTE_PGM_RSRC2:SCRATCH_EN: 0
; COMPUTE_PGM_RSRC2:USER_SGPR: 2
; COMPUTE_PGM_RSRC2:TRAP_HANDLER: 0
; COMPUTE_PGM_RSRC2:TGID_X_EN: 1
; COMPUTE_PGM_RSRC2:TGID_Y_EN: 1
; COMPUTE_PGM_RSRC2:TGID_Z_EN: 1
; COMPUTE_PGM_RSRC2:TIDIG_COMP_CNT: 1
; COMPUTE_PGM_RSRC3_GFX90A:ACCUM_OFFSET: 12
; COMPUTE_PGM_RSRC3_GFX90A:TG_SPLIT: 0
	.section	.text._ZL29rocblas_internal_gemmt_kernelIiLi16ELi32ELi8ELc84ELc84ELc76ELb0ELb0EddPKPKdPKPdEviT_T9_T10_S7_lS9_S7_lS8_T11_S7_li,"axG",@progbits,_ZL29rocblas_internal_gemmt_kernelIiLi16ELi32ELi8ELc84ELc84ELc76ELb0ELb0EddPKPKdPKPdEviT_T9_T10_S7_lS9_S7_lS8_T11_S7_li,comdat
	.globl	_ZL29rocblas_internal_gemmt_kernelIiLi16ELi32ELi8ELc84ELc84ELc76ELb0ELb0EddPKPKdPKPdEviT_T9_T10_S7_lS9_S7_lS8_T11_S7_li ; -- Begin function _ZL29rocblas_internal_gemmt_kernelIiLi16ELi32ELi8ELc84ELc84ELc76ELb0ELb0EddPKPKdPKPdEviT_T9_T10_S7_lS9_S7_lS8_T11_S7_li
	.p2align	8
	.type	_ZL29rocblas_internal_gemmt_kernelIiLi16ELi32ELi8ELc84ELc84ELc76ELb0ELb0EddPKPKdPKPdEviT_T9_T10_S7_lS9_S7_lS8_T11_S7_li,@function
_ZL29rocblas_internal_gemmt_kernelIiLi16ELi32ELi8ELc84ELc84ELc76ELb0ELb0EddPKPKdPKPdEviT_T9_T10_S7_lS9_S7_lS8_T11_S7_li: ; @_ZL29rocblas_internal_gemmt_kernelIiLi16ELi32ELi8ELc84ELc84ELc76ELb0ELb0EddPKPKdPKPdEviT_T9_T10_S7_lS9_S7_lS8_T11_S7_li
; %bb.0:
	s_load_dwordx4 s[8:11], s[0:1], 0x38
	s_load_dwordx2 s[16:17], s[0:1], 0x0
	s_load_dwordx4 s[12:15], s[0:1], 0x8
	s_waitcnt lgkmcnt(0)
	v_cmp_neq_f64_e64 s[6:7], s[10:11], 1.0
	s_and_b64 vcc, exec, s[6:7]
	s_cbranch_vccnz .LBB355_2
; %bb.1:
	s_cmp_lg_u32 s17, 0
	s_cselect_b64 s[6:7], -1, 0
	v_cmp_neq_f64_e64 s[18:19], s[12:13], 0
	s_and_b64 s[6:7], s[6:7], s[18:19]
.LBB355_2:
	s_andn2_b64 vcc, exec, s[6:7]
	s_cbranch_vccnz .LBB355_26
; %bb.3:
	s_load_dwordx2 s[18:19], s[0:1], 0x48
	s_mov_b32 s5, 0
	s_lshl_b64 s[6:7], s[4:5], 3
	v_and_b32_e32 v12, 0x3ff, v0
	v_bfe_u32 v13, v0, 10, 10
	s_waitcnt lgkmcnt(0)
	s_add_u32 s18, s18, s6
	s_addc_u32 s19, s19, s7
	s_load_dwordx2 s[18:19], s[18:19], 0x0
	s_lshl_b32 s4, s2, 5
	s_lshl_b32 s20, s3, 5
	s_cmp_lt_i32 s17, 1
	v_cmp_eq_f64_e64 s[2:3], s[12:13], 0
	s_cselect_b64 s[22:23], -1, 0
	s_or_b64 s[2:3], s[2:3], s[22:23]
	v_mov_b64_e32 v[6:7], 0
	s_and_b64 vcc, exec, s[2:3]
	v_mov_b64_e32 v[4:5], 0
	v_mov_b64_e32 v[2:3], 0
	;; [unrolled: 1-line block ×3, first 2 shown]
	s_cbranch_vccnz .LBB355_10
; %bb.4:
	s_load_dword s21, s[0:1], 0x18
	s_load_dword s22, s[0:1], 0x30
	s_load_dwordx4 s[24:27], s[0:1], 0x20
	v_lshl_add_u32 v1, v13, 4, v12
	v_and_b32_e32 v3, 31, v1
	v_lshrrev_b32_e32 v15, 5, v1
	s_waitcnt lgkmcnt(0)
	s_ashr_i32 s23, s22, 31
	v_lshrrev_b32_e32 v2, 3, v1
	v_or_b32_e32 v1, s4, v3
	s_add_u32 s2, s26, s6
	v_and_b32_e32 v14, 7, v12
	s_addc_u32 s3, s27, s7
	v_cmp_gt_i32_e32 vcc, s16, v1
	v_lshlrev_b32_e32 v1, 3, v3
	s_load_dwordx2 s[26:27], s[2:3], 0x0
	s_add_u32 s2, s14, s6
	v_lshl_or_b32 v16, v15, 8, v1
	v_lshlrev_b32_e32 v1, 3, v14
	v_add_u32_e32 v0, s20, v2
	s_addc_u32 s3, s15, s7
	v_lshl_or_b32 v1, v2, 6, v1
	v_mov_b32_e32 v2, 0x800
	s_load_dwordx2 s[6:7], s[2:3], 0x0
	v_lshl_add_u32 v19, v13, 6, v2
	v_add_u32_e32 v2, s4, v3
	v_mad_i64_i32 v[2:3], s[14:15], s21, v2, 0
	s_lshl_b64 s[14:15], s[24:25], 3
	s_nop 0
	v_lshl_add_u64 v[2:3], v[2:3], 3, s[14:15]
	v_lshlrev_b32_e32 v4, 3, v15
	v_mov_b32_e32 v5, 0
	v_lshl_add_u64 v[2:3], v[2:3], 0, v[4:5]
	s_waitcnt lgkmcnt(0)
	v_lshl_add_u64 v[8:9], s[6:7], 0, v[2:3]
	v_mad_i64_i32 v[2:3], s[6:7], s22, v14, 0
	s_lshl_b64 s[6:7], s[8:9], 3
	v_add_u32_e32 v17, 0x800, v1
	v_ashrrev_i32_e32 v1, 31, v0
	v_lshl_add_u64 v[2:3], v[2:3], 3, s[6:7]
	v_cmp_gt_i32_e64 s[2:3], s16, v0
	v_lshl_add_u64 v[0:1], v[0:1], 3, v[2:3]
	v_lshlrev_b32_e32 v18, 3, v12
	v_lshl_add_u64 v[10:11], s[26:27], 0, v[0:1]
	s_lshl_b64 s[8:9], s[22:23], 6
	v_mov_b64_e32 v[0:1], 0
	v_mov_b64_e32 v[2:3], 0
	;; [unrolled: 1-line block ×4, first 2 shown]
	s_branch .LBB355_6
.LBB355_5:                              ;   in Loop: Header=BB355_6 Depth=1
	s_or_b64 exec, exec, s[6:7]
	s_waitcnt vmcnt(0) lgkmcnt(0)
	ds_write_b64 v17, v[20:21]
	s_waitcnt lgkmcnt(0)
	s_barrier
	ds_read2_b64 v[20:23], v18 offset1:16
	ds_read_b128 v[24:27], v19
	ds_read_b128 v[28:31], v19 offset:16
	ds_read_b128 v[32:35], v19 offset:32
	;; [unrolled: 1-line block ×4, first 2 shown]
	ds_read2_b64 v[44:47], v18 offset0:32 offset1:48
	s_waitcnt lgkmcnt(5)
	v_fmac_f64_e32 v[6:7], v[20:21], v[24:25]
	v_fmac_f64_e32 v[4:5], v[22:23], v[24:25]
	ds_read_b128 v[48:51], v19 offset:1040
	s_waitcnt lgkmcnt(2)
	v_fmac_f64_e32 v[2:3], v[20:21], v[40:41]
	v_fmac_f64_e32 v[0:1], v[22:23], v[40:41]
	ds_read2_b64 v[20:23], v18 offset0:64 offset1:80
	s_waitcnt lgkmcnt(2)
	v_fmac_f64_e32 v[6:7], v[44:45], v[26:27]
	v_fmac_f64_e32 v[4:5], v[46:47], v[26:27]
	ds_read2_b64 v[24:27], v18 offset0:96 offset1:112
	v_fmac_f64_e32 v[2:3], v[44:45], v[42:43]
	v_fmac_f64_e32 v[0:1], v[46:47], v[42:43]
	s_waitcnt lgkmcnt(1)
	v_fmac_f64_e32 v[6:7], v[20:21], v[28:29]
	v_fmac_f64_e32 v[4:5], v[22:23], v[28:29]
	ds_read_b128 v[40:43], v19 offset:1072
	v_fmac_f64_e32 v[2:3], v[20:21], v[48:49]
	v_fmac_f64_e32 v[0:1], v[22:23], v[48:49]
	s_waitcnt lgkmcnt(1)
	v_fmac_f64_e32 v[6:7], v[24:25], v[30:31]
	ds_read2_b64 v[20:23], v18 offset0:128 offset1:144
	v_fmac_f64_e32 v[4:5], v[26:27], v[30:31]
	v_fmac_f64_e32 v[2:3], v[24:25], v[50:51]
	;; [unrolled: 1-line block ×3, first 2 shown]
	ds_read_b128 v[24:27], v19 offset:1056
	ds_read2_b64 v[28:31], v18 offset0:160 offset1:176
	s_waitcnt lgkmcnt(2)
	v_fmac_f64_e32 v[6:7], v[20:21], v[32:33]
	v_fmac_f64_e32 v[4:5], v[22:23], v[32:33]
	s_add_i32 s5, s5, 8
	s_waitcnt lgkmcnt(1)
	v_fmac_f64_e32 v[2:3], v[20:21], v[24:25]
	v_fmac_f64_e32 v[0:1], v[22:23], v[24:25]
	ds_read2_b64 v[20:23], v18 offset0:192 offset1:208
	s_waitcnt lgkmcnt(1)
	v_fmac_f64_e32 v[2:3], v[28:29], v[26:27]
	v_fmac_f64_e32 v[0:1], v[30:31], v[26:27]
	ds_read2_b64 v[24:27], v18 offset0:224 offset1:240
	v_fmac_f64_e32 v[6:7], v[28:29], v[34:35]
	v_fmac_f64_e32 v[4:5], v[30:31], v[34:35]
	s_waitcnt lgkmcnt(1)
	v_fmac_f64_e32 v[6:7], v[20:21], v[36:37]
	v_fmac_f64_e32 v[4:5], v[22:23], v[36:37]
	v_fmac_f64_e32 v[2:3], v[20:21], v[40:41]
	v_fmac_f64_e32 v[0:1], v[22:23], v[40:41]
	s_waitcnt lgkmcnt(0)
	v_fmac_f64_e32 v[6:7], v[24:25], v[38:39]
	v_fmac_f64_e32 v[4:5], v[26:27], v[38:39]
	;; [unrolled: 1-line block ×4, first 2 shown]
	v_lshl_add_u64 v[8:9], v[8:9], 0, 64
	s_cmp_lt_i32 s5, s17
	v_lshl_add_u64 v[10:11], v[10:11], 0, s[8:9]
	s_barrier
	s_cbranch_scc0 .LBB355_10
.LBB355_6:                              ; =>This Inner Loop Header: Depth=1
	v_add_u32_e32 v20, s5, v15
	v_cmp_gt_i32_e64 s[6:7], s17, v20
	s_and_b64 s[14:15], vcc, s[6:7]
	v_mov_b64_e32 v[20:21], 0
	s_and_saveexec_b64 s[6:7], s[14:15]
	s_cbranch_execz .LBB355_8
; %bb.7:                                ;   in Loop: Header=BB355_6 Depth=1
	flat_load_dwordx2 v[20:21], v[8:9]
.LBB355_8:                              ;   in Loop: Header=BB355_6 Depth=1
	s_or_b64 exec, exec, s[6:7]
	s_waitcnt vmcnt(0) lgkmcnt(0)
	ds_write_b64 v16, v[20:21]
	v_add_u32_e32 v20, s5, v14
	v_cmp_gt_i32_e64 s[6:7], s17, v20
	s_and_b64 s[14:15], s[6:7], s[2:3]
	v_mov_b64_e32 v[20:21], 0
	s_and_saveexec_b64 s[6:7], s[14:15]
	s_cbranch_execz .LBB355_5
; %bb.9:                                ;   in Loop: Header=BB355_6 Depth=1
	flat_load_dwordx2 v[20:21], v[10:11]
	s_branch .LBB355_5
.LBB355_10:
	s_load_dwordx2 s[2:3], s[0:1], 0x58
	s_load_dword s14, s[0:1], 0x50
	v_add_u32_e32 v14, s20, v13
	v_add_u32_e32 v8, s4, v12
	v_cmp_le_i32_e32 vcc, v14, v8
	s_waitcnt lgkmcnt(0)
	s_lshl_b64 s[0:1], s[2:3], 3
	s_add_u32 s6, s18, s0
	s_addc_u32 s7, s19, s1
	v_mad_i64_i32 v[10:11], s[0:1], v14, s14, 0
	v_cmp_neq_f64_e64 s[0:1], s[10:11], 0
	v_cmp_gt_i32_e64 s[2:3], s16, v8
	v_lshl_add_u64 v[10:11], v[10:11], 3, s[6:7]
	v_cndmask_b32_e64 v12, 0, 1, s[0:1]
	s_and_b64 s[8:9], vcc, s[2:3]
	v_ashrrev_i32_e32 v9, 31, v8
	v_cmp_ne_u32_e64 s[0:1], 1, v12
	s_and_saveexec_b64 s[4:5], s[8:9]
	s_cbranch_execz .LBB355_14
; %bb.11:
	v_mul_f64 v[6:7], s[12:13], v[6:7]
	s_and_b64 vcc, exec, s[0:1]
	v_lshl_add_u64 v[12:13], v[8:9], 3, v[10:11]
	s_cbranch_vccnz .LBB355_13
; %bb.12:
	flat_load_dwordx2 v[16:17], v[12:13]
	s_waitcnt vmcnt(0) lgkmcnt(0)
	v_fmac_f64_e32 v[6:7], s[10:11], v[16:17]
.LBB355_13:
	flat_store_dwordx2 v[12:13], v[6:7]
.LBB355_14:
	s_or_b64 exec, exec, s[4:5]
	v_add_u32_e32 v6, 16, v8
	v_cmp_le_i32_e32 vcc, v14, v6
	v_cmp_gt_i32_e64 s[4:5], s16, v6
	s_and_b64 s[16:17], vcc, s[4:5]
	v_ashrrev_i32_e32 v7, 31, v6
	s_and_saveexec_b64 s[8:9], s[16:17]
	s_cbranch_execz .LBB355_18
; %bb.15:
	v_mul_f64 v[4:5], s[12:13], v[4:5]
	s_and_b64 vcc, exec, s[0:1]
	v_lshl_add_u64 v[10:11], v[6:7], 3, v[10:11]
	s_cbranch_vccnz .LBB355_17
; %bb.16:
	flat_load_dwordx2 v[12:13], v[10:11]
	s_waitcnt vmcnt(0) lgkmcnt(0)
	v_fmac_f64_e32 v[4:5], s[10:11], v[12:13]
.LBB355_17:
	flat_store_dwordx2 v[10:11], v[4:5]
.LBB355_18:
	s_or_b64 exec, exec, s[8:9]
	v_add_u32_e32 v10, 16, v14
	v_mad_i64_i32 v[4:5], s[8:9], v10, s14, 0
	v_cmp_le_i32_e32 vcc, v10, v8
	v_lshl_add_u64 v[4:5], v[4:5], 3, s[6:7]
	s_and_b64 s[6:7], vcc, s[2:3]
	s_and_saveexec_b64 s[2:3], s[6:7]
	s_cbranch_execz .LBB355_22
; %bb.19:
	v_mul_f64 v[2:3], s[12:13], v[2:3]
	s_and_b64 vcc, exec, s[0:1]
	v_lshl_add_u64 v[8:9], v[8:9], 3, v[4:5]
	s_cbranch_vccnz .LBB355_21
; %bb.20:
	flat_load_dwordx2 v[12:13], v[8:9]
	s_waitcnt vmcnt(0) lgkmcnt(0)
	v_fmac_f64_e32 v[2:3], s[10:11], v[12:13]
.LBB355_21:
	flat_store_dwordx2 v[8:9], v[2:3]
.LBB355_22:
	s_or_b64 exec, exec, s[2:3]
	v_cmp_le_i32_e32 vcc, v10, v6
	s_and_b64 s[2:3], vcc, s[4:5]
	s_and_saveexec_b64 s[4:5], s[2:3]
	s_cbranch_execz .LBB355_26
; %bb.23:
	v_mul_f64 v[0:1], s[12:13], v[0:1]
	s_and_b64 vcc, exec, s[0:1]
	v_lshl_add_u64 v[2:3], v[6:7], 3, v[4:5]
	s_cbranch_vccnz .LBB355_25
; %bb.24:
	flat_load_dwordx2 v[4:5], v[2:3]
	s_waitcnt vmcnt(0) lgkmcnt(0)
	v_fmac_f64_e32 v[0:1], s[10:11], v[4:5]
.LBB355_25:
	flat_store_dwordx2 v[2:3], v[0:1]
.LBB355_26:
	s_endpgm
	.section	.rodata,"a",@progbits
	.p2align	6, 0x0
	.amdhsa_kernel _ZL29rocblas_internal_gemmt_kernelIiLi16ELi32ELi8ELc84ELc84ELc76ELb0ELb0EddPKPKdPKPdEviT_T9_T10_S7_lS9_S7_lS8_T11_S7_li
		.amdhsa_group_segment_fixed_size 4096
		.amdhsa_private_segment_fixed_size 0
		.amdhsa_kernarg_size 100
		.amdhsa_user_sgpr_count 2
		.amdhsa_user_sgpr_dispatch_ptr 0
		.amdhsa_user_sgpr_queue_ptr 0
		.amdhsa_user_sgpr_kernarg_segment_ptr 1
		.amdhsa_user_sgpr_dispatch_id 0
		.amdhsa_user_sgpr_kernarg_preload_length 0
		.amdhsa_user_sgpr_kernarg_preload_offset 0
		.amdhsa_user_sgpr_private_segment_size 0
		.amdhsa_uses_dynamic_stack 0
		.amdhsa_enable_private_segment 0
		.amdhsa_system_sgpr_workgroup_id_x 1
		.amdhsa_system_sgpr_workgroup_id_y 1
		.amdhsa_system_sgpr_workgroup_id_z 1
		.amdhsa_system_sgpr_workgroup_info 0
		.amdhsa_system_vgpr_workitem_id 1
		.amdhsa_next_free_vgpr 52
		.amdhsa_next_free_sgpr 28
		.amdhsa_accum_offset 52
		.amdhsa_reserve_vcc 1
		.amdhsa_float_round_mode_32 0
		.amdhsa_float_round_mode_16_64 0
		.amdhsa_float_denorm_mode_32 3
		.amdhsa_float_denorm_mode_16_64 3
		.amdhsa_dx10_clamp 1
		.amdhsa_ieee_mode 1
		.amdhsa_fp16_overflow 0
		.amdhsa_tg_split 0
		.amdhsa_exception_fp_ieee_invalid_op 0
		.amdhsa_exception_fp_denorm_src 0
		.amdhsa_exception_fp_ieee_div_zero 0
		.amdhsa_exception_fp_ieee_overflow 0
		.amdhsa_exception_fp_ieee_underflow 0
		.amdhsa_exception_fp_ieee_inexact 0
		.amdhsa_exception_int_div_zero 0
	.end_amdhsa_kernel
	.section	.text._ZL29rocblas_internal_gemmt_kernelIiLi16ELi32ELi8ELc84ELc84ELc76ELb0ELb0EddPKPKdPKPdEviT_T9_T10_S7_lS9_S7_lS8_T11_S7_li,"axG",@progbits,_ZL29rocblas_internal_gemmt_kernelIiLi16ELi32ELi8ELc84ELc84ELc76ELb0ELb0EddPKPKdPKPdEviT_T9_T10_S7_lS9_S7_lS8_T11_S7_li,comdat
.Lfunc_end355:
	.size	_ZL29rocblas_internal_gemmt_kernelIiLi16ELi32ELi8ELc84ELc84ELc76ELb0ELb0EddPKPKdPKPdEviT_T9_T10_S7_lS9_S7_lS8_T11_S7_li, .Lfunc_end355-_ZL29rocblas_internal_gemmt_kernelIiLi16ELi32ELi8ELc84ELc84ELc76ELb0ELb0EddPKPKdPKPdEviT_T9_T10_S7_lS9_S7_lS8_T11_S7_li
                                        ; -- End function
	.set _ZL29rocblas_internal_gemmt_kernelIiLi16ELi32ELi8ELc84ELc84ELc76ELb0ELb0EddPKPKdPKPdEviT_T9_T10_S7_lS9_S7_lS8_T11_S7_li.num_vgpr, 52
	.set _ZL29rocblas_internal_gemmt_kernelIiLi16ELi32ELi8ELc84ELc84ELc76ELb0ELb0EddPKPKdPKPdEviT_T9_T10_S7_lS9_S7_lS8_T11_S7_li.num_agpr, 0
	.set _ZL29rocblas_internal_gemmt_kernelIiLi16ELi32ELi8ELc84ELc84ELc76ELb0ELb0EddPKPKdPKPdEviT_T9_T10_S7_lS9_S7_lS8_T11_S7_li.numbered_sgpr, 28
	.set _ZL29rocblas_internal_gemmt_kernelIiLi16ELi32ELi8ELc84ELc84ELc76ELb0ELb0EddPKPKdPKPdEviT_T9_T10_S7_lS9_S7_lS8_T11_S7_li.num_named_barrier, 0
	.set _ZL29rocblas_internal_gemmt_kernelIiLi16ELi32ELi8ELc84ELc84ELc76ELb0ELb0EddPKPKdPKPdEviT_T9_T10_S7_lS9_S7_lS8_T11_S7_li.private_seg_size, 0
	.set _ZL29rocblas_internal_gemmt_kernelIiLi16ELi32ELi8ELc84ELc84ELc76ELb0ELb0EddPKPKdPKPdEviT_T9_T10_S7_lS9_S7_lS8_T11_S7_li.uses_vcc, 1
	.set _ZL29rocblas_internal_gemmt_kernelIiLi16ELi32ELi8ELc84ELc84ELc76ELb0ELb0EddPKPKdPKPdEviT_T9_T10_S7_lS9_S7_lS8_T11_S7_li.uses_flat_scratch, 0
	.set _ZL29rocblas_internal_gemmt_kernelIiLi16ELi32ELi8ELc84ELc84ELc76ELb0ELb0EddPKPKdPKPdEviT_T9_T10_S7_lS9_S7_lS8_T11_S7_li.has_dyn_sized_stack, 0
	.set _ZL29rocblas_internal_gemmt_kernelIiLi16ELi32ELi8ELc84ELc84ELc76ELb0ELb0EddPKPKdPKPdEviT_T9_T10_S7_lS9_S7_lS8_T11_S7_li.has_recursion, 0
	.set _ZL29rocblas_internal_gemmt_kernelIiLi16ELi32ELi8ELc84ELc84ELc76ELb0ELb0EddPKPKdPKPdEviT_T9_T10_S7_lS9_S7_lS8_T11_S7_li.has_indirect_call, 0
	.section	.AMDGPU.csdata,"",@progbits
; Kernel info:
; codeLenInByte = 1300
; TotalNumSgprs: 34
; NumVgprs: 52
; NumAgprs: 0
; TotalNumVgprs: 52
; ScratchSize: 0
; MemoryBound: 0
; FloatMode: 240
; IeeeMode: 1
; LDSByteSize: 4096 bytes/workgroup (compile time only)
; SGPRBlocks: 4
; VGPRBlocks: 6
; NumSGPRsForWavesPerEU: 34
; NumVGPRsForWavesPerEU: 52
; AccumOffset: 52
; Occupancy: 8
; WaveLimiterHint : 1
; COMPUTE_PGM_RSRC2:SCRATCH_EN: 0
; COMPUTE_PGM_RSRC2:USER_SGPR: 2
; COMPUTE_PGM_RSRC2:TRAP_HANDLER: 0
; COMPUTE_PGM_RSRC2:TGID_X_EN: 1
; COMPUTE_PGM_RSRC2:TGID_Y_EN: 1
; COMPUTE_PGM_RSRC2:TGID_Z_EN: 1
; COMPUTE_PGM_RSRC2:TIDIG_COMP_CNT: 1
; COMPUTE_PGM_RSRC3_GFX90A:ACCUM_OFFSET: 12
; COMPUTE_PGM_RSRC3_GFX90A:TG_SPLIT: 0
	.section	.text._ZL29rocblas_internal_gemmt_kernelIiLi16ELi32ELi8ELc84ELc67ELc76ELb0ELb0EddPKPKdPKPdEviT_T9_T10_S7_lS9_S7_lS8_T11_S7_li,"axG",@progbits,_ZL29rocblas_internal_gemmt_kernelIiLi16ELi32ELi8ELc84ELc67ELc76ELb0ELb0EddPKPKdPKPdEviT_T9_T10_S7_lS9_S7_lS8_T11_S7_li,comdat
	.globl	_ZL29rocblas_internal_gemmt_kernelIiLi16ELi32ELi8ELc84ELc67ELc76ELb0ELb0EddPKPKdPKPdEviT_T9_T10_S7_lS9_S7_lS8_T11_S7_li ; -- Begin function _ZL29rocblas_internal_gemmt_kernelIiLi16ELi32ELi8ELc84ELc67ELc76ELb0ELb0EddPKPKdPKPdEviT_T9_T10_S7_lS9_S7_lS8_T11_S7_li
	.p2align	8
	.type	_ZL29rocblas_internal_gemmt_kernelIiLi16ELi32ELi8ELc84ELc67ELc76ELb0ELb0EddPKPKdPKPdEviT_T9_T10_S7_lS9_S7_lS8_T11_S7_li,@function
_ZL29rocblas_internal_gemmt_kernelIiLi16ELi32ELi8ELc84ELc67ELc76ELb0ELb0EddPKPKdPKPdEviT_T9_T10_S7_lS9_S7_lS8_T11_S7_li: ; @_ZL29rocblas_internal_gemmt_kernelIiLi16ELi32ELi8ELc84ELc67ELc76ELb0ELb0EddPKPKdPKPdEviT_T9_T10_S7_lS9_S7_lS8_T11_S7_li
; %bb.0:
	s_load_dwordx4 s[8:11], s[0:1], 0x38
	s_load_dwordx2 s[16:17], s[0:1], 0x0
	s_load_dwordx4 s[12:15], s[0:1], 0x8
	s_waitcnt lgkmcnt(0)
	v_cmp_neq_f64_e64 s[6:7], s[10:11], 1.0
	s_and_b64 vcc, exec, s[6:7]
	s_cbranch_vccnz .LBB356_2
; %bb.1:
	s_cmp_lg_u32 s17, 0
	s_cselect_b64 s[6:7], -1, 0
	v_cmp_neq_f64_e64 s[18:19], s[12:13], 0
	s_and_b64 s[6:7], s[6:7], s[18:19]
.LBB356_2:
	s_andn2_b64 vcc, exec, s[6:7]
	s_cbranch_vccnz .LBB356_26
; %bb.3:
	s_load_dwordx2 s[18:19], s[0:1], 0x48
	s_mov_b32 s5, 0
	s_lshl_b64 s[6:7], s[4:5], 3
	v_and_b32_e32 v12, 0x3ff, v0
	v_bfe_u32 v13, v0, 10, 10
	s_waitcnt lgkmcnt(0)
	s_add_u32 s18, s18, s6
	s_addc_u32 s19, s19, s7
	s_load_dwordx2 s[18:19], s[18:19], 0x0
	s_lshl_b32 s4, s2, 5
	s_lshl_b32 s20, s3, 5
	s_cmp_lt_i32 s17, 1
	v_cmp_eq_f64_e64 s[2:3], s[12:13], 0
	s_cselect_b64 s[22:23], -1, 0
	s_or_b64 s[2:3], s[2:3], s[22:23]
	v_mov_b64_e32 v[6:7], 0
	s_and_b64 vcc, exec, s[2:3]
	v_mov_b64_e32 v[4:5], 0
	v_mov_b64_e32 v[2:3], 0
	;; [unrolled: 1-line block ×3, first 2 shown]
	s_cbranch_vccnz .LBB356_10
; %bb.4:
	s_load_dword s21, s[0:1], 0x18
	s_load_dword s22, s[0:1], 0x30
	s_load_dwordx4 s[24:27], s[0:1], 0x20
	v_lshl_add_u32 v1, v13, 4, v12
	v_and_b32_e32 v3, 31, v1
	v_lshrrev_b32_e32 v15, 5, v1
	s_waitcnt lgkmcnt(0)
	s_ashr_i32 s23, s22, 31
	v_lshrrev_b32_e32 v2, 3, v1
	v_or_b32_e32 v1, s4, v3
	s_add_u32 s2, s26, s6
	v_and_b32_e32 v14, 7, v12
	s_addc_u32 s3, s27, s7
	v_cmp_gt_i32_e32 vcc, s16, v1
	v_lshlrev_b32_e32 v1, 3, v3
	s_load_dwordx2 s[26:27], s[2:3], 0x0
	s_add_u32 s2, s14, s6
	v_lshl_or_b32 v16, v15, 8, v1
	v_lshlrev_b32_e32 v1, 3, v14
	v_add_u32_e32 v0, s20, v2
	s_addc_u32 s3, s15, s7
	v_lshl_or_b32 v1, v2, 6, v1
	v_mov_b32_e32 v2, 0x800
	s_load_dwordx2 s[6:7], s[2:3], 0x0
	v_lshl_add_u32 v19, v13, 6, v2
	v_add_u32_e32 v2, s4, v3
	v_mad_i64_i32 v[2:3], s[14:15], s21, v2, 0
	s_lshl_b64 s[14:15], s[24:25], 3
	s_nop 0
	v_lshl_add_u64 v[2:3], v[2:3], 3, s[14:15]
	v_lshlrev_b32_e32 v4, 3, v15
	v_mov_b32_e32 v5, 0
	v_lshl_add_u64 v[2:3], v[2:3], 0, v[4:5]
	s_waitcnt lgkmcnt(0)
	v_lshl_add_u64 v[8:9], s[6:7], 0, v[2:3]
	v_mad_i64_i32 v[2:3], s[6:7], s22, v14, 0
	s_lshl_b64 s[6:7], s[8:9], 3
	v_add_u32_e32 v17, 0x800, v1
	v_ashrrev_i32_e32 v1, 31, v0
	v_lshl_add_u64 v[2:3], v[2:3], 3, s[6:7]
	v_cmp_gt_i32_e64 s[2:3], s16, v0
	v_lshl_add_u64 v[0:1], v[0:1], 3, v[2:3]
	v_lshlrev_b32_e32 v18, 3, v12
	v_lshl_add_u64 v[10:11], s[26:27], 0, v[0:1]
	s_lshl_b64 s[8:9], s[22:23], 6
	v_mov_b64_e32 v[0:1], 0
	v_mov_b64_e32 v[2:3], 0
	;; [unrolled: 1-line block ×4, first 2 shown]
	s_branch .LBB356_6
.LBB356_5:                              ;   in Loop: Header=BB356_6 Depth=1
	s_or_b64 exec, exec, s[6:7]
	s_waitcnt vmcnt(0) lgkmcnt(0)
	ds_write_b64 v17, v[20:21]
	s_waitcnt lgkmcnt(0)
	s_barrier
	ds_read2_b64 v[20:23], v18 offset1:16
	ds_read_b128 v[24:27], v19
	ds_read_b128 v[28:31], v19 offset:16
	ds_read_b128 v[32:35], v19 offset:32
	;; [unrolled: 1-line block ×4, first 2 shown]
	ds_read2_b64 v[44:47], v18 offset0:32 offset1:48
	s_waitcnt lgkmcnt(5)
	v_fmac_f64_e32 v[6:7], v[20:21], v[24:25]
	v_fmac_f64_e32 v[4:5], v[22:23], v[24:25]
	ds_read_b128 v[48:51], v19 offset:1040
	s_waitcnt lgkmcnt(2)
	v_fmac_f64_e32 v[2:3], v[20:21], v[40:41]
	v_fmac_f64_e32 v[0:1], v[22:23], v[40:41]
	ds_read2_b64 v[20:23], v18 offset0:64 offset1:80
	s_waitcnt lgkmcnt(2)
	v_fmac_f64_e32 v[6:7], v[44:45], v[26:27]
	v_fmac_f64_e32 v[4:5], v[46:47], v[26:27]
	ds_read2_b64 v[24:27], v18 offset0:96 offset1:112
	v_fmac_f64_e32 v[2:3], v[44:45], v[42:43]
	v_fmac_f64_e32 v[0:1], v[46:47], v[42:43]
	s_waitcnt lgkmcnt(1)
	v_fmac_f64_e32 v[6:7], v[20:21], v[28:29]
	v_fmac_f64_e32 v[4:5], v[22:23], v[28:29]
	ds_read_b128 v[40:43], v19 offset:1072
	v_fmac_f64_e32 v[2:3], v[20:21], v[48:49]
	v_fmac_f64_e32 v[0:1], v[22:23], v[48:49]
	s_waitcnt lgkmcnt(1)
	v_fmac_f64_e32 v[6:7], v[24:25], v[30:31]
	ds_read2_b64 v[20:23], v18 offset0:128 offset1:144
	v_fmac_f64_e32 v[4:5], v[26:27], v[30:31]
	v_fmac_f64_e32 v[2:3], v[24:25], v[50:51]
	;; [unrolled: 1-line block ×3, first 2 shown]
	ds_read_b128 v[24:27], v19 offset:1056
	ds_read2_b64 v[28:31], v18 offset0:160 offset1:176
	s_waitcnt lgkmcnt(2)
	v_fmac_f64_e32 v[6:7], v[20:21], v[32:33]
	v_fmac_f64_e32 v[4:5], v[22:23], v[32:33]
	s_add_i32 s5, s5, 8
	s_waitcnt lgkmcnt(1)
	v_fmac_f64_e32 v[2:3], v[20:21], v[24:25]
	v_fmac_f64_e32 v[0:1], v[22:23], v[24:25]
	ds_read2_b64 v[20:23], v18 offset0:192 offset1:208
	s_waitcnt lgkmcnt(1)
	v_fmac_f64_e32 v[2:3], v[28:29], v[26:27]
	v_fmac_f64_e32 v[0:1], v[30:31], v[26:27]
	ds_read2_b64 v[24:27], v18 offset0:224 offset1:240
	v_fmac_f64_e32 v[6:7], v[28:29], v[34:35]
	v_fmac_f64_e32 v[4:5], v[30:31], v[34:35]
	s_waitcnt lgkmcnt(1)
	v_fmac_f64_e32 v[6:7], v[20:21], v[36:37]
	v_fmac_f64_e32 v[4:5], v[22:23], v[36:37]
	;; [unrolled: 1-line block ×4, first 2 shown]
	s_waitcnt lgkmcnt(0)
	v_fmac_f64_e32 v[6:7], v[24:25], v[38:39]
	v_fmac_f64_e32 v[4:5], v[26:27], v[38:39]
	v_fmac_f64_e32 v[2:3], v[24:25], v[42:43]
	v_fmac_f64_e32 v[0:1], v[26:27], v[42:43]
	v_lshl_add_u64 v[8:9], v[8:9], 0, 64
	s_cmp_lt_i32 s5, s17
	v_lshl_add_u64 v[10:11], v[10:11], 0, s[8:9]
	s_barrier
	s_cbranch_scc0 .LBB356_10
.LBB356_6:                              ; =>This Inner Loop Header: Depth=1
	v_add_u32_e32 v20, s5, v15
	v_cmp_gt_i32_e64 s[6:7], s17, v20
	s_and_b64 s[14:15], vcc, s[6:7]
	v_mov_b64_e32 v[20:21], 0
	s_and_saveexec_b64 s[6:7], s[14:15]
	s_cbranch_execz .LBB356_8
; %bb.7:                                ;   in Loop: Header=BB356_6 Depth=1
	flat_load_dwordx2 v[20:21], v[8:9]
.LBB356_8:                              ;   in Loop: Header=BB356_6 Depth=1
	s_or_b64 exec, exec, s[6:7]
	s_waitcnt vmcnt(0) lgkmcnt(0)
	ds_write_b64 v16, v[20:21]
	v_add_u32_e32 v20, s5, v14
	v_cmp_gt_i32_e64 s[6:7], s17, v20
	s_and_b64 s[14:15], s[6:7], s[2:3]
	v_mov_b64_e32 v[20:21], 0
	s_and_saveexec_b64 s[6:7], s[14:15]
	s_cbranch_execz .LBB356_5
; %bb.9:                                ;   in Loop: Header=BB356_6 Depth=1
	flat_load_dwordx2 v[20:21], v[10:11]
	s_branch .LBB356_5
.LBB356_10:
	s_load_dwordx2 s[2:3], s[0:1], 0x58
	s_load_dword s14, s[0:1], 0x50
	v_add_u32_e32 v14, s20, v13
	v_add_u32_e32 v8, s4, v12
	v_cmp_le_i32_e32 vcc, v14, v8
	s_waitcnt lgkmcnt(0)
	s_lshl_b64 s[0:1], s[2:3], 3
	s_add_u32 s6, s18, s0
	s_addc_u32 s7, s19, s1
	v_mad_i64_i32 v[10:11], s[0:1], v14, s14, 0
	v_cmp_neq_f64_e64 s[0:1], s[10:11], 0
	v_cmp_gt_i32_e64 s[2:3], s16, v8
	v_lshl_add_u64 v[10:11], v[10:11], 3, s[6:7]
	v_cndmask_b32_e64 v12, 0, 1, s[0:1]
	s_and_b64 s[8:9], vcc, s[2:3]
	v_ashrrev_i32_e32 v9, 31, v8
	v_cmp_ne_u32_e64 s[0:1], 1, v12
	s_and_saveexec_b64 s[4:5], s[8:9]
	s_cbranch_execz .LBB356_14
; %bb.11:
	v_mul_f64 v[6:7], s[12:13], v[6:7]
	s_and_b64 vcc, exec, s[0:1]
	v_lshl_add_u64 v[12:13], v[8:9], 3, v[10:11]
	s_cbranch_vccnz .LBB356_13
; %bb.12:
	flat_load_dwordx2 v[16:17], v[12:13]
	s_waitcnt vmcnt(0) lgkmcnt(0)
	v_fmac_f64_e32 v[6:7], s[10:11], v[16:17]
.LBB356_13:
	flat_store_dwordx2 v[12:13], v[6:7]
.LBB356_14:
	s_or_b64 exec, exec, s[4:5]
	v_add_u32_e32 v6, 16, v8
	v_cmp_le_i32_e32 vcc, v14, v6
	v_cmp_gt_i32_e64 s[4:5], s16, v6
	s_and_b64 s[16:17], vcc, s[4:5]
	v_ashrrev_i32_e32 v7, 31, v6
	s_and_saveexec_b64 s[8:9], s[16:17]
	s_cbranch_execz .LBB356_18
; %bb.15:
	v_mul_f64 v[4:5], s[12:13], v[4:5]
	s_and_b64 vcc, exec, s[0:1]
	v_lshl_add_u64 v[10:11], v[6:7], 3, v[10:11]
	s_cbranch_vccnz .LBB356_17
; %bb.16:
	flat_load_dwordx2 v[12:13], v[10:11]
	s_waitcnt vmcnt(0) lgkmcnt(0)
	v_fmac_f64_e32 v[4:5], s[10:11], v[12:13]
.LBB356_17:
	flat_store_dwordx2 v[10:11], v[4:5]
.LBB356_18:
	s_or_b64 exec, exec, s[8:9]
	v_add_u32_e32 v10, 16, v14
	v_mad_i64_i32 v[4:5], s[8:9], v10, s14, 0
	v_cmp_le_i32_e32 vcc, v10, v8
	v_lshl_add_u64 v[4:5], v[4:5], 3, s[6:7]
	s_and_b64 s[6:7], vcc, s[2:3]
	s_and_saveexec_b64 s[2:3], s[6:7]
	s_cbranch_execz .LBB356_22
; %bb.19:
	v_mul_f64 v[2:3], s[12:13], v[2:3]
	s_and_b64 vcc, exec, s[0:1]
	v_lshl_add_u64 v[8:9], v[8:9], 3, v[4:5]
	s_cbranch_vccnz .LBB356_21
; %bb.20:
	flat_load_dwordx2 v[12:13], v[8:9]
	s_waitcnt vmcnt(0) lgkmcnt(0)
	v_fmac_f64_e32 v[2:3], s[10:11], v[12:13]
.LBB356_21:
	flat_store_dwordx2 v[8:9], v[2:3]
.LBB356_22:
	s_or_b64 exec, exec, s[2:3]
	v_cmp_le_i32_e32 vcc, v10, v6
	s_and_b64 s[2:3], vcc, s[4:5]
	s_and_saveexec_b64 s[4:5], s[2:3]
	s_cbranch_execz .LBB356_26
; %bb.23:
	v_mul_f64 v[0:1], s[12:13], v[0:1]
	s_and_b64 vcc, exec, s[0:1]
	v_lshl_add_u64 v[2:3], v[6:7], 3, v[4:5]
	s_cbranch_vccnz .LBB356_25
; %bb.24:
	flat_load_dwordx2 v[4:5], v[2:3]
	s_waitcnt vmcnt(0) lgkmcnt(0)
	v_fmac_f64_e32 v[0:1], s[10:11], v[4:5]
.LBB356_25:
	flat_store_dwordx2 v[2:3], v[0:1]
.LBB356_26:
	s_endpgm
	.section	.rodata,"a",@progbits
	.p2align	6, 0x0
	.amdhsa_kernel _ZL29rocblas_internal_gemmt_kernelIiLi16ELi32ELi8ELc84ELc67ELc76ELb0ELb0EddPKPKdPKPdEviT_T9_T10_S7_lS9_S7_lS8_T11_S7_li
		.amdhsa_group_segment_fixed_size 4096
		.amdhsa_private_segment_fixed_size 0
		.amdhsa_kernarg_size 100
		.amdhsa_user_sgpr_count 2
		.amdhsa_user_sgpr_dispatch_ptr 0
		.amdhsa_user_sgpr_queue_ptr 0
		.amdhsa_user_sgpr_kernarg_segment_ptr 1
		.amdhsa_user_sgpr_dispatch_id 0
		.amdhsa_user_sgpr_kernarg_preload_length 0
		.amdhsa_user_sgpr_kernarg_preload_offset 0
		.amdhsa_user_sgpr_private_segment_size 0
		.amdhsa_uses_dynamic_stack 0
		.amdhsa_enable_private_segment 0
		.amdhsa_system_sgpr_workgroup_id_x 1
		.amdhsa_system_sgpr_workgroup_id_y 1
		.amdhsa_system_sgpr_workgroup_id_z 1
		.amdhsa_system_sgpr_workgroup_info 0
		.amdhsa_system_vgpr_workitem_id 1
		.amdhsa_next_free_vgpr 52
		.amdhsa_next_free_sgpr 28
		.amdhsa_accum_offset 52
		.amdhsa_reserve_vcc 1
		.amdhsa_float_round_mode_32 0
		.amdhsa_float_round_mode_16_64 0
		.amdhsa_float_denorm_mode_32 3
		.amdhsa_float_denorm_mode_16_64 3
		.amdhsa_dx10_clamp 1
		.amdhsa_ieee_mode 1
		.amdhsa_fp16_overflow 0
		.amdhsa_tg_split 0
		.amdhsa_exception_fp_ieee_invalid_op 0
		.amdhsa_exception_fp_denorm_src 0
		.amdhsa_exception_fp_ieee_div_zero 0
		.amdhsa_exception_fp_ieee_overflow 0
		.amdhsa_exception_fp_ieee_underflow 0
		.amdhsa_exception_fp_ieee_inexact 0
		.amdhsa_exception_int_div_zero 0
	.end_amdhsa_kernel
	.section	.text._ZL29rocblas_internal_gemmt_kernelIiLi16ELi32ELi8ELc84ELc67ELc76ELb0ELb0EddPKPKdPKPdEviT_T9_T10_S7_lS9_S7_lS8_T11_S7_li,"axG",@progbits,_ZL29rocblas_internal_gemmt_kernelIiLi16ELi32ELi8ELc84ELc67ELc76ELb0ELb0EddPKPKdPKPdEviT_T9_T10_S7_lS9_S7_lS8_T11_S7_li,comdat
.Lfunc_end356:
	.size	_ZL29rocblas_internal_gemmt_kernelIiLi16ELi32ELi8ELc84ELc67ELc76ELb0ELb0EddPKPKdPKPdEviT_T9_T10_S7_lS9_S7_lS8_T11_S7_li, .Lfunc_end356-_ZL29rocblas_internal_gemmt_kernelIiLi16ELi32ELi8ELc84ELc67ELc76ELb0ELb0EddPKPKdPKPdEviT_T9_T10_S7_lS9_S7_lS8_T11_S7_li
                                        ; -- End function
	.set _ZL29rocblas_internal_gemmt_kernelIiLi16ELi32ELi8ELc84ELc67ELc76ELb0ELb0EddPKPKdPKPdEviT_T9_T10_S7_lS9_S7_lS8_T11_S7_li.num_vgpr, 52
	.set _ZL29rocblas_internal_gemmt_kernelIiLi16ELi32ELi8ELc84ELc67ELc76ELb0ELb0EddPKPKdPKPdEviT_T9_T10_S7_lS9_S7_lS8_T11_S7_li.num_agpr, 0
	.set _ZL29rocblas_internal_gemmt_kernelIiLi16ELi32ELi8ELc84ELc67ELc76ELb0ELb0EddPKPKdPKPdEviT_T9_T10_S7_lS9_S7_lS8_T11_S7_li.numbered_sgpr, 28
	.set _ZL29rocblas_internal_gemmt_kernelIiLi16ELi32ELi8ELc84ELc67ELc76ELb0ELb0EddPKPKdPKPdEviT_T9_T10_S7_lS9_S7_lS8_T11_S7_li.num_named_barrier, 0
	.set _ZL29rocblas_internal_gemmt_kernelIiLi16ELi32ELi8ELc84ELc67ELc76ELb0ELb0EddPKPKdPKPdEviT_T9_T10_S7_lS9_S7_lS8_T11_S7_li.private_seg_size, 0
	.set _ZL29rocblas_internal_gemmt_kernelIiLi16ELi32ELi8ELc84ELc67ELc76ELb0ELb0EddPKPKdPKPdEviT_T9_T10_S7_lS9_S7_lS8_T11_S7_li.uses_vcc, 1
	.set _ZL29rocblas_internal_gemmt_kernelIiLi16ELi32ELi8ELc84ELc67ELc76ELb0ELb0EddPKPKdPKPdEviT_T9_T10_S7_lS9_S7_lS8_T11_S7_li.uses_flat_scratch, 0
	.set _ZL29rocblas_internal_gemmt_kernelIiLi16ELi32ELi8ELc84ELc67ELc76ELb0ELb0EddPKPKdPKPdEviT_T9_T10_S7_lS9_S7_lS8_T11_S7_li.has_dyn_sized_stack, 0
	.set _ZL29rocblas_internal_gemmt_kernelIiLi16ELi32ELi8ELc84ELc67ELc76ELb0ELb0EddPKPKdPKPdEviT_T9_T10_S7_lS9_S7_lS8_T11_S7_li.has_recursion, 0
	.set _ZL29rocblas_internal_gemmt_kernelIiLi16ELi32ELi8ELc84ELc67ELc76ELb0ELb0EddPKPKdPKPdEviT_T9_T10_S7_lS9_S7_lS8_T11_S7_li.has_indirect_call, 0
	.section	.AMDGPU.csdata,"",@progbits
; Kernel info:
; codeLenInByte = 1300
; TotalNumSgprs: 34
; NumVgprs: 52
; NumAgprs: 0
; TotalNumVgprs: 52
; ScratchSize: 0
; MemoryBound: 0
; FloatMode: 240
; IeeeMode: 1
; LDSByteSize: 4096 bytes/workgroup (compile time only)
; SGPRBlocks: 4
; VGPRBlocks: 6
; NumSGPRsForWavesPerEU: 34
; NumVGPRsForWavesPerEU: 52
; AccumOffset: 52
; Occupancy: 8
; WaveLimiterHint : 1
; COMPUTE_PGM_RSRC2:SCRATCH_EN: 0
; COMPUTE_PGM_RSRC2:USER_SGPR: 2
; COMPUTE_PGM_RSRC2:TRAP_HANDLER: 0
; COMPUTE_PGM_RSRC2:TGID_X_EN: 1
; COMPUTE_PGM_RSRC2:TGID_Y_EN: 1
; COMPUTE_PGM_RSRC2:TGID_Z_EN: 1
; COMPUTE_PGM_RSRC2:TIDIG_COMP_CNT: 1
; COMPUTE_PGM_RSRC3_GFX90A:ACCUM_OFFSET: 12
; COMPUTE_PGM_RSRC3_GFX90A:TG_SPLIT: 0
	.section	.text._ZL29rocblas_internal_gemmt_kernelIiLi16ELi32ELi8ELc67ELc78ELc76ELb0ELb0EddPKPKdPKPdEviT_T9_T10_S7_lS9_S7_lS8_T11_S7_li,"axG",@progbits,_ZL29rocblas_internal_gemmt_kernelIiLi16ELi32ELi8ELc67ELc78ELc76ELb0ELb0EddPKPKdPKPdEviT_T9_T10_S7_lS9_S7_lS8_T11_S7_li,comdat
	.globl	_ZL29rocblas_internal_gemmt_kernelIiLi16ELi32ELi8ELc67ELc78ELc76ELb0ELb0EddPKPKdPKPdEviT_T9_T10_S7_lS9_S7_lS8_T11_S7_li ; -- Begin function _ZL29rocblas_internal_gemmt_kernelIiLi16ELi32ELi8ELc67ELc78ELc76ELb0ELb0EddPKPKdPKPdEviT_T9_T10_S7_lS9_S7_lS8_T11_S7_li
	.p2align	8
	.type	_ZL29rocblas_internal_gemmt_kernelIiLi16ELi32ELi8ELc67ELc78ELc76ELb0ELb0EddPKPKdPKPdEviT_T9_T10_S7_lS9_S7_lS8_T11_S7_li,@function
_ZL29rocblas_internal_gemmt_kernelIiLi16ELi32ELi8ELc67ELc78ELc76ELb0ELb0EddPKPKdPKPdEviT_T9_T10_S7_lS9_S7_lS8_T11_S7_li: ; @_ZL29rocblas_internal_gemmt_kernelIiLi16ELi32ELi8ELc67ELc78ELc76ELb0ELb0EddPKPKdPKPdEviT_T9_T10_S7_lS9_S7_lS8_T11_S7_li
; %bb.0:
	s_load_dwordx4 s[8:11], s[0:1], 0x38
	s_load_dwordx2 s[16:17], s[0:1], 0x0
	s_load_dwordx4 s[12:15], s[0:1], 0x8
	s_waitcnt lgkmcnt(0)
	v_cmp_neq_f64_e64 s[6:7], s[10:11], 1.0
	s_and_b64 vcc, exec, s[6:7]
	s_cbranch_vccnz .LBB357_2
; %bb.1:
	s_cmp_lg_u32 s17, 0
	s_cselect_b64 s[6:7], -1, 0
	v_cmp_neq_f64_e64 s[18:19], s[12:13], 0
	s_and_b64 s[6:7], s[6:7], s[18:19]
.LBB357_2:
	s_andn2_b64 vcc, exec, s[6:7]
	s_cbranch_vccnz .LBB357_26
; %bb.3:
	s_load_dwordx2 s[18:19], s[0:1], 0x48
	s_mov_b32 s5, 0
	s_lshl_b64 s[6:7], s[4:5], 3
	v_and_b32_e32 v12, 0x3ff, v0
	v_bfe_u32 v13, v0, 10, 10
	s_waitcnt lgkmcnt(0)
	s_add_u32 s18, s18, s6
	s_addc_u32 s19, s19, s7
	s_load_dwordx2 s[18:19], s[18:19], 0x0
	s_lshl_b32 s4, s2, 5
	s_lshl_b32 s20, s3, 5
	s_cmp_lt_i32 s17, 1
	v_cmp_eq_f64_e64 s[2:3], s[12:13], 0
	s_cselect_b64 s[22:23], -1, 0
	s_or_b64 s[2:3], s[2:3], s[22:23]
	v_mov_b64_e32 v[6:7], 0
	s_and_b64 vcc, exec, s[2:3]
	v_mov_b64_e32 v[4:5], 0
	v_mov_b64_e32 v[2:3], 0
	;; [unrolled: 1-line block ×3, first 2 shown]
	s_cbranch_vccnz .LBB357_10
; %bb.4:
	s_load_dword s21, s[0:1], 0x18
	s_load_dwordx4 s[24:27], s[0:1], 0x20
	s_load_dword s28, s[0:1], 0x30
	v_lshl_add_u32 v0, v13, 4, v12
	v_and_b32_e32 v2, 31, v0
	v_lshrrev_b32_e32 v15, 5, v0
	v_lshrrev_b32_e32 v1, 3, v0
	v_or_b32_e32 v0, s4, v2
	v_and_b32_e32 v14, 7, v12
	s_waitcnt lgkmcnt(0)
	s_add_u32 s2, s26, s6
	v_cmp_gt_i32_e32 vcc, s16, v0
	v_lshlrev_b32_e32 v0, 3, v2
	s_addc_u32 s3, s27, s7
	v_lshl_or_b32 v16, v15, 8, v0
	v_lshlrev_b32_e32 v0, 3, v14
	v_add_u32_e32 v6, s20, v1
	s_load_dwordx2 s[22:23], s[2:3], 0x0
	s_add_u32 s2, s14, s6
	v_lshl_or_b32 v1, v1, 6, v0
	s_addc_u32 s3, s15, s7
	v_add_u32_e32 v17, 0x800, v1
	v_mov_b32_e32 v1, 0x800
	s_load_dwordx2 s[6:7], s[2:3], 0x0
	v_lshl_add_u32 v19, v13, 6, v1
	v_add_u32_e32 v1, s4, v2
	v_mad_i64_i32 v[2:3], s[14:15], s21, v1, 0
	s_lshl_b64 s[14:15], s[24:25], 3
	s_nop 0
	v_lshl_add_u64 v[2:3], v[2:3], 3, s[14:15]
	v_lshlrev_b32_e32 v4, 3, v15
	v_mov_b32_e32 v5, 0
	v_lshl_add_u64 v[2:3], v[2:3], 0, v[4:5]
	s_waitcnt lgkmcnt(0)
	v_lshl_add_u64 v[8:9], s[6:7], 0, v[2:3]
	v_mad_i64_i32 v[2:3], s[6:7], s28, v6, 0
	s_lshl_b64 s[6:7], s[8:9], 3
	s_nop 0
	v_lshl_add_u64 v[2:3], v[2:3], 3, s[6:7]
	v_mov_b32_e32 v1, v5
	v_lshl_add_u64 v[0:1], v[2:3], 0, v[0:1]
	v_cmp_gt_i32_e64 s[2:3], s16, v6
	v_lshlrev_b32_e32 v18, 3, v12
	v_lshl_add_u64 v[10:11], s[22:23], 0, v[0:1]
	v_mov_b64_e32 v[0:1], 0
	v_mov_b64_e32 v[2:3], 0
	;; [unrolled: 1-line block ×4, first 2 shown]
	s_branch .LBB357_6
.LBB357_5:                              ;   in Loop: Header=BB357_6 Depth=1
	s_or_b64 exec, exec, s[6:7]
	s_waitcnt vmcnt(0) lgkmcnt(0)
	ds_write_b64 v17, v[20:21]
	s_waitcnt lgkmcnt(0)
	s_barrier
	ds_read2_b64 v[20:23], v18 offset1:16
	ds_read_b128 v[24:27], v19
	ds_read_b128 v[28:31], v19 offset:16
	ds_read_b128 v[32:35], v19 offset:32
	;; [unrolled: 1-line block ×4, first 2 shown]
	ds_read2_b64 v[44:47], v18 offset0:32 offset1:48
	s_waitcnt lgkmcnt(5)
	v_fmac_f64_e32 v[6:7], v[20:21], v[24:25]
	v_fmac_f64_e32 v[4:5], v[22:23], v[24:25]
	ds_read_b128 v[48:51], v19 offset:1040
	s_waitcnt lgkmcnt(2)
	v_fmac_f64_e32 v[2:3], v[20:21], v[40:41]
	v_fmac_f64_e32 v[0:1], v[22:23], v[40:41]
	ds_read2_b64 v[20:23], v18 offset0:64 offset1:80
	s_waitcnt lgkmcnt(2)
	v_fmac_f64_e32 v[6:7], v[44:45], v[26:27]
	v_fmac_f64_e32 v[4:5], v[46:47], v[26:27]
	ds_read2_b64 v[24:27], v18 offset0:96 offset1:112
	v_fmac_f64_e32 v[2:3], v[44:45], v[42:43]
	v_fmac_f64_e32 v[0:1], v[46:47], v[42:43]
	s_waitcnt lgkmcnt(1)
	v_fmac_f64_e32 v[6:7], v[20:21], v[28:29]
	v_fmac_f64_e32 v[4:5], v[22:23], v[28:29]
	ds_read_b128 v[40:43], v19 offset:1072
	v_fmac_f64_e32 v[2:3], v[20:21], v[48:49]
	v_fmac_f64_e32 v[0:1], v[22:23], v[48:49]
	s_waitcnt lgkmcnt(1)
	v_fmac_f64_e32 v[6:7], v[24:25], v[30:31]
	ds_read2_b64 v[20:23], v18 offset0:128 offset1:144
	v_fmac_f64_e32 v[4:5], v[26:27], v[30:31]
	v_fmac_f64_e32 v[2:3], v[24:25], v[50:51]
	;; [unrolled: 1-line block ×3, first 2 shown]
	ds_read_b128 v[24:27], v19 offset:1056
	ds_read2_b64 v[28:31], v18 offset0:160 offset1:176
	s_waitcnt lgkmcnt(2)
	v_fmac_f64_e32 v[6:7], v[20:21], v[32:33]
	v_fmac_f64_e32 v[4:5], v[22:23], v[32:33]
	s_add_i32 s5, s5, 8
	s_waitcnt lgkmcnt(1)
	v_fmac_f64_e32 v[2:3], v[20:21], v[24:25]
	v_fmac_f64_e32 v[0:1], v[22:23], v[24:25]
	ds_read2_b64 v[20:23], v18 offset0:192 offset1:208
	s_waitcnt lgkmcnt(1)
	v_fmac_f64_e32 v[2:3], v[28:29], v[26:27]
	v_fmac_f64_e32 v[0:1], v[30:31], v[26:27]
	ds_read2_b64 v[24:27], v18 offset0:224 offset1:240
	v_fmac_f64_e32 v[6:7], v[28:29], v[34:35]
	v_fmac_f64_e32 v[4:5], v[30:31], v[34:35]
	s_waitcnt lgkmcnt(1)
	v_fmac_f64_e32 v[6:7], v[20:21], v[36:37]
	v_fmac_f64_e32 v[4:5], v[22:23], v[36:37]
	;; [unrolled: 1-line block ×4, first 2 shown]
	s_waitcnt lgkmcnt(0)
	v_fmac_f64_e32 v[6:7], v[24:25], v[38:39]
	v_fmac_f64_e32 v[4:5], v[26:27], v[38:39]
	;; [unrolled: 1-line block ×4, first 2 shown]
	v_lshl_add_u64 v[8:9], v[8:9], 0, 64
	s_cmp_lt_i32 s5, s17
	v_lshl_add_u64 v[10:11], v[10:11], 0, 64
	s_barrier
	s_cbranch_scc0 .LBB357_10
.LBB357_6:                              ; =>This Inner Loop Header: Depth=1
	v_add_u32_e32 v20, s5, v15
	v_cmp_gt_i32_e64 s[6:7], s17, v20
	s_and_b64 s[8:9], vcc, s[6:7]
	v_mov_b64_e32 v[20:21], 0
	s_and_saveexec_b64 s[6:7], s[8:9]
	s_cbranch_execz .LBB357_8
; %bb.7:                                ;   in Loop: Header=BB357_6 Depth=1
	flat_load_dwordx2 v[20:21], v[8:9]
.LBB357_8:                              ;   in Loop: Header=BB357_6 Depth=1
	s_or_b64 exec, exec, s[6:7]
	s_waitcnt vmcnt(0) lgkmcnt(0)
	ds_write_b64 v16, v[20:21]
	v_add_u32_e32 v20, s5, v14
	v_cmp_gt_i32_e64 s[6:7], s17, v20
	s_and_b64 s[8:9], s[6:7], s[2:3]
	v_mov_b64_e32 v[20:21], 0
	s_and_saveexec_b64 s[6:7], s[8:9]
	s_cbranch_execz .LBB357_5
; %bb.9:                                ;   in Loop: Header=BB357_6 Depth=1
	flat_load_dwordx2 v[20:21], v[10:11]
	s_branch .LBB357_5
.LBB357_10:
	s_load_dwordx2 s[2:3], s[0:1], 0x58
	s_load_dword s14, s[0:1], 0x50
	v_add_u32_e32 v14, s20, v13
	v_add_u32_e32 v8, s4, v12
	v_cmp_le_i32_e32 vcc, v14, v8
	s_waitcnt lgkmcnt(0)
	s_lshl_b64 s[0:1], s[2:3], 3
	s_add_u32 s6, s18, s0
	s_addc_u32 s7, s19, s1
	v_mad_i64_i32 v[10:11], s[0:1], v14, s14, 0
	v_cmp_neq_f64_e64 s[0:1], s[10:11], 0
	v_cmp_gt_i32_e64 s[2:3], s16, v8
	v_lshl_add_u64 v[10:11], v[10:11], 3, s[6:7]
	v_cndmask_b32_e64 v12, 0, 1, s[0:1]
	s_and_b64 s[8:9], vcc, s[2:3]
	v_ashrrev_i32_e32 v9, 31, v8
	v_cmp_ne_u32_e64 s[0:1], 1, v12
	s_and_saveexec_b64 s[4:5], s[8:9]
	s_cbranch_execz .LBB357_14
; %bb.11:
	v_mul_f64 v[6:7], s[12:13], v[6:7]
	s_and_b64 vcc, exec, s[0:1]
	v_lshl_add_u64 v[12:13], v[8:9], 3, v[10:11]
	s_cbranch_vccnz .LBB357_13
; %bb.12:
	flat_load_dwordx2 v[16:17], v[12:13]
	s_waitcnt vmcnt(0) lgkmcnt(0)
	v_fmac_f64_e32 v[6:7], s[10:11], v[16:17]
.LBB357_13:
	flat_store_dwordx2 v[12:13], v[6:7]
.LBB357_14:
	s_or_b64 exec, exec, s[4:5]
	v_add_u32_e32 v6, 16, v8
	v_cmp_le_i32_e32 vcc, v14, v6
	v_cmp_gt_i32_e64 s[4:5], s16, v6
	s_and_b64 s[16:17], vcc, s[4:5]
	v_ashrrev_i32_e32 v7, 31, v6
	s_and_saveexec_b64 s[8:9], s[16:17]
	s_cbranch_execz .LBB357_18
; %bb.15:
	v_mul_f64 v[4:5], s[12:13], v[4:5]
	s_and_b64 vcc, exec, s[0:1]
	v_lshl_add_u64 v[10:11], v[6:7], 3, v[10:11]
	s_cbranch_vccnz .LBB357_17
; %bb.16:
	flat_load_dwordx2 v[12:13], v[10:11]
	s_waitcnt vmcnt(0) lgkmcnt(0)
	v_fmac_f64_e32 v[4:5], s[10:11], v[12:13]
.LBB357_17:
	flat_store_dwordx2 v[10:11], v[4:5]
.LBB357_18:
	s_or_b64 exec, exec, s[8:9]
	v_add_u32_e32 v10, 16, v14
	v_mad_i64_i32 v[4:5], s[8:9], v10, s14, 0
	v_cmp_le_i32_e32 vcc, v10, v8
	v_lshl_add_u64 v[4:5], v[4:5], 3, s[6:7]
	s_and_b64 s[6:7], vcc, s[2:3]
	s_and_saveexec_b64 s[2:3], s[6:7]
	s_cbranch_execz .LBB357_22
; %bb.19:
	v_mul_f64 v[2:3], s[12:13], v[2:3]
	s_and_b64 vcc, exec, s[0:1]
	v_lshl_add_u64 v[8:9], v[8:9], 3, v[4:5]
	s_cbranch_vccnz .LBB357_21
; %bb.20:
	flat_load_dwordx2 v[12:13], v[8:9]
	s_waitcnt vmcnt(0) lgkmcnt(0)
	v_fmac_f64_e32 v[2:3], s[10:11], v[12:13]
.LBB357_21:
	flat_store_dwordx2 v[8:9], v[2:3]
.LBB357_22:
	s_or_b64 exec, exec, s[2:3]
	v_cmp_le_i32_e32 vcc, v10, v6
	s_and_b64 s[2:3], vcc, s[4:5]
	s_and_saveexec_b64 s[4:5], s[2:3]
	s_cbranch_execz .LBB357_26
; %bb.23:
	v_mul_f64 v[0:1], s[12:13], v[0:1]
	s_and_b64 vcc, exec, s[0:1]
	v_lshl_add_u64 v[2:3], v[6:7], 3, v[4:5]
	s_cbranch_vccnz .LBB357_25
; %bb.24:
	flat_load_dwordx2 v[4:5], v[2:3]
	s_waitcnt vmcnt(0) lgkmcnt(0)
	v_fmac_f64_e32 v[0:1], s[10:11], v[4:5]
.LBB357_25:
	flat_store_dwordx2 v[2:3], v[0:1]
.LBB357_26:
	s_endpgm
	.section	.rodata,"a",@progbits
	.p2align	6, 0x0
	.amdhsa_kernel _ZL29rocblas_internal_gemmt_kernelIiLi16ELi32ELi8ELc67ELc78ELc76ELb0ELb0EddPKPKdPKPdEviT_T9_T10_S7_lS9_S7_lS8_T11_S7_li
		.amdhsa_group_segment_fixed_size 4096
		.amdhsa_private_segment_fixed_size 0
		.amdhsa_kernarg_size 100
		.amdhsa_user_sgpr_count 2
		.amdhsa_user_sgpr_dispatch_ptr 0
		.amdhsa_user_sgpr_queue_ptr 0
		.amdhsa_user_sgpr_kernarg_segment_ptr 1
		.amdhsa_user_sgpr_dispatch_id 0
		.amdhsa_user_sgpr_kernarg_preload_length 0
		.amdhsa_user_sgpr_kernarg_preload_offset 0
		.amdhsa_user_sgpr_private_segment_size 0
		.amdhsa_uses_dynamic_stack 0
		.amdhsa_enable_private_segment 0
		.amdhsa_system_sgpr_workgroup_id_x 1
		.amdhsa_system_sgpr_workgroup_id_y 1
		.amdhsa_system_sgpr_workgroup_id_z 1
		.amdhsa_system_sgpr_workgroup_info 0
		.amdhsa_system_vgpr_workitem_id 1
		.amdhsa_next_free_vgpr 52
		.amdhsa_next_free_sgpr 29
		.amdhsa_accum_offset 52
		.amdhsa_reserve_vcc 1
		.amdhsa_float_round_mode_32 0
		.amdhsa_float_round_mode_16_64 0
		.amdhsa_float_denorm_mode_32 3
		.amdhsa_float_denorm_mode_16_64 3
		.amdhsa_dx10_clamp 1
		.amdhsa_ieee_mode 1
		.amdhsa_fp16_overflow 0
		.amdhsa_tg_split 0
		.amdhsa_exception_fp_ieee_invalid_op 0
		.amdhsa_exception_fp_denorm_src 0
		.amdhsa_exception_fp_ieee_div_zero 0
		.amdhsa_exception_fp_ieee_overflow 0
		.amdhsa_exception_fp_ieee_underflow 0
		.amdhsa_exception_fp_ieee_inexact 0
		.amdhsa_exception_int_div_zero 0
	.end_amdhsa_kernel
	.section	.text._ZL29rocblas_internal_gemmt_kernelIiLi16ELi32ELi8ELc67ELc78ELc76ELb0ELb0EddPKPKdPKPdEviT_T9_T10_S7_lS9_S7_lS8_T11_S7_li,"axG",@progbits,_ZL29rocblas_internal_gemmt_kernelIiLi16ELi32ELi8ELc67ELc78ELc76ELb0ELb0EddPKPKdPKPdEviT_T9_T10_S7_lS9_S7_lS8_T11_S7_li,comdat
.Lfunc_end357:
	.size	_ZL29rocblas_internal_gemmt_kernelIiLi16ELi32ELi8ELc67ELc78ELc76ELb0ELb0EddPKPKdPKPdEviT_T9_T10_S7_lS9_S7_lS8_T11_S7_li, .Lfunc_end357-_ZL29rocblas_internal_gemmt_kernelIiLi16ELi32ELi8ELc67ELc78ELc76ELb0ELb0EddPKPKdPKPdEviT_T9_T10_S7_lS9_S7_lS8_T11_S7_li
                                        ; -- End function
	.set _ZL29rocblas_internal_gemmt_kernelIiLi16ELi32ELi8ELc67ELc78ELc76ELb0ELb0EddPKPKdPKPdEviT_T9_T10_S7_lS9_S7_lS8_T11_S7_li.num_vgpr, 52
	.set _ZL29rocblas_internal_gemmt_kernelIiLi16ELi32ELi8ELc67ELc78ELc76ELb0ELb0EddPKPKdPKPdEviT_T9_T10_S7_lS9_S7_lS8_T11_S7_li.num_agpr, 0
	.set _ZL29rocblas_internal_gemmt_kernelIiLi16ELi32ELi8ELc67ELc78ELc76ELb0ELb0EddPKPKdPKPdEviT_T9_T10_S7_lS9_S7_lS8_T11_S7_li.numbered_sgpr, 29
	.set _ZL29rocblas_internal_gemmt_kernelIiLi16ELi32ELi8ELc67ELc78ELc76ELb0ELb0EddPKPKdPKPdEviT_T9_T10_S7_lS9_S7_lS8_T11_S7_li.num_named_barrier, 0
	.set _ZL29rocblas_internal_gemmt_kernelIiLi16ELi32ELi8ELc67ELc78ELc76ELb0ELb0EddPKPKdPKPdEviT_T9_T10_S7_lS9_S7_lS8_T11_S7_li.private_seg_size, 0
	.set _ZL29rocblas_internal_gemmt_kernelIiLi16ELi32ELi8ELc67ELc78ELc76ELb0ELb0EddPKPKdPKPdEviT_T9_T10_S7_lS9_S7_lS8_T11_S7_li.uses_vcc, 1
	.set _ZL29rocblas_internal_gemmt_kernelIiLi16ELi32ELi8ELc67ELc78ELc76ELb0ELb0EddPKPKdPKPdEviT_T9_T10_S7_lS9_S7_lS8_T11_S7_li.uses_flat_scratch, 0
	.set _ZL29rocblas_internal_gemmt_kernelIiLi16ELi32ELi8ELc67ELc78ELc76ELb0ELb0EddPKPKdPKPdEviT_T9_T10_S7_lS9_S7_lS8_T11_S7_li.has_dyn_sized_stack, 0
	.set _ZL29rocblas_internal_gemmt_kernelIiLi16ELi32ELi8ELc67ELc78ELc76ELb0ELb0EddPKPKdPKPdEviT_T9_T10_S7_lS9_S7_lS8_T11_S7_li.has_recursion, 0
	.set _ZL29rocblas_internal_gemmt_kernelIiLi16ELi32ELi8ELc67ELc78ELc76ELb0ELb0EddPKPKdPKPdEviT_T9_T10_S7_lS9_S7_lS8_T11_S7_li.has_indirect_call, 0
	.section	.AMDGPU.csdata,"",@progbits
; Kernel info:
; codeLenInByte = 1296
; TotalNumSgprs: 35
; NumVgprs: 52
; NumAgprs: 0
; TotalNumVgprs: 52
; ScratchSize: 0
; MemoryBound: 0
; FloatMode: 240
; IeeeMode: 1
; LDSByteSize: 4096 bytes/workgroup (compile time only)
; SGPRBlocks: 4
; VGPRBlocks: 6
; NumSGPRsForWavesPerEU: 35
; NumVGPRsForWavesPerEU: 52
; AccumOffset: 52
; Occupancy: 8
; WaveLimiterHint : 1
; COMPUTE_PGM_RSRC2:SCRATCH_EN: 0
; COMPUTE_PGM_RSRC2:USER_SGPR: 2
; COMPUTE_PGM_RSRC2:TRAP_HANDLER: 0
; COMPUTE_PGM_RSRC2:TGID_X_EN: 1
; COMPUTE_PGM_RSRC2:TGID_Y_EN: 1
; COMPUTE_PGM_RSRC2:TGID_Z_EN: 1
; COMPUTE_PGM_RSRC2:TIDIG_COMP_CNT: 1
; COMPUTE_PGM_RSRC3_GFX90A:ACCUM_OFFSET: 12
; COMPUTE_PGM_RSRC3_GFX90A:TG_SPLIT: 0
	.section	.text._ZL29rocblas_internal_gemmt_kernelIiLi16ELi32ELi8ELc67ELc84ELc76ELb0ELb0EddPKPKdPKPdEviT_T9_T10_S7_lS9_S7_lS8_T11_S7_li,"axG",@progbits,_ZL29rocblas_internal_gemmt_kernelIiLi16ELi32ELi8ELc67ELc84ELc76ELb0ELb0EddPKPKdPKPdEviT_T9_T10_S7_lS9_S7_lS8_T11_S7_li,comdat
	.globl	_ZL29rocblas_internal_gemmt_kernelIiLi16ELi32ELi8ELc67ELc84ELc76ELb0ELb0EddPKPKdPKPdEviT_T9_T10_S7_lS9_S7_lS8_T11_S7_li ; -- Begin function _ZL29rocblas_internal_gemmt_kernelIiLi16ELi32ELi8ELc67ELc84ELc76ELb0ELb0EddPKPKdPKPdEviT_T9_T10_S7_lS9_S7_lS8_T11_S7_li
	.p2align	8
	.type	_ZL29rocblas_internal_gemmt_kernelIiLi16ELi32ELi8ELc67ELc84ELc76ELb0ELb0EddPKPKdPKPdEviT_T9_T10_S7_lS9_S7_lS8_T11_S7_li,@function
_ZL29rocblas_internal_gemmt_kernelIiLi16ELi32ELi8ELc67ELc84ELc76ELb0ELb0EddPKPKdPKPdEviT_T9_T10_S7_lS9_S7_lS8_T11_S7_li: ; @_ZL29rocblas_internal_gemmt_kernelIiLi16ELi32ELi8ELc67ELc84ELc76ELb0ELb0EddPKPKdPKPdEviT_T9_T10_S7_lS9_S7_lS8_T11_S7_li
; %bb.0:
	s_load_dwordx4 s[8:11], s[0:1], 0x38
	s_load_dwordx2 s[16:17], s[0:1], 0x0
	s_load_dwordx4 s[12:15], s[0:1], 0x8
	s_waitcnt lgkmcnt(0)
	v_cmp_neq_f64_e64 s[6:7], s[10:11], 1.0
	s_and_b64 vcc, exec, s[6:7]
	s_cbranch_vccnz .LBB358_2
; %bb.1:
	s_cmp_lg_u32 s17, 0
	s_cselect_b64 s[6:7], -1, 0
	v_cmp_neq_f64_e64 s[18:19], s[12:13], 0
	s_and_b64 s[6:7], s[6:7], s[18:19]
.LBB358_2:
	s_andn2_b64 vcc, exec, s[6:7]
	s_cbranch_vccnz .LBB358_26
; %bb.3:
	s_load_dwordx2 s[18:19], s[0:1], 0x48
	s_mov_b32 s5, 0
	s_lshl_b64 s[6:7], s[4:5], 3
	v_and_b32_e32 v12, 0x3ff, v0
	v_bfe_u32 v13, v0, 10, 10
	s_waitcnt lgkmcnt(0)
	s_add_u32 s18, s18, s6
	s_addc_u32 s19, s19, s7
	s_load_dwordx2 s[18:19], s[18:19], 0x0
	s_lshl_b32 s4, s2, 5
	s_lshl_b32 s20, s3, 5
	s_cmp_lt_i32 s17, 1
	v_cmp_eq_f64_e64 s[2:3], s[12:13], 0
	s_cselect_b64 s[22:23], -1, 0
	s_or_b64 s[2:3], s[2:3], s[22:23]
	v_mov_b64_e32 v[6:7], 0
	s_and_b64 vcc, exec, s[2:3]
	v_mov_b64_e32 v[4:5], 0
	v_mov_b64_e32 v[2:3], 0
	;; [unrolled: 1-line block ×3, first 2 shown]
	s_cbranch_vccnz .LBB358_10
; %bb.4:
	s_load_dword s21, s[0:1], 0x18
	s_load_dword s22, s[0:1], 0x30
	s_load_dwordx4 s[24:27], s[0:1], 0x20
	v_lshl_add_u32 v1, v13, 4, v12
	v_and_b32_e32 v3, 31, v1
	v_lshrrev_b32_e32 v15, 5, v1
	s_waitcnt lgkmcnt(0)
	s_ashr_i32 s23, s22, 31
	v_lshrrev_b32_e32 v2, 3, v1
	v_or_b32_e32 v1, s4, v3
	s_add_u32 s2, s26, s6
	v_and_b32_e32 v14, 7, v12
	s_addc_u32 s3, s27, s7
	v_cmp_gt_i32_e32 vcc, s16, v1
	v_lshlrev_b32_e32 v1, 3, v3
	s_load_dwordx2 s[26:27], s[2:3], 0x0
	s_add_u32 s2, s14, s6
	v_lshl_or_b32 v16, v15, 8, v1
	v_lshlrev_b32_e32 v1, 3, v14
	v_add_u32_e32 v0, s20, v2
	s_addc_u32 s3, s15, s7
	v_lshl_or_b32 v1, v2, 6, v1
	v_mov_b32_e32 v2, 0x800
	s_load_dwordx2 s[6:7], s[2:3], 0x0
	v_lshl_add_u32 v19, v13, 6, v2
	v_add_u32_e32 v2, s4, v3
	v_mad_i64_i32 v[2:3], s[14:15], s21, v2, 0
	s_lshl_b64 s[14:15], s[24:25], 3
	s_nop 0
	v_lshl_add_u64 v[2:3], v[2:3], 3, s[14:15]
	v_lshlrev_b32_e32 v4, 3, v15
	v_mov_b32_e32 v5, 0
	v_lshl_add_u64 v[2:3], v[2:3], 0, v[4:5]
	s_waitcnt lgkmcnt(0)
	v_lshl_add_u64 v[8:9], s[6:7], 0, v[2:3]
	v_mad_i64_i32 v[2:3], s[6:7], s22, v14, 0
	s_lshl_b64 s[6:7], s[8:9], 3
	v_add_u32_e32 v17, 0x800, v1
	v_ashrrev_i32_e32 v1, 31, v0
	v_lshl_add_u64 v[2:3], v[2:3], 3, s[6:7]
	v_cmp_gt_i32_e64 s[2:3], s16, v0
	v_lshl_add_u64 v[0:1], v[0:1], 3, v[2:3]
	v_lshlrev_b32_e32 v18, 3, v12
	v_lshl_add_u64 v[10:11], s[26:27], 0, v[0:1]
	s_lshl_b64 s[8:9], s[22:23], 6
	v_mov_b64_e32 v[0:1], 0
	v_mov_b64_e32 v[2:3], 0
	;; [unrolled: 1-line block ×4, first 2 shown]
	s_branch .LBB358_6
.LBB358_5:                              ;   in Loop: Header=BB358_6 Depth=1
	s_or_b64 exec, exec, s[6:7]
	s_waitcnt vmcnt(0) lgkmcnt(0)
	ds_write_b64 v17, v[20:21]
	s_waitcnt lgkmcnt(0)
	s_barrier
	ds_read2_b64 v[20:23], v18 offset1:16
	ds_read_b128 v[24:27], v19
	ds_read_b128 v[28:31], v19 offset:16
	ds_read_b128 v[32:35], v19 offset:32
	;; [unrolled: 1-line block ×4, first 2 shown]
	ds_read2_b64 v[44:47], v18 offset0:32 offset1:48
	s_waitcnt lgkmcnt(5)
	v_fmac_f64_e32 v[6:7], v[20:21], v[24:25]
	v_fmac_f64_e32 v[4:5], v[22:23], v[24:25]
	ds_read_b128 v[48:51], v19 offset:1040
	s_waitcnt lgkmcnt(2)
	v_fmac_f64_e32 v[2:3], v[20:21], v[40:41]
	v_fmac_f64_e32 v[0:1], v[22:23], v[40:41]
	ds_read2_b64 v[20:23], v18 offset0:64 offset1:80
	s_waitcnt lgkmcnt(2)
	v_fmac_f64_e32 v[6:7], v[44:45], v[26:27]
	v_fmac_f64_e32 v[4:5], v[46:47], v[26:27]
	ds_read2_b64 v[24:27], v18 offset0:96 offset1:112
	v_fmac_f64_e32 v[2:3], v[44:45], v[42:43]
	v_fmac_f64_e32 v[0:1], v[46:47], v[42:43]
	s_waitcnt lgkmcnt(1)
	v_fmac_f64_e32 v[6:7], v[20:21], v[28:29]
	v_fmac_f64_e32 v[4:5], v[22:23], v[28:29]
	ds_read_b128 v[40:43], v19 offset:1072
	v_fmac_f64_e32 v[2:3], v[20:21], v[48:49]
	v_fmac_f64_e32 v[0:1], v[22:23], v[48:49]
	s_waitcnt lgkmcnt(1)
	v_fmac_f64_e32 v[6:7], v[24:25], v[30:31]
	ds_read2_b64 v[20:23], v18 offset0:128 offset1:144
	v_fmac_f64_e32 v[4:5], v[26:27], v[30:31]
	v_fmac_f64_e32 v[2:3], v[24:25], v[50:51]
	;; [unrolled: 1-line block ×3, first 2 shown]
	ds_read_b128 v[24:27], v19 offset:1056
	ds_read2_b64 v[28:31], v18 offset0:160 offset1:176
	s_waitcnt lgkmcnt(2)
	v_fmac_f64_e32 v[6:7], v[20:21], v[32:33]
	v_fmac_f64_e32 v[4:5], v[22:23], v[32:33]
	s_add_i32 s5, s5, 8
	s_waitcnt lgkmcnt(1)
	v_fmac_f64_e32 v[2:3], v[20:21], v[24:25]
	v_fmac_f64_e32 v[0:1], v[22:23], v[24:25]
	ds_read2_b64 v[20:23], v18 offset0:192 offset1:208
	s_waitcnt lgkmcnt(1)
	v_fmac_f64_e32 v[2:3], v[28:29], v[26:27]
	v_fmac_f64_e32 v[0:1], v[30:31], v[26:27]
	ds_read2_b64 v[24:27], v18 offset0:224 offset1:240
	v_fmac_f64_e32 v[6:7], v[28:29], v[34:35]
	v_fmac_f64_e32 v[4:5], v[30:31], v[34:35]
	s_waitcnt lgkmcnt(1)
	v_fmac_f64_e32 v[6:7], v[20:21], v[36:37]
	v_fmac_f64_e32 v[4:5], v[22:23], v[36:37]
	;; [unrolled: 1-line block ×4, first 2 shown]
	s_waitcnt lgkmcnt(0)
	v_fmac_f64_e32 v[6:7], v[24:25], v[38:39]
	v_fmac_f64_e32 v[4:5], v[26:27], v[38:39]
	;; [unrolled: 1-line block ×4, first 2 shown]
	v_lshl_add_u64 v[8:9], v[8:9], 0, 64
	s_cmp_lt_i32 s5, s17
	v_lshl_add_u64 v[10:11], v[10:11], 0, s[8:9]
	s_barrier
	s_cbranch_scc0 .LBB358_10
.LBB358_6:                              ; =>This Inner Loop Header: Depth=1
	v_add_u32_e32 v20, s5, v15
	v_cmp_gt_i32_e64 s[6:7], s17, v20
	s_and_b64 s[14:15], vcc, s[6:7]
	v_mov_b64_e32 v[20:21], 0
	s_and_saveexec_b64 s[6:7], s[14:15]
	s_cbranch_execz .LBB358_8
; %bb.7:                                ;   in Loop: Header=BB358_6 Depth=1
	flat_load_dwordx2 v[20:21], v[8:9]
.LBB358_8:                              ;   in Loop: Header=BB358_6 Depth=1
	s_or_b64 exec, exec, s[6:7]
	s_waitcnt vmcnt(0) lgkmcnt(0)
	ds_write_b64 v16, v[20:21]
	v_add_u32_e32 v20, s5, v14
	v_cmp_gt_i32_e64 s[6:7], s17, v20
	s_and_b64 s[14:15], s[6:7], s[2:3]
	v_mov_b64_e32 v[20:21], 0
	s_and_saveexec_b64 s[6:7], s[14:15]
	s_cbranch_execz .LBB358_5
; %bb.9:                                ;   in Loop: Header=BB358_6 Depth=1
	flat_load_dwordx2 v[20:21], v[10:11]
	s_branch .LBB358_5
.LBB358_10:
	s_load_dwordx2 s[2:3], s[0:1], 0x58
	s_load_dword s14, s[0:1], 0x50
	v_add_u32_e32 v14, s20, v13
	v_add_u32_e32 v8, s4, v12
	v_cmp_le_i32_e32 vcc, v14, v8
	s_waitcnt lgkmcnt(0)
	s_lshl_b64 s[0:1], s[2:3], 3
	s_add_u32 s6, s18, s0
	s_addc_u32 s7, s19, s1
	v_mad_i64_i32 v[10:11], s[0:1], v14, s14, 0
	v_cmp_neq_f64_e64 s[0:1], s[10:11], 0
	v_cmp_gt_i32_e64 s[2:3], s16, v8
	v_lshl_add_u64 v[10:11], v[10:11], 3, s[6:7]
	v_cndmask_b32_e64 v12, 0, 1, s[0:1]
	s_and_b64 s[8:9], vcc, s[2:3]
	v_ashrrev_i32_e32 v9, 31, v8
	v_cmp_ne_u32_e64 s[0:1], 1, v12
	s_and_saveexec_b64 s[4:5], s[8:9]
	s_cbranch_execz .LBB358_14
; %bb.11:
	v_mul_f64 v[6:7], s[12:13], v[6:7]
	s_and_b64 vcc, exec, s[0:1]
	v_lshl_add_u64 v[12:13], v[8:9], 3, v[10:11]
	s_cbranch_vccnz .LBB358_13
; %bb.12:
	flat_load_dwordx2 v[16:17], v[12:13]
	s_waitcnt vmcnt(0) lgkmcnt(0)
	v_fmac_f64_e32 v[6:7], s[10:11], v[16:17]
.LBB358_13:
	flat_store_dwordx2 v[12:13], v[6:7]
.LBB358_14:
	s_or_b64 exec, exec, s[4:5]
	v_add_u32_e32 v6, 16, v8
	v_cmp_le_i32_e32 vcc, v14, v6
	v_cmp_gt_i32_e64 s[4:5], s16, v6
	s_and_b64 s[16:17], vcc, s[4:5]
	v_ashrrev_i32_e32 v7, 31, v6
	s_and_saveexec_b64 s[8:9], s[16:17]
	s_cbranch_execz .LBB358_18
; %bb.15:
	v_mul_f64 v[4:5], s[12:13], v[4:5]
	s_and_b64 vcc, exec, s[0:1]
	v_lshl_add_u64 v[10:11], v[6:7], 3, v[10:11]
	s_cbranch_vccnz .LBB358_17
; %bb.16:
	flat_load_dwordx2 v[12:13], v[10:11]
	s_waitcnt vmcnt(0) lgkmcnt(0)
	v_fmac_f64_e32 v[4:5], s[10:11], v[12:13]
.LBB358_17:
	flat_store_dwordx2 v[10:11], v[4:5]
.LBB358_18:
	s_or_b64 exec, exec, s[8:9]
	v_add_u32_e32 v10, 16, v14
	v_mad_i64_i32 v[4:5], s[8:9], v10, s14, 0
	v_cmp_le_i32_e32 vcc, v10, v8
	v_lshl_add_u64 v[4:5], v[4:5], 3, s[6:7]
	s_and_b64 s[6:7], vcc, s[2:3]
	s_and_saveexec_b64 s[2:3], s[6:7]
	s_cbranch_execz .LBB358_22
; %bb.19:
	v_mul_f64 v[2:3], s[12:13], v[2:3]
	s_and_b64 vcc, exec, s[0:1]
	v_lshl_add_u64 v[8:9], v[8:9], 3, v[4:5]
	s_cbranch_vccnz .LBB358_21
; %bb.20:
	flat_load_dwordx2 v[12:13], v[8:9]
	s_waitcnt vmcnt(0) lgkmcnt(0)
	v_fmac_f64_e32 v[2:3], s[10:11], v[12:13]
.LBB358_21:
	flat_store_dwordx2 v[8:9], v[2:3]
.LBB358_22:
	s_or_b64 exec, exec, s[2:3]
	v_cmp_le_i32_e32 vcc, v10, v6
	s_and_b64 s[2:3], vcc, s[4:5]
	s_and_saveexec_b64 s[4:5], s[2:3]
	s_cbranch_execz .LBB358_26
; %bb.23:
	v_mul_f64 v[0:1], s[12:13], v[0:1]
	s_and_b64 vcc, exec, s[0:1]
	v_lshl_add_u64 v[2:3], v[6:7], 3, v[4:5]
	s_cbranch_vccnz .LBB358_25
; %bb.24:
	flat_load_dwordx2 v[4:5], v[2:3]
	s_waitcnt vmcnt(0) lgkmcnt(0)
	v_fmac_f64_e32 v[0:1], s[10:11], v[4:5]
.LBB358_25:
	flat_store_dwordx2 v[2:3], v[0:1]
.LBB358_26:
	s_endpgm
	.section	.rodata,"a",@progbits
	.p2align	6, 0x0
	.amdhsa_kernel _ZL29rocblas_internal_gemmt_kernelIiLi16ELi32ELi8ELc67ELc84ELc76ELb0ELb0EddPKPKdPKPdEviT_T9_T10_S7_lS9_S7_lS8_T11_S7_li
		.amdhsa_group_segment_fixed_size 4096
		.amdhsa_private_segment_fixed_size 0
		.amdhsa_kernarg_size 100
		.amdhsa_user_sgpr_count 2
		.amdhsa_user_sgpr_dispatch_ptr 0
		.amdhsa_user_sgpr_queue_ptr 0
		.amdhsa_user_sgpr_kernarg_segment_ptr 1
		.amdhsa_user_sgpr_dispatch_id 0
		.amdhsa_user_sgpr_kernarg_preload_length 0
		.amdhsa_user_sgpr_kernarg_preload_offset 0
		.amdhsa_user_sgpr_private_segment_size 0
		.amdhsa_uses_dynamic_stack 0
		.amdhsa_enable_private_segment 0
		.amdhsa_system_sgpr_workgroup_id_x 1
		.amdhsa_system_sgpr_workgroup_id_y 1
		.amdhsa_system_sgpr_workgroup_id_z 1
		.amdhsa_system_sgpr_workgroup_info 0
		.amdhsa_system_vgpr_workitem_id 1
		.amdhsa_next_free_vgpr 52
		.amdhsa_next_free_sgpr 28
		.amdhsa_accum_offset 52
		.amdhsa_reserve_vcc 1
		.amdhsa_float_round_mode_32 0
		.amdhsa_float_round_mode_16_64 0
		.amdhsa_float_denorm_mode_32 3
		.amdhsa_float_denorm_mode_16_64 3
		.amdhsa_dx10_clamp 1
		.amdhsa_ieee_mode 1
		.amdhsa_fp16_overflow 0
		.amdhsa_tg_split 0
		.amdhsa_exception_fp_ieee_invalid_op 0
		.amdhsa_exception_fp_denorm_src 0
		.amdhsa_exception_fp_ieee_div_zero 0
		.amdhsa_exception_fp_ieee_overflow 0
		.amdhsa_exception_fp_ieee_underflow 0
		.amdhsa_exception_fp_ieee_inexact 0
		.amdhsa_exception_int_div_zero 0
	.end_amdhsa_kernel
	.section	.text._ZL29rocblas_internal_gemmt_kernelIiLi16ELi32ELi8ELc67ELc84ELc76ELb0ELb0EddPKPKdPKPdEviT_T9_T10_S7_lS9_S7_lS8_T11_S7_li,"axG",@progbits,_ZL29rocblas_internal_gemmt_kernelIiLi16ELi32ELi8ELc67ELc84ELc76ELb0ELb0EddPKPKdPKPdEviT_T9_T10_S7_lS9_S7_lS8_T11_S7_li,comdat
.Lfunc_end358:
	.size	_ZL29rocblas_internal_gemmt_kernelIiLi16ELi32ELi8ELc67ELc84ELc76ELb0ELb0EddPKPKdPKPdEviT_T9_T10_S7_lS9_S7_lS8_T11_S7_li, .Lfunc_end358-_ZL29rocblas_internal_gemmt_kernelIiLi16ELi32ELi8ELc67ELc84ELc76ELb0ELb0EddPKPKdPKPdEviT_T9_T10_S7_lS9_S7_lS8_T11_S7_li
                                        ; -- End function
	.set _ZL29rocblas_internal_gemmt_kernelIiLi16ELi32ELi8ELc67ELc84ELc76ELb0ELb0EddPKPKdPKPdEviT_T9_T10_S7_lS9_S7_lS8_T11_S7_li.num_vgpr, 52
	.set _ZL29rocblas_internal_gemmt_kernelIiLi16ELi32ELi8ELc67ELc84ELc76ELb0ELb0EddPKPKdPKPdEviT_T9_T10_S7_lS9_S7_lS8_T11_S7_li.num_agpr, 0
	.set _ZL29rocblas_internal_gemmt_kernelIiLi16ELi32ELi8ELc67ELc84ELc76ELb0ELb0EddPKPKdPKPdEviT_T9_T10_S7_lS9_S7_lS8_T11_S7_li.numbered_sgpr, 28
	.set _ZL29rocblas_internal_gemmt_kernelIiLi16ELi32ELi8ELc67ELc84ELc76ELb0ELb0EddPKPKdPKPdEviT_T9_T10_S7_lS9_S7_lS8_T11_S7_li.num_named_barrier, 0
	.set _ZL29rocblas_internal_gemmt_kernelIiLi16ELi32ELi8ELc67ELc84ELc76ELb0ELb0EddPKPKdPKPdEviT_T9_T10_S7_lS9_S7_lS8_T11_S7_li.private_seg_size, 0
	.set _ZL29rocblas_internal_gemmt_kernelIiLi16ELi32ELi8ELc67ELc84ELc76ELb0ELb0EddPKPKdPKPdEviT_T9_T10_S7_lS9_S7_lS8_T11_S7_li.uses_vcc, 1
	.set _ZL29rocblas_internal_gemmt_kernelIiLi16ELi32ELi8ELc67ELc84ELc76ELb0ELb0EddPKPKdPKPdEviT_T9_T10_S7_lS9_S7_lS8_T11_S7_li.uses_flat_scratch, 0
	.set _ZL29rocblas_internal_gemmt_kernelIiLi16ELi32ELi8ELc67ELc84ELc76ELb0ELb0EddPKPKdPKPdEviT_T9_T10_S7_lS9_S7_lS8_T11_S7_li.has_dyn_sized_stack, 0
	.set _ZL29rocblas_internal_gemmt_kernelIiLi16ELi32ELi8ELc67ELc84ELc76ELb0ELb0EddPKPKdPKPdEviT_T9_T10_S7_lS9_S7_lS8_T11_S7_li.has_recursion, 0
	.set _ZL29rocblas_internal_gemmt_kernelIiLi16ELi32ELi8ELc67ELc84ELc76ELb0ELb0EddPKPKdPKPdEviT_T9_T10_S7_lS9_S7_lS8_T11_S7_li.has_indirect_call, 0
	.section	.AMDGPU.csdata,"",@progbits
; Kernel info:
; codeLenInByte = 1300
; TotalNumSgprs: 34
; NumVgprs: 52
; NumAgprs: 0
; TotalNumVgprs: 52
; ScratchSize: 0
; MemoryBound: 0
; FloatMode: 240
; IeeeMode: 1
; LDSByteSize: 4096 bytes/workgroup (compile time only)
; SGPRBlocks: 4
; VGPRBlocks: 6
; NumSGPRsForWavesPerEU: 34
; NumVGPRsForWavesPerEU: 52
; AccumOffset: 52
; Occupancy: 8
; WaveLimiterHint : 1
; COMPUTE_PGM_RSRC2:SCRATCH_EN: 0
; COMPUTE_PGM_RSRC2:USER_SGPR: 2
; COMPUTE_PGM_RSRC2:TRAP_HANDLER: 0
; COMPUTE_PGM_RSRC2:TGID_X_EN: 1
; COMPUTE_PGM_RSRC2:TGID_Y_EN: 1
; COMPUTE_PGM_RSRC2:TGID_Z_EN: 1
; COMPUTE_PGM_RSRC2:TIDIG_COMP_CNT: 1
; COMPUTE_PGM_RSRC3_GFX90A:ACCUM_OFFSET: 12
; COMPUTE_PGM_RSRC3_GFX90A:TG_SPLIT: 0
	.section	.text._ZL29rocblas_internal_gemmt_kernelIiLi16ELi32ELi8ELc67ELc67ELc76ELb0ELb0EddPKPKdPKPdEviT_T9_T10_S7_lS9_S7_lS8_T11_S7_li,"axG",@progbits,_ZL29rocblas_internal_gemmt_kernelIiLi16ELi32ELi8ELc67ELc67ELc76ELb0ELb0EddPKPKdPKPdEviT_T9_T10_S7_lS9_S7_lS8_T11_S7_li,comdat
	.globl	_ZL29rocblas_internal_gemmt_kernelIiLi16ELi32ELi8ELc67ELc67ELc76ELb0ELb0EddPKPKdPKPdEviT_T9_T10_S7_lS9_S7_lS8_T11_S7_li ; -- Begin function _ZL29rocblas_internal_gemmt_kernelIiLi16ELi32ELi8ELc67ELc67ELc76ELb0ELb0EddPKPKdPKPdEviT_T9_T10_S7_lS9_S7_lS8_T11_S7_li
	.p2align	8
	.type	_ZL29rocblas_internal_gemmt_kernelIiLi16ELi32ELi8ELc67ELc67ELc76ELb0ELb0EddPKPKdPKPdEviT_T9_T10_S7_lS9_S7_lS8_T11_S7_li,@function
_ZL29rocblas_internal_gemmt_kernelIiLi16ELi32ELi8ELc67ELc67ELc76ELb0ELb0EddPKPKdPKPdEviT_T9_T10_S7_lS9_S7_lS8_T11_S7_li: ; @_ZL29rocblas_internal_gemmt_kernelIiLi16ELi32ELi8ELc67ELc67ELc76ELb0ELb0EddPKPKdPKPdEviT_T9_T10_S7_lS9_S7_lS8_T11_S7_li
; %bb.0:
	s_load_dwordx4 s[8:11], s[0:1], 0x38
	s_load_dwordx2 s[16:17], s[0:1], 0x0
	s_load_dwordx4 s[12:15], s[0:1], 0x8
	s_waitcnt lgkmcnt(0)
	v_cmp_neq_f64_e64 s[6:7], s[10:11], 1.0
	s_and_b64 vcc, exec, s[6:7]
	s_cbranch_vccnz .LBB359_2
; %bb.1:
	s_cmp_lg_u32 s17, 0
	s_cselect_b64 s[6:7], -1, 0
	v_cmp_neq_f64_e64 s[18:19], s[12:13], 0
	s_and_b64 s[6:7], s[6:7], s[18:19]
.LBB359_2:
	s_andn2_b64 vcc, exec, s[6:7]
	s_cbranch_vccnz .LBB359_26
; %bb.3:
	s_load_dwordx2 s[18:19], s[0:1], 0x48
	s_mov_b32 s5, 0
	s_lshl_b64 s[6:7], s[4:5], 3
	v_and_b32_e32 v12, 0x3ff, v0
	v_bfe_u32 v13, v0, 10, 10
	s_waitcnt lgkmcnt(0)
	s_add_u32 s18, s18, s6
	s_addc_u32 s19, s19, s7
	s_load_dwordx2 s[18:19], s[18:19], 0x0
	s_lshl_b32 s4, s2, 5
	s_lshl_b32 s20, s3, 5
	s_cmp_lt_i32 s17, 1
	v_cmp_eq_f64_e64 s[2:3], s[12:13], 0
	s_cselect_b64 s[22:23], -1, 0
	s_or_b64 s[2:3], s[2:3], s[22:23]
	v_mov_b64_e32 v[6:7], 0
	s_and_b64 vcc, exec, s[2:3]
	v_mov_b64_e32 v[4:5], 0
	v_mov_b64_e32 v[2:3], 0
	;; [unrolled: 1-line block ×3, first 2 shown]
	s_cbranch_vccnz .LBB359_10
; %bb.4:
	s_load_dword s21, s[0:1], 0x18
	s_load_dword s22, s[0:1], 0x30
	s_load_dwordx4 s[24:27], s[0:1], 0x20
	v_lshl_add_u32 v1, v13, 4, v12
	v_and_b32_e32 v3, 31, v1
	v_lshrrev_b32_e32 v15, 5, v1
	s_waitcnt lgkmcnt(0)
	s_ashr_i32 s23, s22, 31
	v_lshrrev_b32_e32 v2, 3, v1
	v_or_b32_e32 v1, s4, v3
	s_add_u32 s2, s26, s6
	v_and_b32_e32 v14, 7, v12
	s_addc_u32 s3, s27, s7
	v_cmp_gt_i32_e32 vcc, s16, v1
	v_lshlrev_b32_e32 v1, 3, v3
	s_load_dwordx2 s[26:27], s[2:3], 0x0
	s_add_u32 s2, s14, s6
	v_lshl_or_b32 v16, v15, 8, v1
	v_lshlrev_b32_e32 v1, 3, v14
	v_add_u32_e32 v0, s20, v2
	s_addc_u32 s3, s15, s7
	v_lshl_or_b32 v1, v2, 6, v1
	v_mov_b32_e32 v2, 0x800
	s_load_dwordx2 s[6:7], s[2:3], 0x0
	v_lshl_add_u32 v19, v13, 6, v2
	v_add_u32_e32 v2, s4, v3
	v_mad_i64_i32 v[2:3], s[14:15], s21, v2, 0
	s_lshl_b64 s[14:15], s[24:25], 3
	s_nop 0
	v_lshl_add_u64 v[2:3], v[2:3], 3, s[14:15]
	v_lshlrev_b32_e32 v4, 3, v15
	v_mov_b32_e32 v5, 0
	v_lshl_add_u64 v[2:3], v[2:3], 0, v[4:5]
	s_waitcnt lgkmcnt(0)
	v_lshl_add_u64 v[8:9], s[6:7], 0, v[2:3]
	v_mad_i64_i32 v[2:3], s[6:7], s22, v14, 0
	s_lshl_b64 s[6:7], s[8:9], 3
	v_add_u32_e32 v17, 0x800, v1
	v_ashrrev_i32_e32 v1, 31, v0
	v_lshl_add_u64 v[2:3], v[2:3], 3, s[6:7]
	v_cmp_gt_i32_e64 s[2:3], s16, v0
	v_lshl_add_u64 v[0:1], v[0:1], 3, v[2:3]
	v_lshlrev_b32_e32 v18, 3, v12
	v_lshl_add_u64 v[10:11], s[26:27], 0, v[0:1]
	s_lshl_b64 s[8:9], s[22:23], 6
	v_mov_b64_e32 v[0:1], 0
	v_mov_b64_e32 v[2:3], 0
	v_mov_b64_e32 v[4:5], 0
	v_mov_b64_e32 v[6:7], 0
	s_branch .LBB359_6
.LBB359_5:                              ;   in Loop: Header=BB359_6 Depth=1
	s_or_b64 exec, exec, s[6:7]
	s_waitcnt vmcnt(0) lgkmcnt(0)
	ds_write_b64 v17, v[20:21]
	s_waitcnt lgkmcnt(0)
	s_barrier
	ds_read2_b64 v[20:23], v18 offset1:16
	ds_read_b128 v[24:27], v19
	ds_read_b128 v[28:31], v19 offset:16
	ds_read_b128 v[32:35], v19 offset:32
	;; [unrolled: 1-line block ×4, first 2 shown]
	ds_read2_b64 v[44:47], v18 offset0:32 offset1:48
	s_waitcnt lgkmcnt(5)
	v_fmac_f64_e32 v[6:7], v[20:21], v[24:25]
	v_fmac_f64_e32 v[4:5], v[22:23], v[24:25]
	ds_read_b128 v[48:51], v19 offset:1040
	s_waitcnt lgkmcnt(2)
	v_fmac_f64_e32 v[2:3], v[20:21], v[40:41]
	v_fmac_f64_e32 v[0:1], v[22:23], v[40:41]
	ds_read2_b64 v[20:23], v18 offset0:64 offset1:80
	s_waitcnt lgkmcnt(2)
	v_fmac_f64_e32 v[6:7], v[44:45], v[26:27]
	v_fmac_f64_e32 v[4:5], v[46:47], v[26:27]
	ds_read2_b64 v[24:27], v18 offset0:96 offset1:112
	v_fmac_f64_e32 v[2:3], v[44:45], v[42:43]
	v_fmac_f64_e32 v[0:1], v[46:47], v[42:43]
	s_waitcnt lgkmcnt(1)
	v_fmac_f64_e32 v[6:7], v[20:21], v[28:29]
	v_fmac_f64_e32 v[4:5], v[22:23], v[28:29]
	ds_read_b128 v[40:43], v19 offset:1072
	v_fmac_f64_e32 v[2:3], v[20:21], v[48:49]
	v_fmac_f64_e32 v[0:1], v[22:23], v[48:49]
	s_waitcnt lgkmcnt(1)
	v_fmac_f64_e32 v[6:7], v[24:25], v[30:31]
	ds_read2_b64 v[20:23], v18 offset0:128 offset1:144
	v_fmac_f64_e32 v[4:5], v[26:27], v[30:31]
	v_fmac_f64_e32 v[2:3], v[24:25], v[50:51]
	;; [unrolled: 1-line block ×3, first 2 shown]
	ds_read_b128 v[24:27], v19 offset:1056
	ds_read2_b64 v[28:31], v18 offset0:160 offset1:176
	s_waitcnt lgkmcnt(2)
	v_fmac_f64_e32 v[6:7], v[20:21], v[32:33]
	v_fmac_f64_e32 v[4:5], v[22:23], v[32:33]
	s_add_i32 s5, s5, 8
	s_waitcnt lgkmcnt(1)
	v_fmac_f64_e32 v[2:3], v[20:21], v[24:25]
	v_fmac_f64_e32 v[0:1], v[22:23], v[24:25]
	ds_read2_b64 v[20:23], v18 offset0:192 offset1:208
	s_waitcnt lgkmcnt(1)
	v_fmac_f64_e32 v[2:3], v[28:29], v[26:27]
	v_fmac_f64_e32 v[0:1], v[30:31], v[26:27]
	ds_read2_b64 v[24:27], v18 offset0:224 offset1:240
	v_fmac_f64_e32 v[6:7], v[28:29], v[34:35]
	v_fmac_f64_e32 v[4:5], v[30:31], v[34:35]
	s_waitcnt lgkmcnt(1)
	v_fmac_f64_e32 v[6:7], v[20:21], v[36:37]
	v_fmac_f64_e32 v[4:5], v[22:23], v[36:37]
	;; [unrolled: 1-line block ×4, first 2 shown]
	s_waitcnt lgkmcnt(0)
	v_fmac_f64_e32 v[6:7], v[24:25], v[38:39]
	v_fmac_f64_e32 v[4:5], v[26:27], v[38:39]
	;; [unrolled: 1-line block ×4, first 2 shown]
	v_lshl_add_u64 v[8:9], v[8:9], 0, 64
	s_cmp_lt_i32 s5, s17
	v_lshl_add_u64 v[10:11], v[10:11], 0, s[8:9]
	s_barrier
	s_cbranch_scc0 .LBB359_10
.LBB359_6:                              ; =>This Inner Loop Header: Depth=1
	v_add_u32_e32 v20, s5, v15
	v_cmp_gt_i32_e64 s[6:7], s17, v20
	s_and_b64 s[14:15], vcc, s[6:7]
	v_mov_b64_e32 v[20:21], 0
	s_and_saveexec_b64 s[6:7], s[14:15]
	s_cbranch_execz .LBB359_8
; %bb.7:                                ;   in Loop: Header=BB359_6 Depth=1
	flat_load_dwordx2 v[20:21], v[8:9]
.LBB359_8:                              ;   in Loop: Header=BB359_6 Depth=1
	s_or_b64 exec, exec, s[6:7]
	s_waitcnt vmcnt(0) lgkmcnt(0)
	ds_write_b64 v16, v[20:21]
	v_add_u32_e32 v20, s5, v14
	v_cmp_gt_i32_e64 s[6:7], s17, v20
	s_and_b64 s[14:15], s[6:7], s[2:3]
	v_mov_b64_e32 v[20:21], 0
	s_and_saveexec_b64 s[6:7], s[14:15]
	s_cbranch_execz .LBB359_5
; %bb.9:                                ;   in Loop: Header=BB359_6 Depth=1
	flat_load_dwordx2 v[20:21], v[10:11]
	s_branch .LBB359_5
.LBB359_10:
	s_load_dwordx2 s[2:3], s[0:1], 0x58
	s_load_dword s14, s[0:1], 0x50
	v_add_u32_e32 v14, s20, v13
	v_add_u32_e32 v8, s4, v12
	v_cmp_le_i32_e32 vcc, v14, v8
	s_waitcnt lgkmcnt(0)
	s_lshl_b64 s[0:1], s[2:3], 3
	s_add_u32 s6, s18, s0
	s_addc_u32 s7, s19, s1
	v_mad_i64_i32 v[10:11], s[0:1], v14, s14, 0
	v_cmp_neq_f64_e64 s[0:1], s[10:11], 0
	v_cmp_gt_i32_e64 s[2:3], s16, v8
	v_lshl_add_u64 v[10:11], v[10:11], 3, s[6:7]
	v_cndmask_b32_e64 v12, 0, 1, s[0:1]
	s_and_b64 s[8:9], vcc, s[2:3]
	v_ashrrev_i32_e32 v9, 31, v8
	v_cmp_ne_u32_e64 s[0:1], 1, v12
	s_and_saveexec_b64 s[4:5], s[8:9]
	s_cbranch_execz .LBB359_14
; %bb.11:
	v_mul_f64 v[6:7], s[12:13], v[6:7]
	s_and_b64 vcc, exec, s[0:1]
	v_lshl_add_u64 v[12:13], v[8:9], 3, v[10:11]
	s_cbranch_vccnz .LBB359_13
; %bb.12:
	flat_load_dwordx2 v[16:17], v[12:13]
	s_waitcnt vmcnt(0) lgkmcnt(0)
	v_fmac_f64_e32 v[6:7], s[10:11], v[16:17]
.LBB359_13:
	flat_store_dwordx2 v[12:13], v[6:7]
.LBB359_14:
	s_or_b64 exec, exec, s[4:5]
	v_add_u32_e32 v6, 16, v8
	v_cmp_le_i32_e32 vcc, v14, v6
	v_cmp_gt_i32_e64 s[4:5], s16, v6
	s_and_b64 s[16:17], vcc, s[4:5]
	v_ashrrev_i32_e32 v7, 31, v6
	s_and_saveexec_b64 s[8:9], s[16:17]
	s_cbranch_execz .LBB359_18
; %bb.15:
	v_mul_f64 v[4:5], s[12:13], v[4:5]
	s_and_b64 vcc, exec, s[0:1]
	v_lshl_add_u64 v[10:11], v[6:7], 3, v[10:11]
	s_cbranch_vccnz .LBB359_17
; %bb.16:
	flat_load_dwordx2 v[12:13], v[10:11]
	s_waitcnt vmcnt(0) lgkmcnt(0)
	v_fmac_f64_e32 v[4:5], s[10:11], v[12:13]
.LBB359_17:
	flat_store_dwordx2 v[10:11], v[4:5]
.LBB359_18:
	s_or_b64 exec, exec, s[8:9]
	v_add_u32_e32 v10, 16, v14
	v_mad_i64_i32 v[4:5], s[8:9], v10, s14, 0
	v_cmp_le_i32_e32 vcc, v10, v8
	v_lshl_add_u64 v[4:5], v[4:5], 3, s[6:7]
	s_and_b64 s[6:7], vcc, s[2:3]
	s_and_saveexec_b64 s[2:3], s[6:7]
	s_cbranch_execz .LBB359_22
; %bb.19:
	v_mul_f64 v[2:3], s[12:13], v[2:3]
	s_and_b64 vcc, exec, s[0:1]
	v_lshl_add_u64 v[8:9], v[8:9], 3, v[4:5]
	s_cbranch_vccnz .LBB359_21
; %bb.20:
	flat_load_dwordx2 v[12:13], v[8:9]
	s_waitcnt vmcnt(0) lgkmcnt(0)
	v_fmac_f64_e32 v[2:3], s[10:11], v[12:13]
.LBB359_21:
	flat_store_dwordx2 v[8:9], v[2:3]
.LBB359_22:
	s_or_b64 exec, exec, s[2:3]
	v_cmp_le_i32_e32 vcc, v10, v6
	s_and_b64 s[2:3], vcc, s[4:5]
	s_and_saveexec_b64 s[4:5], s[2:3]
	s_cbranch_execz .LBB359_26
; %bb.23:
	v_mul_f64 v[0:1], s[12:13], v[0:1]
	s_and_b64 vcc, exec, s[0:1]
	v_lshl_add_u64 v[2:3], v[6:7], 3, v[4:5]
	s_cbranch_vccnz .LBB359_25
; %bb.24:
	flat_load_dwordx2 v[4:5], v[2:3]
	s_waitcnt vmcnt(0) lgkmcnt(0)
	v_fmac_f64_e32 v[0:1], s[10:11], v[4:5]
.LBB359_25:
	flat_store_dwordx2 v[2:3], v[0:1]
.LBB359_26:
	s_endpgm
	.section	.rodata,"a",@progbits
	.p2align	6, 0x0
	.amdhsa_kernel _ZL29rocblas_internal_gemmt_kernelIiLi16ELi32ELi8ELc67ELc67ELc76ELb0ELb0EddPKPKdPKPdEviT_T9_T10_S7_lS9_S7_lS8_T11_S7_li
		.amdhsa_group_segment_fixed_size 4096
		.amdhsa_private_segment_fixed_size 0
		.amdhsa_kernarg_size 100
		.amdhsa_user_sgpr_count 2
		.amdhsa_user_sgpr_dispatch_ptr 0
		.amdhsa_user_sgpr_queue_ptr 0
		.amdhsa_user_sgpr_kernarg_segment_ptr 1
		.amdhsa_user_sgpr_dispatch_id 0
		.amdhsa_user_sgpr_kernarg_preload_length 0
		.amdhsa_user_sgpr_kernarg_preload_offset 0
		.amdhsa_user_sgpr_private_segment_size 0
		.amdhsa_uses_dynamic_stack 0
		.amdhsa_enable_private_segment 0
		.amdhsa_system_sgpr_workgroup_id_x 1
		.amdhsa_system_sgpr_workgroup_id_y 1
		.amdhsa_system_sgpr_workgroup_id_z 1
		.amdhsa_system_sgpr_workgroup_info 0
		.amdhsa_system_vgpr_workitem_id 1
		.amdhsa_next_free_vgpr 52
		.amdhsa_next_free_sgpr 28
		.amdhsa_accum_offset 52
		.amdhsa_reserve_vcc 1
		.amdhsa_float_round_mode_32 0
		.amdhsa_float_round_mode_16_64 0
		.amdhsa_float_denorm_mode_32 3
		.amdhsa_float_denorm_mode_16_64 3
		.amdhsa_dx10_clamp 1
		.amdhsa_ieee_mode 1
		.amdhsa_fp16_overflow 0
		.amdhsa_tg_split 0
		.amdhsa_exception_fp_ieee_invalid_op 0
		.amdhsa_exception_fp_denorm_src 0
		.amdhsa_exception_fp_ieee_div_zero 0
		.amdhsa_exception_fp_ieee_overflow 0
		.amdhsa_exception_fp_ieee_underflow 0
		.amdhsa_exception_fp_ieee_inexact 0
		.amdhsa_exception_int_div_zero 0
	.end_amdhsa_kernel
	.section	.text._ZL29rocblas_internal_gemmt_kernelIiLi16ELi32ELi8ELc67ELc67ELc76ELb0ELb0EddPKPKdPKPdEviT_T9_T10_S7_lS9_S7_lS8_T11_S7_li,"axG",@progbits,_ZL29rocblas_internal_gemmt_kernelIiLi16ELi32ELi8ELc67ELc67ELc76ELb0ELb0EddPKPKdPKPdEviT_T9_T10_S7_lS9_S7_lS8_T11_S7_li,comdat
.Lfunc_end359:
	.size	_ZL29rocblas_internal_gemmt_kernelIiLi16ELi32ELi8ELc67ELc67ELc76ELb0ELb0EddPKPKdPKPdEviT_T9_T10_S7_lS9_S7_lS8_T11_S7_li, .Lfunc_end359-_ZL29rocblas_internal_gemmt_kernelIiLi16ELi32ELi8ELc67ELc67ELc76ELb0ELb0EddPKPKdPKPdEviT_T9_T10_S7_lS9_S7_lS8_T11_S7_li
                                        ; -- End function
	.set _ZL29rocblas_internal_gemmt_kernelIiLi16ELi32ELi8ELc67ELc67ELc76ELb0ELb0EddPKPKdPKPdEviT_T9_T10_S7_lS9_S7_lS8_T11_S7_li.num_vgpr, 52
	.set _ZL29rocblas_internal_gemmt_kernelIiLi16ELi32ELi8ELc67ELc67ELc76ELb0ELb0EddPKPKdPKPdEviT_T9_T10_S7_lS9_S7_lS8_T11_S7_li.num_agpr, 0
	.set _ZL29rocblas_internal_gemmt_kernelIiLi16ELi32ELi8ELc67ELc67ELc76ELb0ELb0EddPKPKdPKPdEviT_T9_T10_S7_lS9_S7_lS8_T11_S7_li.numbered_sgpr, 28
	.set _ZL29rocblas_internal_gemmt_kernelIiLi16ELi32ELi8ELc67ELc67ELc76ELb0ELb0EddPKPKdPKPdEviT_T9_T10_S7_lS9_S7_lS8_T11_S7_li.num_named_barrier, 0
	.set _ZL29rocblas_internal_gemmt_kernelIiLi16ELi32ELi8ELc67ELc67ELc76ELb0ELb0EddPKPKdPKPdEviT_T9_T10_S7_lS9_S7_lS8_T11_S7_li.private_seg_size, 0
	.set _ZL29rocblas_internal_gemmt_kernelIiLi16ELi32ELi8ELc67ELc67ELc76ELb0ELb0EddPKPKdPKPdEviT_T9_T10_S7_lS9_S7_lS8_T11_S7_li.uses_vcc, 1
	.set _ZL29rocblas_internal_gemmt_kernelIiLi16ELi32ELi8ELc67ELc67ELc76ELb0ELb0EddPKPKdPKPdEviT_T9_T10_S7_lS9_S7_lS8_T11_S7_li.uses_flat_scratch, 0
	.set _ZL29rocblas_internal_gemmt_kernelIiLi16ELi32ELi8ELc67ELc67ELc76ELb0ELb0EddPKPKdPKPdEviT_T9_T10_S7_lS9_S7_lS8_T11_S7_li.has_dyn_sized_stack, 0
	.set _ZL29rocblas_internal_gemmt_kernelIiLi16ELi32ELi8ELc67ELc67ELc76ELb0ELb0EddPKPKdPKPdEviT_T9_T10_S7_lS9_S7_lS8_T11_S7_li.has_recursion, 0
	.set _ZL29rocblas_internal_gemmt_kernelIiLi16ELi32ELi8ELc67ELc67ELc76ELb0ELb0EddPKPKdPKPdEviT_T9_T10_S7_lS9_S7_lS8_T11_S7_li.has_indirect_call, 0
	.section	.AMDGPU.csdata,"",@progbits
; Kernel info:
; codeLenInByte = 1300
; TotalNumSgprs: 34
; NumVgprs: 52
; NumAgprs: 0
; TotalNumVgprs: 52
; ScratchSize: 0
; MemoryBound: 0
; FloatMode: 240
; IeeeMode: 1
; LDSByteSize: 4096 bytes/workgroup (compile time only)
; SGPRBlocks: 4
; VGPRBlocks: 6
; NumSGPRsForWavesPerEU: 34
; NumVGPRsForWavesPerEU: 52
; AccumOffset: 52
; Occupancy: 8
; WaveLimiterHint : 1
; COMPUTE_PGM_RSRC2:SCRATCH_EN: 0
; COMPUTE_PGM_RSRC2:USER_SGPR: 2
; COMPUTE_PGM_RSRC2:TRAP_HANDLER: 0
; COMPUTE_PGM_RSRC2:TGID_X_EN: 1
; COMPUTE_PGM_RSRC2:TGID_Y_EN: 1
; COMPUTE_PGM_RSRC2:TGID_Z_EN: 1
; COMPUTE_PGM_RSRC2:TIDIG_COMP_CNT: 1
; COMPUTE_PGM_RSRC3_GFX90A:ACCUM_OFFSET: 12
; COMPUTE_PGM_RSRC3_GFX90A:TG_SPLIT: 0
	.section	.text._ZL29rocblas_internal_gemmt_kernelIiLi16ELi32ELi8ELc78ELc78ELc85ELb0ELb0E19rocblas_complex_numIfEPKS1_PKS3_PKPS1_EviT_T9_T10_S9_lSB_S9_lSA_T11_S9_li,"axG",@progbits,_ZL29rocblas_internal_gemmt_kernelIiLi16ELi32ELi8ELc78ELc78ELc85ELb0ELb0E19rocblas_complex_numIfEPKS1_PKS3_PKPS1_EviT_T9_T10_S9_lSB_S9_lSA_T11_S9_li,comdat
	.globl	_ZL29rocblas_internal_gemmt_kernelIiLi16ELi32ELi8ELc78ELc78ELc85ELb0ELb0E19rocblas_complex_numIfEPKS1_PKS3_PKPS1_EviT_T9_T10_S9_lSB_S9_lSA_T11_S9_li ; -- Begin function _ZL29rocblas_internal_gemmt_kernelIiLi16ELi32ELi8ELc78ELc78ELc85ELb0ELb0E19rocblas_complex_numIfEPKS1_PKS3_PKPS1_EviT_T9_T10_S9_lSB_S9_lSA_T11_S9_li
	.p2align	8
	.type	_ZL29rocblas_internal_gemmt_kernelIiLi16ELi32ELi8ELc78ELc78ELc85ELb0ELb0E19rocblas_complex_numIfEPKS1_PKS3_PKPS1_EviT_T9_T10_S9_lSB_S9_lSA_T11_S9_li,@function
_ZL29rocblas_internal_gemmt_kernelIiLi16ELi32ELi8ELc78ELc78ELc85ELb0ELb0E19rocblas_complex_numIfEPKS1_PKS3_PKPS1_EviT_T9_T10_S9_lSB_S9_lSA_T11_S9_li: ; @_ZL29rocblas_internal_gemmt_kernelIiLi16ELi32ELi8ELc78ELc78ELc85ELb0ELb0E19rocblas_complex_numIfEPKS1_PKS3_PKPS1_EviT_T9_T10_S9_lSB_S9_lSA_T11_S9_li
; %bb.0:
	s_load_dwordx4 s[8:11], s[0:1], 0x38
	s_load_dwordx4 s[12:15], s[0:1], 0x8
	s_waitcnt lgkmcnt(0)
	s_load_dwordx2 s[16:17], s[10:11], 0x0
	s_load_dwordx2 s[20:21], s[0:1], 0x0
	;; [unrolled: 1-line block ×3, first 2 shown]
	s_waitcnt lgkmcnt(0)
	s_and_b32 s5, s17, 0x7fffffff
	s_cmp_eq_u32 s5, 0
	v_cmp_eq_f32_e64 s[6:7], s16, 1.0
	s_cselect_b64 s[10:11], -1, 0
	s_and_b64 s[6:7], s[6:7], s[10:11]
	s_and_b64 vcc, exec, s[6:7]
	s_cbranch_vccnz .LBB360_2
; %bb.1:
	s_mov_b64 s[6:7], -1
	s_cbranch_execz .LBB360_3
	s_branch .LBB360_4
.LBB360_2:
	s_mov_b64 s[6:7], 0
.LBB360_3:
	s_cmp_lg_u32 s21, 0
	v_cmp_neq_f32_e64 s[12:13], s18, 0
	v_cmp_neq_f32_e64 s[22:23], s19, 0
	s_cselect_b64 s[6:7], -1, 0
	s_or_b64 s[12:13], s[12:13], s[22:23]
	s_and_b64 s[6:7], s[6:7], s[12:13]
.LBB360_4:
	s_andn2_b64 vcc, exec, s[6:7]
	s_cbranch_vccnz .LBB360_28
; %bb.5:
	s_load_dwordx2 s[12:13], s[0:1], 0x48
	s_mov_b32 s5, 0
	s_lshl_b64 s[6:7], s[4:5], 3
	v_cmp_eq_f32_e64 s[24:25], s19, 0
	v_and_b32_e32 v13, 0x3ff, v0
	s_waitcnt lgkmcnt(0)
	s_add_u32 s12, s12, s6
	s_addc_u32 s13, s13, s7
	s_lshl_b32 s4, s2, 5
	s_lshl_b32 s22, s3, 5
	v_cmp_eq_f32_e64 s[2:3], s18, 0
	s_load_dwordx2 s[12:13], s[12:13], 0x0
	s_and_b64 s[2:3], s[2:3], s[24:25]
	s_cmp_lt_i32 s21, 1
	s_cselect_b64 s[24:25], -1, 0
	s_or_b64 s[2:3], s[2:3], s[24:25]
	v_bfe_u32 v15, v0, 10, 10
	v_mov_b32_e32 v24, 0
	s_and_b64 vcc, exec, s[2:3]
	v_mov_b32_e32 v26, 0
	v_mov_b32_e32 v20, 0
	;; [unrolled: 1-line block ×7, first 2 shown]
	s_cbranch_vccnz .LBB360_12
; %bb.6:
	s_load_dword s28, s[0:1], 0x18
	s_load_dwordx4 s[24:27], s[0:1], 0x20
	s_load_dword s23, s[0:1], 0x30
	v_lshl_add_u32 v0, v15, 4, v13
	v_lshrrev_b32_e32 v19, 5, v0
	v_and_b32_e32 v4, 31, v0
	s_waitcnt lgkmcnt(0)
	s_ashr_i32 s29, s28, 31
	s_add_u32 s2, s26, s6
	s_addc_u32 s3, s27, s7
	s_load_dwordx2 s[26:27], s[2:3], 0x0
	s_add_u32 s2, s14, s6
	s_addc_u32 s3, s15, s7
	s_load_dwordx2 s[6:7], s[2:3], 0x0
	v_lshrrev_b32_e32 v1, 3, v0
	v_or_b32_e32 v0, s4, v4
	v_mad_i64_i32 v[2:3], s[14:15], v19, s28, 0
	v_cmp_gt_i32_e32 vcc, s20, v0
	v_lshlrev_b32_e32 v0, 3, v4
	s_lshl_b64 s[14:15], s[24:25], 3
	v_add_u32_e32 v4, s4, v4
	v_and_b32_e32 v17, 7, v13
	v_lshl_add_u64 v[2:3], v[2:3], 3, s[14:15]
	v_ashrrev_i32_e32 v5, 31, v4
	v_add_u32_e32 v6, s22, v1
	v_lshl_or_b32 v21, v19, 8, v0
	v_lshlrev_b32_e32 v0, 3, v17
	v_lshl_add_u64 v[2:3], v[4:5], 3, v[2:3]
	v_lshl_or_b32 v1, v1, 6, v0
	s_waitcnt lgkmcnt(0)
	v_lshl_add_u64 v[8:9], s[6:7], 0, v[2:3]
	v_mad_i64_i32 v[2:3], s[6:7], s23, v6, 0
	v_add_u32_e32 v23, 0x800, v1
	v_mov_b32_e32 v1, 0x800
	s_lshl_b64 s[6:7], s[8:9], 3
	v_lshl_add_u32 v27, v15, 6, v1
	v_lshl_add_u64 v[2:3], v[2:3], 3, s[6:7]
	v_mov_b32_e32 v1, 0
	v_lshl_add_u64 v[2:3], v[2:3], 0, v[0:1]
	v_cmp_gt_i32_e64 s[2:3], s20, v6
	v_lshlrev_b32_e32 v25, 3, v13
	s_lshl_b64 s[14:15], s[28:29], 6
	v_lshl_add_u64 v[10:11], s[26:27], 0, v[2:3]
	v_mov_b32_e32 v14, v1
	v_mov_b32_e32 v12, v1
	;; [unrolled: 1-line block ×8, first 2 shown]
	s_branch .LBB360_8
.LBB360_7:                              ;   in Loop: Header=BB360_8 Depth=1
	s_or_b64 exec, exec, s[6:7]
	s_waitcnt vmcnt(0) lgkmcnt(0)
	ds_write_b64 v23, v[0:1]
	s_waitcnt lgkmcnt(0)
	s_barrier
	ds_read2_b64 v[28:31], v25 offset1:16
	ds_read_b128 v[32:35], v27
	ds_read_b128 v[36:39], v27 offset:16
	ds_read_b128 v[4:7], v27 offset:32
	;; [unrolled: 1-line block ×3, first 2 shown]
	ds_read2_b64 v[48:51], v25 offset0:32 offset1:48
	s_waitcnt lgkmcnt(4)
	v_mul_f32_e32 v40, v33, v29
	v_fma_f32 v40, v32, v28, -v40
	v_mul_f32_e32 v41, v32, v29
	v_fmac_f32_e32 v41, v33, v28
	v_add_f32_e32 v24, v24, v40
	v_mul_f32_e32 v40, v33, v31
	v_add_f32_e32 v26, v26, v41
	v_fma_f32 v44, v32, v30, -v40
	ds_read_b128 v[40:43], v27 offset:1024
	v_mul_f32_e32 v32, v32, v31
	v_fmac_f32_e32 v32, v33, v30
	v_add_f32_e32 v20, v20, v44
	v_add_f32_e32 v22, v22, v32
	ds_read_b128 v[44:47], v27 offset:1040
	s_waitcnt lgkmcnt(1)
	v_mul_f32_e32 v32, v41, v29
	v_mul_f32_e32 v29, v40, v29
	v_fma_f32 v32, v40, v28, -v32
	v_fmac_f32_e32 v29, v41, v28
	v_mul_f32_e32 v28, v41, v31
	v_add_f32_e32 v18, v18, v29
	v_fma_f32 v28, v40, v30, -v28
	v_mul_f32_e32 v29, v40, v31
	v_fmac_f32_e32 v29, v41, v30
	v_add_f32_e32 v12, v12, v28
	v_mul_f32_e32 v28, v35, v49
	v_add_f32_e32 v14, v14, v29
	v_fma_f32 v28, v34, v48, -v28
	v_mul_f32_e32 v29, v34, v49
	v_fmac_f32_e32 v29, v35, v48
	v_add_f32_e32 v24, v24, v28
	;; [unrolled: 6-line block ×3, first 2 shown]
	v_mul_f32_e32 v28, v43, v49
	v_add_f32_e32 v16, v16, v32
	v_add_f32_e32 v22, v22, v29
	v_fma_f32 v28, v42, v48, -v28
	v_mul_f32_e32 v29, v42, v49
	v_fmac_f32_e32 v29, v43, v48
	v_add_f32_e32 v16, v16, v28
	v_mul_f32_e32 v28, v43, v51
	v_add_f32_e32 v18, v18, v29
	v_fma_f32 v32, v42, v50, -v28
	ds_read2_b64 v[28:31], v25 offset0:64 offset1:80
	v_mul_f32_e32 v33, v42, v51
	v_add_f32_e32 v12, v12, v32
	v_fmac_f32_e32 v33, v43, v50
	v_add_f32_e32 v14, v14, v33
	s_waitcnt lgkmcnt(0)
	v_mul_f32_e32 v32, v37, v29
	v_fma_f32 v32, v36, v28, -v32
	v_mul_f32_e32 v33, v36, v29
	v_add_f32_e32 v24, v24, v32
	v_mul_f32_e32 v32, v37, v31
	v_fmac_f32_e32 v33, v37, v28
	v_fma_f32 v32, v36, v30, -v32
	v_add_f32_e32 v26, v26, v33
	v_mul_f32_e32 v33, v36, v31
	v_add_f32_e32 v20, v20, v32
	v_mul_f32_e32 v32, v45, v29
	v_fmac_f32_e32 v33, v37, v30
	v_fma_f32 v32, v44, v28, -v32
	v_add_f32_e32 v22, v22, v33
	v_add_f32_e32 v16, v16, v32
	ds_read2_b64 v[32:35], v25 offset0:96 offset1:112
	v_mul_f32_e32 v29, v44, v29
	v_fmac_f32_e32 v29, v45, v28
	v_mul_f32_e32 v28, v45, v31
	v_add_f32_e32 v18, v18, v29
	v_fma_f32 v28, v44, v30, -v28
	v_mul_f32_e32 v29, v44, v31
	v_fmac_f32_e32 v29, v45, v30
	v_add_f32_e32 v12, v12, v28
	s_waitcnt lgkmcnt(0)
	v_mul_f32_e32 v28, v39, v33
	v_add_f32_e32 v14, v14, v29
	v_fma_f32 v28, v38, v32, -v28
	v_mul_f32_e32 v29, v38, v33
	v_fmac_f32_e32 v29, v39, v32
	v_add_f32_e32 v24, v24, v28
	v_mul_f32_e32 v28, v39, v35
	v_add_f32_e32 v26, v26, v29
	v_fma_f32 v28, v38, v34, -v28
	v_mul_f32_e32 v29, v38, v35
	v_fmac_f32_e32 v29, v39, v34
	v_add_f32_e32 v20, v20, v28
	;; [unrolled: 6-line block ×3, first 2 shown]
	v_mul_f32_e32 v28, v47, v35
	v_add_f32_e32 v18, v18, v29
	v_fma_f32 v32, v46, v34, -v28
	ds_read2_b64 v[28:31], v25 offset0:128 offset1:144
	v_mul_f32_e32 v33, v46, v35
	v_fmac_f32_e32 v33, v47, v34
	v_add_f32_e32 v12, v12, v32
	v_add_f32_e32 v14, v14, v33
	s_waitcnt lgkmcnt(0)
	v_mul_f32_e32 v32, v5, v29
	v_fma_f32 v32, v4, v28, -v32
	v_mul_f32_e32 v33, v4, v29
	v_fmac_f32_e32 v33, v5, v28
	v_add_f32_e32 v24, v24, v32
	v_mul_f32_e32 v32, v5, v31
	v_add_f32_e32 v26, v26, v33
	v_fma_f32 v36, v4, v30, -v32
	ds_read_b128 v[32:35], v27 offset:1056
	v_mul_f32_e32 v4, v4, v31
	ds_read2_b64 v[40:43], v25 offset0:160 offset1:176
	v_fmac_f32_e32 v4, v5, v30
	v_add_f32_e32 v5, v20, v36
	ds_read_b128 v[36:39], v27 offset:1072
	s_waitcnt lgkmcnt(2)
	v_mul_f32_e32 v20, v33, v29
	v_fma_f32 v20, v32, v28, -v20
	v_add_f32_e32 v16, v16, v20
	v_mul_f32_e32 v20, v33, v31
	v_add_f32_e32 v4, v22, v4
	v_mul_f32_e32 v22, v32, v29
	v_fma_f32 v20, v32, v30, -v20
	v_fmac_f32_e32 v22, v33, v28
	v_add_f32_e32 v12, v12, v20
	s_waitcnt lgkmcnt(1)
	v_mul_f32_e32 v20, v7, v41
	v_add_f32_e32 v18, v18, v22
	v_mul_f32_e32 v22, v32, v31
	v_fma_f32 v20, v6, v40, -v20
	v_fmac_f32_e32 v22, v33, v30
	v_add_f32_e32 v20, v24, v20
	v_mul_f32_e32 v24, v7, v43
	v_add_f32_e32 v14, v14, v22
	v_mul_f32_e32 v22, v6, v41
	v_fma_f32 v24, v6, v42, -v24
	v_mul_f32_e32 v6, v6, v43
	v_fmac_f32_e32 v22, v7, v40
	v_fmac_f32_e32 v6, v7, v42
	v_add_f32_e32 v22, v26, v22
	v_add_f32_e32 v26, v4, v6
	v_mul_f32_e32 v4, v35, v41
	v_add_f32_e32 v24, v5, v24
	v_fma_f32 v4, v34, v40, -v4
	v_mul_f32_e32 v5, v34, v41
	v_fmac_f32_e32 v5, v35, v40
	v_add_f32_e32 v16, v16, v4
	v_mul_f32_e32 v4, v35, v43
	v_add_f32_e32 v18, v18, v5
	v_fma_f32 v28, v34, v42, -v4
	ds_read2_b64 v[4:7], v25 offset0:192 offset1:208
	v_mul_f32_e32 v29, v34, v43
	v_add_f32_e32 v12, v12, v28
	v_fmac_f32_e32 v29, v35, v42
	v_add_f32_e32 v14, v14, v29
	s_waitcnt lgkmcnt(0)
	v_mul_f32_e32 v28, v1, v5
	v_fma_f32 v28, v0, v4, -v28
	v_mul_f32_e32 v29, v0, v5
	v_add_f32_e32 v20, v20, v28
	v_mul_f32_e32 v28, v1, v7
	v_fmac_f32_e32 v29, v1, v4
	v_fma_f32 v28, v0, v6, -v28
	v_mul_f32_e32 v0, v0, v7
	v_add_f32_e32 v22, v22, v29
	v_fmac_f32_e32 v0, v1, v6
	v_add_f32_e32 v1, v24, v28
	ds_read2_b64 v[28:31], v25 offset0:224 offset1:240
	v_mul_f32_e32 v24, v37, v5
	v_fma_f32 v24, v36, v4, -v24
	v_mul_f32_e32 v5, v36, v5
	v_fmac_f32_e32 v5, v37, v4
	v_add_f32_e32 v4, v16, v24
	v_mul_f32_e32 v16, v37, v7
	v_fma_f32 v16, v36, v6, -v16
	v_mul_f32_e32 v7, v36, v7
	v_fmac_f32_e32 v7, v37, v6
	v_add_f32_e32 v6, v12, v16
	s_waitcnt lgkmcnt(0)
	v_mul_f32_e32 v12, v3, v29
	v_fma_f32 v12, v2, v28, -v12
	v_add_f32_e32 v24, v20, v12
	v_mul_f32_e32 v12, v3, v31
	v_add_f32_e32 v7, v14, v7
	v_mul_f32_e32 v14, v2, v29
	v_fma_f32 v12, v2, v30, -v12
	v_mul_f32_e32 v2, v2, v31
	v_add_f32_e32 v0, v26, v0
	v_fmac_f32_e32 v14, v3, v28
	v_fmac_f32_e32 v2, v3, v30
	v_add_f32_e32 v26, v22, v14
	v_add_f32_e32 v20, v1, v12
	;; [unrolled: 1-line block ×3, first 2 shown]
	v_mul_f32_e32 v0, v39, v29
	v_mul_f32_e32 v1, v38, v29
	v_add_f32_e32 v5, v18, v5
	v_fma_f32 v0, v38, v28, -v0
	v_fmac_f32_e32 v1, v39, v28
	v_add_f32_e32 v16, v4, v0
	v_add_f32_e32 v18, v5, v1
	v_mul_f32_e32 v0, v39, v31
	v_mul_f32_e32 v1, v38, v31
	v_fma_f32 v0, v38, v30, -v0
	v_fmac_f32_e32 v1, v39, v30
	s_add_i32 s5, s5, 8
	v_add_f32_e32 v12, v6, v0
	v_add_f32_e32 v14, v7, v1
	v_lshl_add_u64 v[8:9], v[8:9], 0, s[14:15]
	s_cmp_lt_i32 s5, s21
	v_lshl_add_u64 v[10:11], v[10:11], 0, 64
	s_barrier
	s_cbranch_scc0 .LBB360_12
.LBB360_8:                              ; =>This Inner Loop Header: Depth=1
	v_add_u32_e32 v0, s5, v19
	v_cmp_gt_i32_e64 s[6:7], s21, v0
	s_and_b64 s[8:9], vcc, s[6:7]
	v_mov_b32_e32 v0, 0
	v_mov_b32_e32 v1, 0
	s_and_saveexec_b64 s[6:7], s[8:9]
	s_cbranch_execz .LBB360_10
; %bb.9:                                ;   in Loop: Header=BB360_8 Depth=1
	flat_load_dwordx2 v[0:1], v[8:9]
.LBB360_10:                             ;   in Loop: Header=BB360_8 Depth=1
	s_or_b64 exec, exec, s[6:7]
	s_waitcnt vmcnt(0) lgkmcnt(0)
	ds_write_b64 v21, v[0:1]
	v_add_u32_e32 v0, s5, v17
	v_cmp_gt_i32_e64 s[6:7], s21, v0
	s_and_b64 s[8:9], s[6:7], s[2:3]
	v_mov_b32_e32 v0, 0
	v_mov_b32_e32 v1, 0
	s_and_saveexec_b64 s[6:7], s[8:9]
	s_cbranch_execz .LBB360_7
; %bb.11:                               ;   in Loop: Header=BB360_8 Depth=1
	flat_load_dwordx2 v[0:1], v[10:11]
	s_branch .LBB360_7
.LBB360_12:
	s_load_dwordx2 s[2:3], s[0:1], 0x58
	s_load_dword s8, s[0:1], 0x50
	v_add_u32_e32 v0, s4, v13
	v_add_u32_e32 v10, s22, v15
	v_cmp_neq_f32_e64 s[0:1], s16, 0
	s_waitcnt lgkmcnt(0)
	s_lshl_b64 s[2:3], s[2:3], 3
	s_add_u32 s4, s12, s2
	s_addc_u32 s5, s13, s3
	s_xor_b64 s[6:7], s[10:11], -1
	v_mad_i64_i32 v[2:3], s[10:11], v10, s8, 0
	s_or_b64 s[0:1], s[0:1], s[6:7]
	v_cmp_gt_i32_e64 s[2:3], s20, v10
	v_lshl_add_u64 v[4:5], v[2:3], 3, s[4:5]
	v_cmp_le_i32_e32 vcc, v0, v10
	v_cndmask_b32_e64 v2, 0, 1, s[0:1]
	s_and_b64 s[10:11], s[2:3], vcc
	v_ashrrev_i32_e32 v1, 31, v0
	v_cmp_ne_u32_e64 s[0:1], 1, v2
	s_and_saveexec_b64 s[6:7], s[10:11]
	s_cbranch_execz .LBB360_16
; %bb.13:
	v_pk_mul_f32 v[6:7], v[26:27], s[18:19] op_sel:[0,1] op_sel_hi:[0,0]
	v_pk_fma_f32 v[2:3], v[24:25], s[18:19], v[6:7] op_sel_hi:[0,1,1] neg_lo:[0,0,1] neg_hi:[0,0,1]
	v_pk_fma_f32 v[8:9], v[24:25], s[18:19], v[6:7] op_sel_hi:[0,1,1]
	s_and_b64 vcc, exec, s[0:1]
	v_lshl_add_u64 v[6:7], v[0:1], 3, v[4:5]
	s_cbranch_vccnz .LBB360_15
; %bb.14:
	flat_load_dwordx2 v[24:25], v[6:7]
	s_mov_b32 s10, s17
	v_mov_b32_e32 v3, v9
	s_waitcnt vmcnt(0) lgkmcnt(0)
	v_pk_mul_f32 v[8:9], v[24:25], s[10:11] op_sel:[1,0] op_sel_hi:[0,0]
	v_pk_fma_f32 v[26:27], v[24:25], s[16:17], v[8:9] neg_lo:[0,0,1] neg_hi:[0,0,1]
	v_pk_fma_f32 v[8:9], v[24:25], s[16:17], v[8:9] op_sel_hi:[1,0,1]
	s_nop 0
	v_mov_b32_e32 v27, v9
	v_pk_add_f32 v[2:3], v[2:3], v[26:27]
	s_nop 0
	v_mov_b32_e32 v9, v3
.LBB360_15:
	v_mov_b32_e32 v3, v9
	flat_store_dwordx2 v[6:7], v[2:3]
.LBB360_16:
	s_or_b64 exec, exec, s[6:7]
	v_add_u32_e32 v2, 16, v0
	v_cmp_le_i32_e32 vcc, v2, v10
	s_and_b64 s[6:7], s[2:3], vcc
	v_ashrrev_i32_e32 v3, 31, v2
	s_and_saveexec_b64 s[2:3], s[6:7]
	s_cbranch_execz .LBB360_20
; %bb.17:
	v_pk_mul_f32 v[8:9], v[22:23], s[18:19] op_sel:[0,1] op_sel_hi:[0,0]
	v_pk_fma_f32 v[6:7], v[20:21], s[18:19], v[8:9] op_sel_hi:[0,1,1] neg_lo:[0,0,1] neg_hi:[0,0,1]
	v_pk_fma_f32 v[8:9], v[20:21], s[18:19], v[8:9] op_sel_hi:[0,1,1]
	s_and_b64 vcc, exec, s[0:1]
	v_lshl_add_u64 v[4:5], v[2:3], 3, v[4:5]
	s_cbranch_vccnz .LBB360_19
; %bb.18:
	flat_load_dwordx2 v[20:21], v[4:5]
	s_mov_b32 s6, s17
	v_mov_b32_e32 v7, v9
	s_waitcnt vmcnt(0) lgkmcnt(0)
	v_pk_mul_f32 v[8:9], v[20:21], s[6:7] op_sel:[1,0] op_sel_hi:[0,0]
	v_pk_fma_f32 v[22:23], v[20:21], s[16:17], v[8:9] neg_lo:[0,0,1] neg_hi:[0,0,1]
	v_pk_fma_f32 v[8:9], v[20:21], s[16:17], v[8:9] op_sel_hi:[1,0,1]
	s_nop 0
	v_mov_b32_e32 v23, v9
	v_pk_add_f32 v[6:7], v[6:7], v[22:23]
	s_nop 0
	v_mov_b32_e32 v9, v7
.LBB360_19:
	v_mov_b32_e32 v7, v9
	flat_store_dwordx2 v[4:5], v[6:7]
.LBB360_20:
	s_or_b64 exec, exec, s[2:3]
	v_add_u32_e32 v10, 16, v10
	v_cmp_gt_i32_e64 s[2:3], s20, v10
	v_mad_i64_i32 v[4:5], s[6:7], v10, s8, 0
	v_cmp_le_i32_e32 vcc, v0, v10
	v_lshl_add_u64 v[4:5], v[4:5], 3, s[4:5]
	s_and_b64 s[6:7], s[2:3], vcc
	s_and_saveexec_b64 s[4:5], s[6:7]
	s_cbranch_execz .LBB360_24
; %bb.21:
	v_pk_mul_f32 v[8:9], v[18:19], s[18:19] op_sel:[0,1] op_sel_hi:[0,0]
	v_pk_fma_f32 v[6:7], v[16:17], s[18:19], v[8:9] op_sel_hi:[0,1,1] neg_lo:[0,0,1] neg_hi:[0,0,1]
	v_pk_fma_f32 v[8:9], v[16:17], s[18:19], v[8:9] op_sel_hi:[0,1,1]
	s_and_b64 vcc, exec, s[0:1]
	v_lshl_add_u64 v[0:1], v[0:1], 3, v[4:5]
	s_cbranch_vccnz .LBB360_23
; %bb.22:
	flat_load_dwordx2 v[16:17], v[0:1]
	s_mov_b32 s6, s17
	v_mov_b32_e32 v7, v9
	s_waitcnt vmcnt(0) lgkmcnt(0)
	v_pk_mul_f32 v[8:9], v[16:17], s[6:7] op_sel:[1,0] op_sel_hi:[0,0]
	v_pk_fma_f32 v[18:19], v[16:17], s[16:17], v[8:9] neg_lo:[0,0,1] neg_hi:[0,0,1]
	v_pk_fma_f32 v[8:9], v[16:17], s[16:17], v[8:9] op_sel_hi:[1,0,1]
	s_nop 0
	v_mov_b32_e32 v19, v9
	v_pk_add_f32 v[6:7], v[6:7], v[18:19]
	s_nop 0
	v_mov_b32_e32 v9, v7
.LBB360_23:
	v_mov_b32_e32 v7, v9
	flat_store_dwordx2 v[0:1], v[6:7]
.LBB360_24:
	s_or_b64 exec, exec, s[4:5]
	v_cmp_le_i32_e32 vcc, v2, v10
	s_and_b64 s[2:3], s[2:3], vcc
	s_and_saveexec_b64 s[4:5], s[2:3]
	s_cbranch_execz .LBB360_28
; %bb.25:
	v_pk_mul_f32 v[6:7], v[14:15], s[18:19] op_sel:[0,1] op_sel_hi:[0,0]
	v_pk_fma_f32 v[0:1], v[12:13], s[18:19], v[6:7] op_sel_hi:[0,1,1] neg_lo:[0,0,1] neg_hi:[0,0,1]
	v_pk_fma_f32 v[6:7], v[12:13], s[18:19], v[6:7] op_sel_hi:[0,1,1]
	s_and_b64 vcc, exec, s[0:1]
	v_lshl_add_u64 v[2:3], v[2:3], 3, v[4:5]
	s_cbranch_vccnz .LBB360_27
; %bb.26:
	flat_load_dwordx2 v[4:5], v[2:3]
	s_mov_b32 s0, s17
	v_mov_b32_e32 v1, v7
	s_waitcnt vmcnt(0) lgkmcnt(0)
	v_pk_mul_f32 v[6:7], v[4:5], s[0:1] op_sel:[1,0] op_sel_hi:[0,0]
	v_pk_fma_f32 v[8:9], v[4:5], s[16:17], v[6:7] neg_lo:[0,0,1] neg_hi:[0,0,1]
	v_pk_fma_f32 v[4:5], v[4:5], s[16:17], v[6:7] op_sel_hi:[1,0,1]
	s_nop 0
	v_mov_b32_e32 v9, v5
	v_pk_add_f32 v[0:1], v[0:1], v[8:9]
	s_nop 0
	v_mov_b32_e32 v7, v1
.LBB360_27:
	v_mov_b32_e32 v1, v7
	flat_store_dwordx2 v[2:3], v[0:1]
.LBB360_28:
	s_endpgm
	.section	.rodata,"a",@progbits
	.p2align	6, 0x0
	.amdhsa_kernel _ZL29rocblas_internal_gemmt_kernelIiLi16ELi32ELi8ELc78ELc78ELc85ELb0ELb0E19rocblas_complex_numIfEPKS1_PKS3_PKPS1_EviT_T9_T10_S9_lSB_S9_lSA_T11_S9_li
		.amdhsa_group_segment_fixed_size 4096
		.amdhsa_private_segment_fixed_size 0
		.amdhsa_kernarg_size 100
		.amdhsa_user_sgpr_count 2
		.amdhsa_user_sgpr_dispatch_ptr 0
		.amdhsa_user_sgpr_queue_ptr 0
		.amdhsa_user_sgpr_kernarg_segment_ptr 1
		.amdhsa_user_sgpr_dispatch_id 0
		.amdhsa_user_sgpr_kernarg_preload_length 0
		.amdhsa_user_sgpr_kernarg_preload_offset 0
		.amdhsa_user_sgpr_private_segment_size 0
		.amdhsa_uses_dynamic_stack 0
		.amdhsa_enable_private_segment 0
		.amdhsa_system_sgpr_workgroup_id_x 1
		.amdhsa_system_sgpr_workgroup_id_y 1
		.amdhsa_system_sgpr_workgroup_id_z 1
		.amdhsa_system_sgpr_workgroup_info 0
		.amdhsa_system_vgpr_workitem_id 1
		.amdhsa_next_free_vgpr 52
		.amdhsa_next_free_sgpr 30
		.amdhsa_accum_offset 52
		.amdhsa_reserve_vcc 1
		.amdhsa_float_round_mode_32 0
		.amdhsa_float_round_mode_16_64 0
		.amdhsa_float_denorm_mode_32 3
		.amdhsa_float_denorm_mode_16_64 3
		.amdhsa_dx10_clamp 1
		.amdhsa_ieee_mode 1
		.amdhsa_fp16_overflow 0
		.amdhsa_tg_split 0
		.amdhsa_exception_fp_ieee_invalid_op 0
		.amdhsa_exception_fp_denorm_src 0
		.amdhsa_exception_fp_ieee_div_zero 0
		.amdhsa_exception_fp_ieee_overflow 0
		.amdhsa_exception_fp_ieee_underflow 0
		.amdhsa_exception_fp_ieee_inexact 0
		.amdhsa_exception_int_div_zero 0
	.end_amdhsa_kernel
	.section	.text._ZL29rocblas_internal_gemmt_kernelIiLi16ELi32ELi8ELc78ELc78ELc85ELb0ELb0E19rocblas_complex_numIfEPKS1_PKS3_PKPS1_EviT_T9_T10_S9_lSB_S9_lSA_T11_S9_li,"axG",@progbits,_ZL29rocblas_internal_gemmt_kernelIiLi16ELi32ELi8ELc78ELc78ELc85ELb0ELb0E19rocblas_complex_numIfEPKS1_PKS3_PKPS1_EviT_T9_T10_S9_lSB_S9_lSA_T11_S9_li,comdat
.Lfunc_end360:
	.size	_ZL29rocblas_internal_gemmt_kernelIiLi16ELi32ELi8ELc78ELc78ELc85ELb0ELb0E19rocblas_complex_numIfEPKS1_PKS3_PKPS1_EviT_T9_T10_S9_lSB_S9_lSA_T11_S9_li, .Lfunc_end360-_ZL29rocblas_internal_gemmt_kernelIiLi16ELi32ELi8ELc78ELc78ELc85ELb0ELb0E19rocblas_complex_numIfEPKS1_PKS3_PKPS1_EviT_T9_T10_S9_lSB_S9_lSA_T11_S9_li
                                        ; -- End function
	.set _ZL29rocblas_internal_gemmt_kernelIiLi16ELi32ELi8ELc78ELc78ELc85ELb0ELb0E19rocblas_complex_numIfEPKS1_PKS3_PKPS1_EviT_T9_T10_S9_lSB_S9_lSA_T11_S9_li.num_vgpr, 52
	.set _ZL29rocblas_internal_gemmt_kernelIiLi16ELi32ELi8ELc78ELc78ELc85ELb0ELb0E19rocblas_complex_numIfEPKS1_PKS3_PKPS1_EviT_T9_T10_S9_lSB_S9_lSA_T11_S9_li.num_agpr, 0
	.set _ZL29rocblas_internal_gemmt_kernelIiLi16ELi32ELi8ELc78ELc78ELc85ELb0ELb0E19rocblas_complex_numIfEPKS1_PKS3_PKPS1_EviT_T9_T10_S9_lSB_S9_lSA_T11_S9_li.numbered_sgpr, 30
	.set _ZL29rocblas_internal_gemmt_kernelIiLi16ELi32ELi8ELc78ELc78ELc85ELb0ELb0E19rocblas_complex_numIfEPKS1_PKS3_PKPS1_EviT_T9_T10_S9_lSB_S9_lSA_T11_S9_li.num_named_barrier, 0
	.set _ZL29rocblas_internal_gemmt_kernelIiLi16ELi32ELi8ELc78ELc78ELc85ELb0ELb0E19rocblas_complex_numIfEPKS1_PKS3_PKPS1_EviT_T9_T10_S9_lSB_S9_lSA_T11_S9_li.private_seg_size, 0
	.set _ZL29rocblas_internal_gemmt_kernelIiLi16ELi32ELi8ELc78ELc78ELc85ELb0ELb0E19rocblas_complex_numIfEPKS1_PKS3_PKPS1_EviT_T9_T10_S9_lSB_S9_lSA_T11_S9_li.uses_vcc, 1
	.set _ZL29rocblas_internal_gemmt_kernelIiLi16ELi32ELi8ELc78ELc78ELc85ELb0ELb0E19rocblas_complex_numIfEPKS1_PKS3_PKPS1_EviT_T9_T10_S9_lSB_S9_lSA_T11_S9_li.uses_flat_scratch, 0
	.set _ZL29rocblas_internal_gemmt_kernelIiLi16ELi32ELi8ELc78ELc78ELc85ELb0ELb0E19rocblas_complex_numIfEPKS1_PKS3_PKPS1_EviT_T9_T10_S9_lSB_S9_lSA_T11_S9_li.has_dyn_sized_stack, 0
	.set _ZL29rocblas_internal_gemmt_kernelIiLi16ELi32ELi8ELc78ELc78ELc85ELb0ELb0E19rocblas_complex_numIfEPKS1_PKS3_PKPS1_EviT_T9_T10_S9_lSB_S9_lSA_T11_S9_li.has_recursion, 0
	.set _ZL29rocblas_internal_gemmt_kernelIiLi16ELi32ELi8ELc78ELc78ELc85ELb0ELb0E19rocblas_complex_numIfEPKS1_PKS3_PKPS1_EviT_T9_T10_S9_lSB_S9_lSA_T11_S9_li.has_indirect_call, 0
	.section	.AMDGPU.csdata,"",@progbits
; Kernel info:
; codeLenInByte = 2472
; TotalNumSgprs: 36
; NumVgprs: 52
; NumAgprs: 0
; TotalNumVgprs: 52
; ScratchSize: 0
; MemoryBound: 0
; FloatMode: 240
; IeeeMode: 1
; LDSByteSize: 4096 bytes/workgroup (compile time only)
; SGPRBlocks: 4
; VGPRBlocks: 6
; NumSGPRsForWavesPerEU: 36
; NumVGPRsForWavesPerEU: 52
; AccumOffset: 52
; Occupancy: 8
; WaveLimiterHint : 1
; COMPUTE_PGM_RSRC2:SCRATCH_EN: 0
; COMPUTE_PGM_RSRC2:USER_SGPR: 2
; COMPUTE_PGM_RSRC2:TRAP_HANDLER: 0
; COMPUTE_PGM_RSRC2:TGID_X_EN: 1
; COMPUTE_PGM_RSRC2:TGID_Y_EN: 1
; COMPUTE_PGM_RSRC2:TGID_Z_EN: 1
; COMPUTE_PGM_RSRC2:TIDIG_COMP_CNT: 1
; COMPUTE_PGM_RSRC3_GFX90A:ACCUM_OFFSET: 12
; COMPUTE_PGM_RSRC3_GFX90A:TG_SPLIT: 0
	.section	.text._ZL29rocblas_internal_gemmt_kernelIiLi16ELi32ELi8ELc78ELc84ELc85ELb0ELb0E19rocblas_complex_numIfEPKS1_PKS3_PKPS1_EviT_T9_T10_S9_lSB_S9_lSA_T11_S9_li,"axG",@progbits,_ZL29rocblas_internal_gemmt_kernelIiLi16ELi32ELi8ELc78ELc84ELc85ELb0ELb0E19rocblas_complex_numIfEPKS1_PKS3_PKPS1_EviT_T9_T10_S9_lSB_S9_lSA_T11_S9_li,comdat
	.globl	_ZL29rocblas_internal_gemmt_kernelIiLi16ELi32ELi8ELc78ELc84ELc85ELb0ELb0E19rocblas_complex_numIfEPKS1_PKS3_PKPS1_EviT_T9_T10_S9_lSB_S9_lSA_T11_S9_li ; -- Begin function _ZL29rocblas_internal_gemmt_kernelIiLi16ELi32ELi8ELc78ELc84ELc85ELb0ELb0E19rocblas_complex_numIfEPKS1_PKS3_PKPS1_EviT_T9_T10_S9_lSB_S9_lSA_T11_S9_li
	.p2align	8
	.type	_ZL29rocblas_internal_gemmt_kernelIiLi16ELi32ELi8ELc78ELc84ELc85ELb0ELb0E19rocblas_complex_numIfEPKS1_PKS3_PKPS1_EviT_T9_T10_S9_lSB_S9_lSA_T11_S9_li,@function
_ZL29rocblas_internal_gemmt_kernelIiLi16ELi32ELi8ELc78ELc84ELc85ELb0ELb0E19rocblas_complex_numIfEPKS1_PKS3_PKPS1_EviT_T9_T10_S9_lSB_S9_lSA_T11_S9_li: ; @_ZL29rocblas_internal_gemmt_kernelIiLi16ELi32ELi8ELc78ELc84ELc85ELb0ELb0E19rocblas_complex_numIfEPKS1_PKS3_PKPS1_EviT_T9_T10_S9_lSB_S9_lSA_T11_S9_li
; %bb.0:
	s_load_dwordx4 s[8:11], s[0:1], 0x38
	s_load_dwordx4 s[12:15], s[0:1], 0x8
	s_waitcnt lgkmcnt(0)
	s_load_dwordx2 s[16:17], s[10:11], 0x0
	s_load_dwordx2 s[20:21], s[0:1], 0x0
	;; [unrolled: 1-line block ×3, first 2 shown]
	s_waitcnt lgkmcnt(0)
	s_and_b32 s5, s17, 0x7fffffff
	s_cmp_eq_u32 s5, 0
	v_cmp_eq_f32_e64 s[6:7], s16, 1.0
	s_cselect_b64 s[10:11], -1, 0
	s_and_b64 s[6:7], s[6:7], s[10:11]
	s_and_b64 vcc, exec, s[6:7]
	s_cbranch_vccnz .LBB361_2
; %bb.1:
	s_mov_b64 s[6:7], -1
	s_cbranch_execz .LBB361_3
	s_branch .LBB361_4
.LBB361_2:
	s_mov_b64 s[6:7], 0
.LBB361_3:
	s_cmp_lg_u32 s21, 0
	v_cmp_neq_f32_e64 s[12:13], s18, 0
	v_cmp_neq_f32_e64 s[22:23], s19, 0
	s_cselect_b64 s[6:7], -1, 0
	s_or_b64 s[12:13], s[12:13], s[22:23]
	s_and_b64 s[6:7], s[6:7], s[12:13]
.LBB361_4:
	s_andn2_b64 vcc, exec, s[6:7]
	s_cbranch_vccnz .LBB361_28
; %bb.5:
	s_load_dwordx2 s[12:13], s[0:1], 0x48
	s_mov_b32 s5, 0
	s_lshl_b64 s[6:7], s[4:5], 3
	v_cmp_eq_f32_e64 s[24:25], s19, 0
	v_and_b32_e32 v13, 0x3ff, v0
	s_waitcnt lgkmcnt(0)
	s_add_u32 s12, s12, s6
	s_addc_u32 s13, s13, s7
	s_lshl_b32 s4, s2, 5
	s_lshl_b32 s22, s3, 5
	v_cmp_eq_f32_e64 s[2:3], s18, 0
	s_load_dwordx2 s[12:13], s[12:13], 0x0
	s_and_b64 s[2:3], s[2:3], s[24:25]
	s_cmp_lt_i32 s21, 1
	s_cselect_b64 s[24:25], -1, 0
	s_or_b64 s[2:3], s[2:3], s[24:25]
	v_bfe_u32 v15, v0, 10, 10
	v_mov_b32_e32 v24, 0
	s_and_b64 vcc, exec, s[2:3]
	v_mov_b32_e32 v26, 0
	v_mov_b32_e32 v20, 0
	;; [unrolled: 1-line block ×7, first 2 shown]
	s_cbranch_vccnz .LBB361_12
; %bb.6:
	s_load_dword s28, s[0:1], 0x18
	s_load_dwordx4 s[24:27], s[0:1], 0x20
	s_load_dword s30, s[0:1], 0x30
	v_lshl_add_u32 v1, v15, 4, v13
	v_and_b32_e32 v4, 31, v1
	s_waitcnt lgkmcnt(0)
	s_ashr_i32 s29, s28, 31
	v_lshrrev_b32_e32 v19, 5, v1
	s_ashr_i32 s31, s30, 31
	s_add_u32 s2, s26, s6
	v_lshrrev_b32_e32 v2, 3, v1
	v_or_b32_e32 v1, s4, v4
	s_addc_u32 s3, s27, s7
	v_and_b32_e32 v17, 7, v13
	s_load_dwordx2 s[26:27], s[2:3], 0x0
	s_add_u32 s2, s14, s6
	v_cmp_gt_i32_e32 vcc, s20, v1
	v_lshlrev_b32_e32 v1, 3, v4
	s_addc_u32 s3, s15, s7
	v_lshl_or_b32 v21, v19, 8, v1
	v_lshlrev_b32_e32 v1, 3, v17
	v_add_u32_e32 v0, s22, v2
	s_load_dwordx2 s[6:7], s[2:3], 0x0
	v_lshl_or_b32 v1, v2, 6, v1
	v_mov_b32_e32 v2, 0x800
	v_lshl_add_u32 v27, v15, 6, v2
	v_mad_i64_i32 v[2:3], s[14:15], v19, s28, 0
	s_lshl_b64 s[14:15], s[24:25], 3
	v_add_u32_e32 v4, s4, v4
	v_lshl_add_u64 v[2:3], v[2:3], 3, s[14:15]
	v_ashrrev_i32_e32 v5, 31, v4
	v_lshl_add_u64 v[2:3], v[4:5], 3, v[2:3]
	s_waitcnt lgkmcnt(0)
	v_lshl_add_u64 v[8:9], s[6:7], 0, v[2:3]
	v_mad_i64_i32 v[2:3], s[6:7], s30, v17, 0
	s_lshl_b64 s[6:7], s[8:9], 3
	v_add_u32_e32 v23, 0x800, v1
	v_ashrrev_i32_e32 v1, 31, v0
	v_lshl_add_u64 v[2:3], v[2:3], 3, s[6:7]
	v_cmp_gt_i32_e64 s[2:3], s20, v0
	v_lshl_add_u64 v[0:1], v[0:1], 3, v[2:3]
	v_lshlrev_b32_e32 v25, 3, v13
	s_lshl_b64 s[14:15], s[28:29], 6
	v_lshl_add_u64 v[10:11], s[26:27], 0, v[0:1]
	s_lshl_b64 s[8:9], s[30:31], 6
	v_mov_b32_e32 v12, 0
	v_mov_b32_e32 v14, 0
	;; [unrolled: 1-line block ×8, first 2 shown]
	s_branch .LBB361_8
.LBB361_7:                              ;   in Loop: Header=BB361_8 Depth=1
	s_or_b64 exec, exec, s[6:7]
	s_waitcnt vmcnt(0) lgkmcnt(0)
	ds_write_b64 v23, v[0:1]
	s_waitcnt lgkmcnt(0)
	s_barrier
	ds_read2_b64 v[28:31], v25 offset1:16
	ds_read_b128 v[32:35], v27
	ds_read_b128 v[36:39], v27 offset:16
	ds_read_b128 v[4:7], v27 offset:32
	;; [unrolled: 1-line block ×3, first 2 shown]
	ds_read2_b64 v[48:51], v25 offset0:32 offset1:48
	s_waitcnt lgkmcnt(4)
	v_mul_f32_e32 v40, v33, v29
	v_fma_f32 v40, v32, v28, -v40
	v_mul_f32_e32 v41, v32, v29
	v_fmac_f32_e32 v41, v33, v28
	v_add_f32_e32 v24, v24, v40
	v_mul_f32_e32 v40, v33, v31
	v_add_f32_e32 v26, v26, v41
	v_fma_f32 v44, v32, v30, -v40
	ds_read_b128 v[40:43], v27 offset:1024
	v_mul_f32_e32 v32, v32, v31
	v_fmac_f32_e32 v32, v33, v30
	v_add_f32_e32 v20, v20, v44
	v_add_f32_e32 v22, v22, v32
	ds_read_b128 v[44:47], v27 offset:1040
	s_waitcnt lgkmcnt(1)
	v_mul_f32_e32 v32, v41, v29
	v_mul_f32_e32 v29, v40, v29
	v_fma_f32 v32, v40, v28, -v32
	v_fmac_f32_e32 v29, v41, v28
	v_mul_f32_e32 v28, v41, v31
	v_add_f32_e32 v18, v18, v29
	v_fma_f32 v28, v40, v30, -v28
	v_mul_f32_e32 v29, v40, v31
	v_fmac_f32_e32 v29, v41, v30
	v_add_f32_e32 v14, v14, v28
	v_mul_f32_e32 v28, v35, v49
	v_add_f32_e32 v12, v12, v29
	v_fma_f32 v28, v34, v48, -v28
	v_mul_f32_e32 v29, v34, v49
	v_fmac_f32_e32 v29, v35, v48
	v_add_f32_e32 v24, v24, v28
	;; [unrolled: 6-line block ×3, first 2 shown]
	v_mul_f32_e32 v28, v43, v49
	v_add_f32_e32 v16, v16, v32
	v_add_f32_e32 v22, v22, v29
	v_fma_f32 v28, v42, v48, -v28
	v_mul_f32_e32 v29, v42, v49
	v_fmac_f32_e32 v29, v43, v48
	v_add_f32_e32 v16, v16, v28
	v_mul_f32_e32 v28, v43, v51
	v_add_f32_e32 v18, v18, v29
	v_fma_f32 v32, v42, v50, -v28
	ds_read2_b64 v[28:31], v25 offset0:64 offset1:80
	v_mul_f32_e32 v33, v42, v51
	v_add_f32_e32 v14, v14, v32
	v_fmac_f32_e32 v33, v43, v50
	v_add_f32_e32 v12, v12, v33
	s_waitcnt lgkmcnt(0)
	v_mul_f32_e32 v32, v37, v29
	v_fma_f32 v32, v36, v28, -v32
	v_mul_f32_e32 v33, v36, v29
	v_add_f32_e32 v24, v24, v32
	v_mul_f32_e32 v32, v37, v31
	v_fmac_f32_e32 v33, v37, v28
	v_fma_f32 v32, v36, v30, -v32
	v_add_f32_e32 v26, v26, v33
	v_mul_f32_e32 v33, v36, v31
	v_add_f32_e32 v20, v20, v32
	v_mul_f32_e32 v32, v45, v29
	v_fmac_f32_e32 v33, v37, v30
	v_fma_f32 v32, v44, v28, -v32
	v_add_f32_e32 v22, v22, v33
	v_add_f32_e32 v16, v16, v32
	ds_read2_b64 v[32:35], v25 offset0:96 offset1:112
	v_mul_f32_e32 v29, v44, v29
	v_fmac_f32_e32 v29, v45, v28
	v_mul_f32_e32 v28, v45, v31
	v_add_f32_e32 v18, v18, v29
	v_fma_f32 v28, v44, v30, -v28
	v_mul_f32_e32 v29, v44, v31
	v_fmac_f32_e32 v29, v45, v30
	v_add_f32_e32 v14, v14, v28
	s_waitcnt lgkmcnt(0)
	v_mul_f32_e32 v28, v39, v33
	v_add_f32_e32 v12, v12, v29
	v_fma_f32 v28, v38, v32, -v28
	v_mul_f32_e32 v29, v38, v33
	v_fmac_f32_e32 v29, v39, v32
	v_add_f32_e32 v24, v24, v28
	v_mul_f32_e32 v28, v39, v35
	v_add_f32_e32 v26, v26, v29
	v_fma_f32 v28, v38, v34, -v28
	v_mul_f32_e32 v29, v38, v35
	v_fmac_f32_e32 v29, v39, v34
	v_add_f32_e32 v20, v20, v28
	v_mul_f32_e32 v28, v47, v33
	v_add_f32_e32 v22, v22, v29
	v_fma_f32 v28, v46, v32, -v28
	v_mul_f32_e32 v29, v46, v33
	v_fmac_f32_e32 v29, v47, v32
	v_add_f32_e32 v16, v16, v28
	v_mul_f32_e32 v28, v47, v35
	v_add_f32_e32 v18, v18, v29
	v_fma_f32 v32, v46, v34, -v28
	ds_read2_b64 v[28:31], v25 offset0:128 offset1:144
	v_mul_f32_e32 v33, v46, v35
	v_fmac_f32_e32 v33, v47, v34
	v_add_f32_e32 v14, v14, v32
	v_add_f32_e32 v12, v12, v33
	s_waitcnt lgkmcnt(0)
	v_mul_f32_e32 v32, v5, v29
	v_fma_f32 v32, v4, v28, -v32
	v_mul_f32_e32 v33, v4, v29
	v_fmac_f32_e32 v33, v5, v28
	v_add_f32_e32 v24, v24, v32
	v_mul_f32_e32 v32, v5, v31
	v_add_f32_e32 v26, v26, v33
	v_fma_f32 v36, v4, v30, -v32
	ds_read_b128 v[32:35], v27 offset:1056
	v_mul_f32_e32 v4, v4, v31
	ds_read2_b64 v[40:43], v25 offset0:160 offset1:176
	v_fmac_f32_e32 v4, v5, v30
	v_add_f32_e32 v5, v20, v36
	ds_read_b128 v[36:39], v27 offset:1072
	s_waitcnt lgkmcnt(2)
	v_mul_f32_e32 v20, v33, v29
	v_fma_f32 v20, v32, v28, -v20
	v_add_f32_e32 v16, v16, v20
	v_mul_f32_e32 v20, v33, v31
	v_add_f32_e32 v4, v22, v4
	v_mul_f32_e32 v22, v32, v29
	v_fma_f32 v20, v32, v30, -v20
	v_fmac_f32_e32 v22, v33, v28
	v_add_f32_e32 v14, v14, v20
	s_waitcnt lgkmcnt(1)
	v_mul_f32_e32 v20, v7, v41
	v_add_f32_e32 v18, v18, v22
	v_mul_f32_e32 v22, v32, v31
	v_fma_f32 v20, v6, v40, -v20
	v_fmac_f32_e32 v22, v33, v30
	v_add_f32_e32 v20, v24, v20
	v_mul_f32_e32 v24, v7, v43
	v_add_f32_e32 v12, v12, v22
	v_mul_f32_e32 v22, v6, v41
	v_fma_f32 v24, v6, v42, -v24
	v_mul_f32_e32 v6, v6, v43
	v_fmac_f32_e32 v22, v7, v40
	v_fmac_f32_e32 v6, v7, v42
	v_add_f32_e32 v22, v26, v22
	v_add_f32_e32 v26, v4, v6
	v_mul_f32_e32 v4, v35, v41
	v_add_f32_e32 v24, v5, v24
	v_fma_f32 v4, v34, v40, -v4
	v_mul_f32_e32 v5, v34, v41
	v_fmac_f32_e32 v5, v35, v40
	v_add_f32_e32 v16, v16, v4
	v_mul_f32_e32 v4, v35, v43
	v_add_f32_e32 v18, v18, v5
	v_fma_f32 v28, v34, v42, -v4
	ds_read2_b64 v[4:7], v25 offset0:192 offset1:208
	v_mul_f32_e32 v29, v34, v43
	v_add_f32_e32 v14, v14, v28
	v_fmac_f32_e32 v29, v35, v42
	v_add_f32_e32 v12, v12, v29
	s_waitcnt lgkmcnt(0)
	v_mul_f32_e32 v28, v1, v5
	v_fma_f32 v28, v0, v4, -v28
	v_mul_f32_e32 v29, v0, v5
	v_add_f32_e32 v20, v20, v28
	v_mul_f32_e32 v28, v1, v7
	v_fmac_f32_e32 v29, v1, v4
	v_fma_f32 v28, v0, v6, -v28
	v_mul_f32_e32 v0, v0, v7
	v_add_f32_e32 v22, v22, v29
	v_fmac_f32_e32 v0, v1, v6
	v_add_f32_e32 v1, v24, v28
	ds_read2_b64 v[28:31], v25 offset0:224 offset1:240
	v_mul_f32_e32 v24, v37, v5
	v_fma_f32 v24, v36, v4, -v24
	v_mul_f32_e32 v5, v36, v5
	v_fmac_f32_e32 v5, v37, v4
	v_add_f32_e32 v4, v16, v24
	v_mul_f32_e32 v16, v37, v7
	v_mul_f32_e32 v7, v36, v7
	v_fmac_f32_e32 v7, v37, v6
	v_add_f32_e32 v7, v12, v7
	s_waitcnt lgkmcnt(0)
	v_mul_f32_e32 v12, v3, v29
	v_fma_f32 v12, v2, v28, -v12
	v_fma_f32 v16, v36, v6, -v16
	v_add_f32_e32 v24, v20, v12
	v_mul_f32_e32 v12, v3, v31
	v_add_f32_e32 v6, v14, v16
	v_mul_f32_e32 v14, v2, v29
	v_fma_f32 v12, v2, v30, -v12
	v_mul_f32_e32 v2, v2, v31
	v_add_f32_e32 v0, v26, v0
	v_fmac_f32_e32 v14, v3, v28
	v_fmac_f32_e32 v2, v3, v30
	v_add_f32_e32 v26, v22, v14
	v_add_f32_e32 v20, v1, v12
	v_add_f32_e32 v22, v0, v2
	v_mul_f32_e32 v0, v39, v29
	v_mul_f32_e32 v1, v38, v29
	v_add_f32_e32 v5, v18, v5
	v_fma_f32 v0, v38, v28, -v0
	v_fmac_f32_e32 v1, v39, v28
	v_add_f32_e32 v16, v4, v0
	v_add_f32_e32 v18, v5, v1
	v_mul_f32_e32 v0, v39, v31
	v_mul_f32_e32 v1, v38, v31
	v_fma_f32 v0, v38, v30, -v0
	v_fmac_f32_e32 v1, v39, v30
	s_add_i32 s5, s5, 8
	v_add_f32_e32 v14, v6, v0
	v_add_f32_e32 v12, v7, v1
	v_lshl_add_u64 v[8:9], v[8:9], 0, s[14:15]
	s_cmp_lt_i32 s5, s21
	v_lshl_add_u64 v[10:11], v[10:11], 0, s[8:9]
	s_barrier
	s_cbranch_scc0 .LBB361_12
.LBB361_8:                              ; =>This Inner Loop Header: Depth=1
	v_add_u32_e32 v0, s5, v19
	v_cmp_gt_i32_e64 s[6:7], s21, v0
	s_and_b64 s[24:25], vcc, s[6:7]
	v_mov_b32_e32 v0, 0
	v_mov_b32_e32 v1, 0
	s_and_saveexec_b64 s[6:7], s[24:25]
	s_cbranch_execz .LBB361_10
; %bb.9:                                ;   in Loop: Header=BB361_8 Depth=1
	flat_load_dwordx2 v[0:1], v[8:9]
.LBB361_10:                             ;   in Loop: Header=BB361_8 Depth=1
	s_or_b64 exec, exec, s[6:7]
	s_waitcnt vmcnt(0) lgkmcnt(0)
	ds_write_b64 v21, v[0:1]
	v_add_u32_e32 v0, s5, v17
	v_cmp_gt_i32_e64 s[6:7], s21, v0
	s_and_b64 s[24:25], s[6:7], s[2:3]
	v_mov_b32_e32 v0, 0
	v_mov_b32_e32 v1, 0
	s_and_saveexec_b64 s[6:7], s[24:25]
	s_cbranch_execz .LBB361_7
; %bb.11:                               ;   in Loop: Header=BB361_8 Depth=1
	flat_load_dwordx2 v[0:1], v[10:11]
	s_branch .LBB361_7
.LBB361_12:
	s_load_dwordx2 s[2:3], s[0:1], 0x58
	s_load_dword s8, s[0:1], 0x50
	v_add_u32_e32 v0, s4, v13
	v_add_u32_e32 v10, s22, v15
	v_cmp_neq_f32_e64 s[0:1], s16, 0
	s_waitcnt lgkmcnt(0)
	s_lshl_b64 s[2:3], s[2:3], 3
	s_add_u32 s4, s12, s2
	s_addc_u32 s5, s13, s3
	s_xor_b64 s[6:7], s[10:11], -1
	v_mad_i64_i32 v[2:3], s[10:11], v10, s8, 0
	s_or_b64 s[0:1], s[0:1], s[6:7]
	v_cmp_gt_i32_e64 s[2:3], s20, v10
	v_lshl_add_u64 v[4:5], v[2:3], 3, s[4:5]
	v_cmp_le_i32_e32 vcc, v0, v10
	v_cndmask_b32_e64 v2, 0, 1, s[0:1]
	s_and_b64 s[10:11], s[2:3], vcc
	v_ashrrev_i32_e32 v1, 31, v0
	v_cmp_ne_u32_e64 s[0:1], 1, v2
	s_and_saveexec_b64 s[6:7], s[10:11]
	s_cbranch_execz .LBB361_16
; %bb.13:
	v_pk_mul_f32 v[6:7], v[26:27], s[18:19] op_sel:[0,1] op_sel_hi:[0,0]
	v_pk_fma_f32 v[2:3], v[24:25], s[18:19], v[6:7] op_sel_hi:[0,1,1] neg_lo:[0,0,1] neg_hi:[0,0,1]
	v_pk_fma_f32 v[8:9], v[24:25], s[18:19], v[6:7] op_sel_hi:[0,1,1]
	s_and_b64 vcc, exec, s[0:1]
	v_lshl_add_u64 v[6:7], v[0:1], 3, v[4:5]
	s_cbranch_vccnz .LBB361_15
; %bb.14:
	flat_load_dwordx2 v[24:25], v[6:7]
	s_mov_b32 s10, s17
	v_mov_b32_e32 v3, v9
	s_waitcnt vmcnt(0) lgkmcnt(0)
	v_pk_mul_f32 v[8:9], v[24:25], s[10:11] op_sel:[1,0] op_sel_hi:[0,0]
	v_pk_fma_f32 v[26:27], v[24:25], s[16:17], v[8:9] neg_lo:[0,0,1] neg_hi:[0,0,1]
	v_pk_fma_f32 v[8:9], v[24:25], s[16:17], v[8:9] op_sel_hi:[1,0,1]
	s_nop 0
	v_mov_b32_e32 v27, v9
	v_pk_add_f32 v[2:3], v[2:3], v[26:27]
	s_nop 0
	v_mov_b32_e32 v9, v3
.LBB361_15:
	v_mov_b32_e32 v3, v9
	flat_store_dwordx2 v[6:7], v[2:3]
.LBB361_16:
	s_or_b64 exec, exec, s[6:7]
	v_add_u32_e32 v2, 16, v0
	v_cmp_le_i32_e32 vcc, v2, v10
	s_and_b64 s[6:7], s[2:3], vcc
	v_ashrrev_i32_e32 v3, 31, v2
	s_and_saveexec_b64 s[2:3], s[6:7]
	s_cbranch_execz .LBB361_20
; %bb.17:
	v_pk_mul_f32 v[8:9], v[22:23], s[18:19] op_sel:[0,1] op_sel_hi:[0,0]
	v_pk_fma_f32 v[6:7], v[20:21], s[18:19], v[8:9] op_sel_hi:[0,1,1] neg_lo:[0,0,1] neg_hi:[0,0,1]
	v_pk_fma_f32 v[8:9], v[20:21], s[18:19], v[8:9] op_sel_hi:[0,1,1]
	s_and_b64 vcc, exec, s[0:1]
	v_lshl_add_u64 v[4:5], v[2:3], 3, v[4:5]
	s_cbranch_vccnz .LBB361_19
; %bb.18:
	flat_load_dwordx2 v[20:21], v[4:5]
	s_mov_b32 s6, s17
	v_mov_b32_e32 v7, v9
	s_waitcnt vmcnt(0) lgkmcnt(0)
	v_pk_mul_f32 v[8:9], v[20:21], s[6:7] op_sel:[1,0] op_sel_hi:[0,0]
	v_pk_fma_f32 v[22:23], v[20:21], s[16:17], v[8:9] neg_lo:[0,0,1] neg_hi:[0,0,1]
	v_pk_fma_f32 v[8:9], v[20:21], s[16:17], v[8:9] op_sel_hi:[1,0,1]
	s_nop 0
	v_mov_b32_e32 v23, v9
	v_pk_add_f32 v[6:7], v[6:7], v[22:23]
	s_nop 0
	v_mov_b32_e32 v9, v7
.LBB361_19:
	v_mov_b32_e32 v7, v9
	flat_store_dwordx2 v[4:5], v[6:7]
.LBB361_20:
	s_or_b64 exec, exec, s[2:3]
	v_add_u32_e32 v10, 16, v10
	v_cmp_gt_i32_e64 s[2:3], s20, v10
	v_mad_i64_i32 v[4:5], s[6:7], v10, s8, 0
	v_cmp_le_i32_e32 vcc, v0, v10
	v_lshl_add_u64 v[4:5], v[4:5], 3, s[4:5]
	s_and_b64 s[6:7], s[2:3], vcc
	s_and_saveexec_b64 s[4:5], s[6:7]
	s_cbranch_execz .LBB361_24
; %bb.21:
	v_pk_mul_f32 v[8:9], v[18:19], s[18:19] op_sel:[0,1] op_sel_hi:[0,0]
	v_pk_fma_f32 v[6:7], v[16:17], s[18:19], v[8:9] op_sel_hi:[0,1,1] neg_lo:[0,0,1] neg_hi:[0,0,1]
	v_pk_fma_f32 v[8:9], v[16:17], s[18:19], v[8:9] op_sel_hi:[0,1,1]
	s_and_b64 vcc, exec, s[0:1]
	v_lshl_add_u64 v[0:1], v[0:1], 3, v[4:5]
	s_cbranch_vccnz .LBB361_23
; %bb.22:
	flat_load_dwordx2 v[16:17], v[0:1]
	s_mov_b32 s6, s17
	v_mov_b32_e32 v7, v9
	s_waitcnt vmcnt(0) lgkmcnt(0)
	v_pk_mul_f32 v[8:9], v[16:17], s[6:7] op_sel:[1,0] op_sel_hi:[0,0]
	v_pk_fma_f32 v[18:19], v[16:17], s[16:17], v[8:9] neg_lo:[0,0,1] neg_hi:[0,0,1]
	v_pk_fma_f32 v[8:9], v[16:17], s[16:17], v[8:9] op_sel_hi:[1,0,1]
	s_nop 0
	v_mov_b32_e32 v19, v9
	v_pk_add_f32 v[6:7], v[6:7], v[18:19]
	s_nop 0
	v_mov_b32_e32 v9, v7
.LBB361_23:
	v_mov_b32_e32 v7, v9
	flat_store_dwordx2 v[0:1], v[6:7]
.LBB361_24:
	s_or_b64 exec, exec, s[4:5]
	v_cmp_le_i32_e32 vcc, v2, v10
	s_and_b64 s[2:3], s[2:3], vcc
	s_and_saveexec_b64 s[4:5], s[2:3]
	s_cbranch_execz .LBB361_28
; %bb.25:
	v_pk_mul_f32 v[6:7], v[12:13], s[18:19] op_sel:[0,1] op_sel_hi:[0,0]
	v_pk_fma_f32 v[0:1], v[14:15], s[18:19], v[6:7] op_sel_hi:[0,1,1] neg_lo:[0,0,1] neg_hi:[0,0,1]
	v_pk_fma_f32 v[6:7], v[14:15], s[18:19], v[6:7] op_sel_hi:[0,1,1]
	s_and_b64 vcc, exec, s[0:1]
	v_lshl_add_u64 v[2:3], v[2:3], 3, v[4:5]
	s_cbranch_vccnz .LBB361_27
; %bb.26:
	flat_load_dwordx2 v[4:5], v[2:3]
	s_mov_b32 s0, s17
	v_mov_b32_e32 v1, v7
	s_waitcnt vmcnt(0) lgkmcnt(0)
	v_pk_mul_f32 v[6:7], v[4:5], s[0:1] op_sel:[1,0] op_sel_hi:[0,0]
	v_pk_fma_f32 v[8:9], v[4:5], s[16:17], v[6:7] neg_lo:[0,0,1] neg_hi:[0,0,1]
	v_pk_fma_f32 v[4:5], v[4:5], s[16:17], v[6:7] op_sel_hi:[1,0,1]
	s_nop 0
	v_mov_b32_e32 v9, v5
	v_pk_add_f32 v[0:1], v[0:1], v[8:9]
	s_nop 0
	v_mov_b32_e32 v7, v1
.LBB361_27:
	v_mov_b32_e32 v1, v7
	flat_store_dwordx2 v[2:3], v[0:1]
.LBB361_28:
	s_endpgm
	.section	.rodata,"a",@progbits
	.p2align	6, 0x0
	.amdhsa_kernel _ZL29rocblas_internal_gemmt_kernelIiLi16ELi32ELi8ELc78ELc84ELc85ELb0ELb0E19rocblas_complex_numIfEPKS1_PKS3_PKPS1_EviT_T9_T10_S9_lSB_S9_lSA_T11_S9_li
		.amdhsa_group_segment_fixed_size 4096
		.amdhsa_private_segment_fixed_size 0
		.amdhsa_kernarg_size 100
		.amdhsa_user_sgpr_count 2
		.amdhsa_user_sgpr_dispatch_ptr 0
		.amdhsa_user_sgpr_queue_ptr 0
		.amdhsa_user_sgpr_kernarg_segment_ptr 1
		.amdhsa_user_sgpr_dispatch_id 0
		.amdhsa_user_sgpr_kernarg_preload_length 0
		.amdhsa_user_sgpr_kernarg_preload_offset 0
		.amdhsa_user_sgpr_private_segment_size 0
		.amdhsa_uses_dynamic_stack 0
		.amdhsa_enable_private_segment 0
		.amdhsa_system_sgpr_workgroup_id_x 1
		.amdhsa_system_sgpr_workgroup_id_y 1
		.amdhsa_system_sgpr_workgroup_id_z 1
		.amdhsa_system_sgpr_workgroup_info 0
		.amdhsa_system_vgpr_workitem_id 1
		.amdhsa_next_free_vgpr 52
		.amdhsa_next_free_sgpr 32
		.amdhsa_accum_offset 52
		.amdhsa_reserve_vcc 1
		.amdhsa_float_round_mode_32 0
		.amdhsa_float_round_mode_16_64 0
		.amdhsa_float_denorm_mode_32 3
		.amdhsa_float_denorm_mode_16_64 3
		.amdhsa_dx10_clamp 1
		.amdhsa_ieee_mode 1
		.amdhsa_fp16_overflow 0
		.amdhsa_tg_split 0
		.amdhsa_exception_fp_ieee_invalid_op 0
		.amdhsa_exception_fp_denorm_src 0
		.amdhsa_exception_fp_ieee_div_zero 0
		.amdhsa_exception_fp_ieee_overflow 0
		.amdhsa_exception_fp_ieee_underflow 0
		.amdhsa_exception_fp_ieee_inexact 0
		.amdhsa_exception_int_div_zero 0
	.end_amdhsa_kernel
	.section	.text._ZL29rocblas_internal_gemmt_kernelIiLi16ELi32ELi8ELc78ELc84ELc85ELb0ELb0E19rocblas_complex_numIfEPKS1_PKS3_PKPS1_EviT_T9_T10_S9_lSB_S9_lSA_T11_S9_li,"axG",@progbits,_ZL29rocblas_internal_gemmt_kernelIiLi16ELi32ELi8ELc78ELc84ELc85ELb0ELb0E19rocblas_complex_numIfEPKS1_PKS3_PKPS1_EviT_T9_T10_S9_lSB_S9_lSA_T11_S9_li,comdat
.Lfunc_end361:
	.size	_ZL29rocblas_internal_gemmt_kernelIiLi16ELi32ELi8ELc78ELc84ELc85ELb0ELb0E19rocblas_complex_numIfEPKS1_PKS3_PKPS1_EviT_T9_T10_S9_lSB_S9_lSA_T11_S9_li, .Lfunc_end361-_ZL29rocblas_internal_gemmt_kernelIiLi16ELi32ELi8ELc78ELc84ELc85ELb0ELb0E19rocblas_complex_numIfEPKS1_PKS3_PKPS1_EviT_T9_T10_S9_lSB_S9_lSA_T11_S9_li
                                        ; -- End function
	.set _ZL29rocblas_internal_gemmt_kernelIiLi16ELi32ELi8ELc78ELc84ELc85ELb0ELb0E19rocblas_complex_numIfEPKS1_PKS3_PKPS1_EviT_T9_T10_S9_lSB_S9_lSA_T11_S9_li.num_vgpr, 52
	.set _ZL29rocblas_internal_gemmt_kernelIiLi16ELi32ELi8ELc78ELc84ELc85ELb0ELb0E19rocblas_complex_numIfEPKS1_PKS3_PKPS1_EviT_T9_T10_S9_lSB_S9_lSA_T11_S9_li.num_agpr, 0
	.set _ZL29rocblas_internal_gemmt_kernelIiLi16ELi32ELi8ELc78ELc84ELc85ELb0ELb0E19rocblas_complex_numIfEPKS1_PKS3_PKPS1_EviT_T9_T10_S9_lSB_S9_lSA_T11_S9_li.numbered_sgpr, 32
	.set _ZL29rocblas_internal_gemmt_kernelIiLi16ELi32ELi8ELc78ELc84ELc85ELb0ELb0E19rocblas_complex_numIfEPKS1_PKS3_PKPS1_EviT_T9_T10_S9_lSB_S9_lSA_T11_S9_li.num_named_barrier, 0
	.set _ZL29rocblas_internal_gemmt_kernelIiLi16ELi32ELi8ELc78ELc84ELc85ELb0ELb0E19rocblas_complex_numIfEPKS1_PKS3_PKPS1_EviT_T9_T10_S9_lSB_S9_lSA_T11_S9_li.private_seg_size, 0
	.set _ZL29rocblas_internal_gemmt_kernelIiLi16ELi32ELi8ELc78ELc84ELc85ELb0ELb0E19rocblas_complex_numIfEPKS1_PKS3_PKPS1_EviT_T9_T10_S9_lSB_S9_lSA_T11_S9_li.uses_vcc, 1
	.set _ZL29rocblas_internal_gemmt_kernelIiLi16ELi32ELi8ELc78ELc84ELc85ELb0ELb0E19rocblas_complex_numIfEPKS1_PKS3_PKPS1_EviT_T9_T10_S9_lSB_S9_lSA_T11_S9_li.uses_flat_scratch, 0
	.set _ZL29rocblas_internal_gemmt_kernelIiLi16ELi32ELi8ELc78ELc84ELc85ELb0ELb0E19rocblas_complex_numIfEPKS1_PKS3_PKPS1_EviT_T9_T10_S9_lSB_S9_lSA_T11_S9_li.has_dyn_sized_stack, 0
	.set _ZL29rocblas_internal_gemmt_kernelIiLi16ELi32ELi8ELc78ELc84ELc85ELb0ELb0E19rocblas_complex_numIfEPKS1_PKS3_PKPS1_EviT_T9_T10_S9_lSB_S9_lSA_T11_S9_li.has_recursion, 0
	.set _ZL29rocblas_internal_gemmt_kernelIiLi16ELi32ELi8ELc78ELc84ELc85ELb0ELb0E19rocblas_complex_numIfEPKS1_PKS3_PKPS1_EviT_T9_T10_S9_lSB_S9_lSA_T11_S9_li.has_indirect_call, 0
	.section	.AMDGPU.csdata,"",@progbits
; Kernel info:
; codeLenInByte = 2480
; TotalNumSgprs: 38
; NumVgprs: 52
; NumAgprs: 0
; TotalNumVgprs: 52
; ScratchSize: 0
; MemoryBound: 0
; FloatMode: 240
; IeeeMode: 1
; LDSByteSize: 4096 bytes/workgroup (compile time only)
; SGPRBlocks: 4
; VGPRBlocks: 6
; NumSGPRsForWavesPerEU: 38
; NumVGPRsForWavesPerEU: 52
; AccumOffset: 52
; Occupancy: 8
; WaveLimiterHint : 1
; COMPUTE_PGM_RSRC2:SCRATCH_EN: 0
; COMPUTE_PGM_RSRC2:USER_SGPR: 2
; COMPUTE_PGM_RSRC2:TRAP_HANDLER: 0
; COMPUTE_PGM_RSRC2:TGID_X_EN: 1
; COMPUTE_PGM_RSRC2:TGID_Y_EN: 1
; COMPUTE_PGM_RSRC2:TGID_Z_EN: 1
; COMPUTE_PGM_RSRC2:TIDIG_COMP_CNT: 1
; COMPUTE_PGM_RSRC3_GFX90A:ACCUM_OFFSET: 12
; COMPUTE_PGM_RSRC3_GFX90A:TG_SPLIT: 0
	.section	.text._ZL29rocblas_internal_gemmt_kernelIiLi16ELi32ELi8ELc78ELc67ELc85ELb0ELb1E19rocblas_complex_numIfEPKS1_PKS3_PKPS1_EviT_T9_T10_S9_lSB_S9_lSA_T11_S9_li,"axG",@progbits,_ZL29rocblas_internal_gemmt_kernelIiLi16ELi32ELi8ELc78ELc67ELc85ELb0ELb1E19rocblas_complex_numIfEPKS1_PKS3_PKPS1_EviT_T9_T10_S9_lSB_S9_lSA_T11_S9_li,comdat
	.globl	_ZL29rocblas_internal_gemmt_kernelIiLi16ELi32ELi8ELc78ELc67ELc85ELb0ELb1E19rocblas_complex_numIfEPKS1_PKS3_PKPS1_EviT_T9_T10_S9_lSB_S9_lSA_T11_S9_li ; -- Begin function _ZL29rocblas_internal_gemmt_kernelIiLi16ELi32ELi8ELc78ELc67ELc85ELb0ELb1E19rocblas_complex_numIfEPKS1_PKS3_PKPS1_EviT_T9_T10_S9_lSB_S9_lSA_T11_S9_li
	.p2align	8
	.type	_ZL29rocblas_internal_gemmt_kernelIiLi16ELi32ELi8ELc78ELc67ELc85ELb0ELb1E19rocblas_complex_numIfEPKS1_PKS3_PKPS1_EviT_T9_T10_S9_lSB_S9_lSA_T11_S9_li,@function
_ZL29rocblas_internal_gemmt_kernelIiLi16ELi32ELi8ELc78ELc67ELc85ELb0ELb1E19rocblas_complex_numIfEPKS1_PKS3_PKPS1_EviT_T9_T10_S9_lSB_S9_lSA_T11_S9_li: ; @_ZL29rocblas_internal_gemmt_kernelIiLi16ELi32ELi8ELc78ELc67ELc85ELb0ELb1E19rocblas_complex_numIfEPKS1_PKS3_PKPS1_EviT_T9_T10_S9_lSB_S9_lSA_T11_S9_li
; %bb.0:
	s_load_dwordx4 s[8:11], s[0:1], 0x38
	s_load_dwordx4 s[12:15], s[0:1], 0x8
	s_waitcnt lgkmcnt(0)
	s_load_dwordx2 s[6:7], s[10:11], 0x0
	s_load_dwordx2 s[18:19], s[0:1], 0x0
	;; [unrolled: 1-line block ×3, first 2 shown]
	s_waitcnt lgkmcnt(0)
	s_and_b32 s5, s7, 0x7fffffff
	s_cmp_eq_u32 s5, 0
	v_cmp_eq_f32_e64 s[12:13], s6, 1.0
	s_cselect_b64 s[10:11], -1, 0
	s_and_b64 s[12:13], s[12:13], s[10:11]
	s_and_b64 vcc, exec, s[12:13]
	s_cbranch_vccnz .LBB362_2
; %bb.1:
	s_mov_b64 s[12:13], -1
	s_cbranch_execz .LBB362_3
	s_branch .LBB362_4
.LBB362_2:
	s_mov_b64 s[12:13], 0
.LBB362_3:
	s_cmp_lg_u32 s19, 0
	v_cmp_neq_f32_e64 s[20:21], s16, 0
	v_cmp_neq_f32_e64 s[22:23], s17, 0
	s_cselect_b64 s[12:13], -1, 0
	s_or_b64 s[20:21], s[20:21], s[22:23]
	s_and_b64 s[12:13], s[12:13], s[20:21]
.LBB362_4:
	s_andn2_b64 vcc, exec, s[12:13]
	s_cbranch_vccnz .LBB362_30
; %bb.5:
	s_load_dwordx2 s[12:13], s[0:1], 0x48
	s_mov_b32 s5, 0
	s_lshl_b64 s[20:21], s[4:5], 3
	v_cmp_eq_f32_e64 s[24:25], s17, 0
	v_and_b32_e32 v13, 0x3ff, v0
	s_waitcnt lgkmcnt(0)
	s_add_u32 s12, s12, s20
	s_addc_u32 s13, s13, s21
	s_lshl_b32 s4, s2, 5
	s_lshl_b32 s22, s3, 5
	v_cmp_eq_f32_e64 s[2:3], s16, 0
	s_load_dwordx2 s[12:13], s[12:13], 0x0
	s_and_b64 s[2:3], s[2:3], s[24:25]
	s_cmp_lt_i32 s19, 1
	s_cselect_b64 s[24:25], -1, 0
	s_or_b64 s[2:3], s[2:3], s[24:25]
	v_bfe_u32 v15, v0, 10, 10
	v_mov_b32_e32 v24, 0
	s_and_b64 vcc, exec, s[2:3]
	v_mov_b32_e32 v26, 0
	v_mov_b32_e32 v20, 0
	v_mov_b32_e32 v22, 0
	v_mov_b32_e32 v16, 0
	v_mov_b32_e32 v18, 0
	v_mov_b32_e32 v12, 0
	v_mov_b32_e32 v14, 0
	s_cbranch_vccnz .LBB362_14
; %bb.6:
	s_load_dword s28, s[0:1], 0x18
	s_load_dwordx4 s[24:27], s[0:1], 0x20
	s_load_dword s30, s[0:1], 0x30
	v_lshl_add_u32 v1, v15, 4, v13
	v_and_b32_e32 v4, 31, v1
	s_waitcnt lgkmcnt(0)
	s_ashr_i32 s29, s28, 31
	v_lshrrev_b32_e32 v19, 5, v1
	s_ashr_i32 s31, s30, 31
	s_add_u32 s2, s26, s20
	v_lshrrev_b32_e32 v2, 3, v1
	v_or_b32_e32 v1, s4, v4
	s_addc_u32 s3, s27, s21
	v_and_b32_e32 v17, 7, v13
	s_load_dwordx2 s[26:27], s[2:3], 0x0
	s_add_u32 s2, s14, s20
	v_cmp_gt_i32_e32 vcc, s18, v1
	v_lshlrev_b32_e32 v1, 3, v4
	s_addc_u32 s3, s15, s21
	v_lshl_or_b32 v21, v19, 8, v1
	v_lshlrev_b32_e32 v1, 3, v17
	v_add_u32_e32 v0, s22, v2
	s_load_dwordx2 s[14:15], s[2:3], 0x0
	v_lshl_or_b32 v1, v2, 6, v1
	v_mov_b32_e32 v2, 0x800
	v_lshl_add_u32 v27, v15, 6, v2
	v_mad_i64_i32 v[2:3], s[20:21], v19, s28, 0
	s_lshl_b64 s[20:21], s[24:25], 3
	v_add_u32_e32 v4, s4, v4
	v_lshl_add_u64 v[2:3], v[2:3], 3, s[20:21]
	v_ashrrev_i32_e32 v5, 31, v4
	v_lshl_add_u64 v[2:3], v[4:5], 3, v[2:3]
	s_waitcnt lgkmcnt(0)
	v_lshl_add_u64 v[8:9], s[14:15], 0, v[2:3]
	v_mad_i64_i32 v[2:3], s[20:21], s30, v17, 0
	s_lshl_b64 s[8:9], s[8:9], 3
	v_add_u32_e32 v23, 0x800, v1
	v_ashrrev_i32_e32 v1, 31, v0
	v_lshl_add_u64 v[2:3], v[2:3], 3, s[8:9]
	v_cmp_gt_i32_e64 s[2:3], s18, v0
	v_lshl_add_u64 v[0:1], v[0:1], 3, v[2:3]
	v_lshlrev_b32_e32 v25, 3, v13
	s_lshl_b64 s[14:15], s[28:29], 6
	v_lshl_add_u64 v[10:11], s[26:27], 0, v[0:1]
	s_lshl_b64 s[8:9], s[30:31], 6
	v_mov_b32_e32 v28, 0
	s_xor_b64 s[20:21], s[2:3], -1
	v_mov_b32_e32 v14, 0
	v_mov_b32_e32 v12, 0
	;; [unrolled: 1-line block ×8, first 2 shown]
	s_branch .LBB362_8
.LBB362_7:                              ;   in Loop: Header=BB362_8 Depth=1
	s_or_b64 exec, exec, s[2:3]
	ds_write_b32 v23, v0 offset:4
	s_waitcnt lgkmcnt(0)
	s_barrier
	ds_read2_b64 v[30:33], v25 offset1:16
	ds_read_b128 v[34:37], v27
	ds_read_b128 v[38:41], v27 offset:16
	ds_read_b128 v[4:7], v27 offset:32
	;; [unrolled: 1-line block ×3, first 2 shown]
	ds_read2_b64 v[50:53], v25 offset0:32 offset1:48
	s_waitcnt lgkmcnt(4)
	v_mul_f32_e32 v42, v34, v31
	v_fmac_f32_e32 v42, v35, v30
	v_add_f32_e32 v26, v26, v42
	ds_read_b128 v[42:45], v27 offset:1024
	ds_read_b128 v[46:49], v27 offset:1040
	v_mul_f32_e32 v29, v35, v31
	v_fma_f32 v29, v34, v30, -v29
	v_add_f32_e32 v24, v24, v29
	v_mul_f32_e32 v29, v35, v33
	v_fma_f32 v29, v34, v32, -v29
	v_add_f32_e32 v20, v20, v29
	s_waitcnt lgkmcnt(1)
	v_mul_f32_e32 v29, v43, v31
	v_mul_f32_e32 v31, v42, v31
	v_fma_f32 v29, v42, v30, -v29
	v_fmac_f32_e32 v31, v43, v30
	v_mul_f32_e32 v30, v42, v33
	v_fmac_f32_e32 v30, v43, v32
	v_add_f32_e32 v14, v14, v30
	v_mul_f32_e32 v30, v36, v51
	v_mul_f32_e32 v34, v34, v33
	v_fmac_f32_e32 v30, v37, v50
	v_fmac_f32_e32 v34, v35, v32
	v_add_f32_e32 v26, v26, v30
	v_mul_f32_e32 v30, v36, v53
	v_add_f32_e32 v22, v22, v34
	v_add_f32_e32 v16, v16, v29
	v_mul_f32_e32 v29, v43, v33
	v_fmac_f32_e32 v30, v37, v52
	v_fma_f32 v29, v42, v32, -v29
	v_add_f32_e32 v22, v22, v30
	v_mul_f32_e32 v30, v44, v51
	v_add_f32_e32 v18, v18, v31
	v_add_f32_e32 v12, v12, v29
	v_mul_f32_e32 v29, v37, v51
	v_fmac_f32_e32 v30, v45, v50
	v_fma_f32 v29, v36, v50, -v29
	v_add_f32_e32 v18, v18, v30
	ds_read2_b64 v[30:33], v25 offset0:64 offset1:80
	v_add_f32_e32 v24, v24, v29
	v_mul_f32_e32 v29, v37, v53
	v_fma_f32 v29, v36, v52, -v29
	v_add_f32_e32 v20, v20, v29
	v_mul_f32_e32 v29, v45, v51
	v_mul_f32_e32 v34, v44, v53
	v_fma_f32 v29, v44, v50, -v29
	v_fmac_f32_e32 v34, v45, v52
	v_add_f32_e32 v16, v16, v29
	v_mul_f32_e32 v29, v45, v53
	v_add_f32_e32 v14, v14, v34
	s_waitcnt lgkmcnt(0)
	v_mul_f32_e32 v34, v38, v31
	v_fma_f32 v29, v44, v52, -v29
	v_fmac_f32_e32 v34, v39, v30
	v_add_f32_e32 v12, v12, v29
	v_mul_f32_e32 v29, v39, v31
	v_add_f32_e32 v26, v26, v34
	v_mul_f32_e32 v34, v38, v33
	v_fma_f32 v29, v38, v30, -v29
	v_fmac_f32_e32 v34, v39, v32
	v_add_f32_e32 v24, v24, v29
	v_mul_f32_e32 v29, v39, v33
	v_add_f32_e32 v22, v22, v34
	ds_read2_b64 v[34:37], v25 offset0:96 offset1:112
	v_fma_f32 v29, v38, v32, -v29
	v_add_f32_e32 v20, v20, v29
	v_mul_f32_e32 v29, v47, v31
	v_mul_f32_e32 v31, v46, v31
	v_fma_f32 v29, v46, v30, -v29
	v_fmac_f32_e32 v31, v47, v30
	v_mul_f32_e32 v30, v46, v33
	v_fmac_f32_e32 v30, v47, v32
	v_add_f32_e32 v14, v14, v30
	s_waitcnt lgkmcnt(0)
	v_mul_f32_e32 v30, v40, v35
	v_fmac_f32_e32 v30, v41, v34
	v_add_f32_e32 v16, v16, v29
	v_mul_f32_e32 v29, v47, v33
	v_add_f32_e32 v26, v26, v30
	v_mul_f32_e32 v30, v40, v37
	v_fma_f32 v29, v46, v32, -v29
	v_fmac_f32_e32 v30, v41, v36
	v_add_f32_e32 v12, v12, v29
	v_mul_f32_e32 v29, v41, v35
	v_add_f32_e32 v22, v22, v30
	v_mul_f32_e32 v30, v48, v35
	v_add_f32_e32 v18, v18, v31
	v_fma_f32 v29, v40, v34, -v29
	v_fmac_f32_e32 v30, v49, v34
	v_add_f32_e32 v24, v24, v29
	v_mul_f32_e32 v29, v41, v37
	v_add_f32_e32 v18, v18, v30
	ds_read2_b64 v[30:33], v25 offset0:128 offset1:144
	v_fma_f32 v29, v40, v36, -v29
	v_add_f32_e32 v20, v20, v29
	v_mul_f32_e32 v29, v49, v35
	v_fma_f32 v29, v48, v34, -v29
	v_mul_f32_e32 v34, v48, v37
	v_fmac_f32_e32 v34, v49, v36
	v_add_f32_e32 v14, v14, v34
	s_waitcnt lgkmcnt(0)
	v_mul_f32_e32 v34, v4, v31
	v_add_f32_e32 v16, v16, v29
	v_mul_f32_e32 v29, v49, v37
	v_fmac_f32_e32 v34, v5, v30
	v_fma_f32 v29, v48, v36, -v29
	v_add_f32_e32 v26, v26, v34
	ds_read_b128 v[34:37], v27 offset:1056
	ds_read_b128 v[38:41], v27 offset:1072
	v_add_f32_e32 v12, v12, v29
	v_mul_f32_e32 v29, v5, v31
	v_fma_f32 v29, v4, v30, -v29
	v_add_f32_e32 v24, v24, v29
	v_mul_f32_e32 v29, v5, v33
	v_fma_f32 v29, v4, v32, -v29
	v_mul_f32_e32 v4, v4, v33
	ds_read2_b64 v[42:45], v25 offset0:160 offset1:176
	v_fmac_f32_e32 v4, v5, v32
	v_add_f32_e32 v5, v20, v29
	s_waitcnt lgkmcnt(2)
	v_mul_f32_e32 v20, v35, v31
	v_fma_f32 v20, v34, v30, -v20
	v_add_f32_e32 v16, v16, v20
	v_mul_f32_e32 v20, v35, v33
	v_add_f32_e32 v4, v22, v4
	v_mul_f32_e32 v22, v34, v31
	v_fma_f32 v20, v34, v32, -v20
	v_fmac_f32_e32 v22, v35, v30
	v_add_f32_e32 v12, v12, v20
	s_waitcnt lgkmcnt(0)
	v_mul_f32_e32 v20, v7, v43
	v_add_f32_e32 v18, v18, v22
	v_mul_f32_e32 v22, v34, v33
	v_fma_f32 v20, v6, v42, -v20
	v_fmac_f32_e32 v22, v35, v32
	v_add_f32_e32 v20, v24, v20
	v_mul_f32_e32 v24, v7, v45
	v_add_f32_e32 v14, v14, v22
	v_mul_f32_e32 v22, v6, v43
	v_fma_f32 v24, v6, v44, -v24
	v_mul_f32_e32 v6, v6, v45
	v_fmac_f32_e32 v22, v7, v42
	v_fmac_f32_e32 v6, v7, v44
	v_add_f32_e32 v22, v26, v22
	v_add_f32_e32 v26, v4, v6
	v_mul_f32_e32 v4, v37, v43
	v_add_f32_e32 v24, v5, v24
	v_fma_f32 v4, v36, v42, -v4
	v_mul_f32_e32 v5, v36, v43
	v_fmac_f32_e32 v5, v37, v42
	v_add_f32_e32 v16, v16, v4
	v_mul_f32_e32 v4, v37, v45
	v_add_f32_e32 v18, v18, v5
	v_fma_f32 v29, v36, v44, -v4
	ds_read2_b64 v[4:7], v25 offset0:192 offset1:208
	v_mul_f32_e32 v30, v36, v45
	v_fmac_f32_e32 v30, v37, v44
	v_add_f32_e32 v12, v12, v29
	v_add_f32_e32 v14, v14, v30
	s_waitcnt lgkmcnt(0)
	v_mul_f32_e32 v29, v1, v5
	v_fma_f32 v29, v0, v4, -v29
	v_mul_f32_e32 v30, v0, v5
	v_fmac_f32_e32 v30, v1, v4
	v_add_f32_e32 v20, v20, v29
	v_mul_f32_e32 v29, v1, v7
	v_add_f32_e32 v22, v22, v30
	v_fma_f32 v29, v0, v6, -v29
	v_mul_f32_e32 v0, v0, v7
	ds_read2_b64 v[30:33], v25 offset0:224 offset1:240
	v_fmac_f32_e32 v0, v1, v6
	v_add_f32_e32 v1, v24, v29
	v_mul_f32_e32 v24, v39, v5
	v_fma_f32 v24, v38, v4, -v24
	v_mul_f32_e32 v5, v38, v5
	v_fmac_f32_e32 v5, v39, v4
	v_add_f32_e32 v4, v16, v24
	v_mul_f32_e32 v16, v39, v7
	v_fma_f32 v16, v38, v6, -v16
	v_mul_f32_e32 v7, v38, v7
	v_fmac_f32_e32 v7, v39, v6
	v_add_f32_e32 v6, v12, v16
	s_waitcnt lgkmcnt(0)
	v_mul_f32_e32 v12, v3, v31
	v_fma_f32 v12, v2, v30, -v12
	v_add_f32_e32 v24, v20, v12
	v_mul_f32_e32 v12, v3, v33
	v_add_f32_e32 v7, v14, v7
	v_mul_f32_e32 v14, v2, v31
	v_fma_f32 v12, v2, v32, -v12
	v_mul_f32_e32 v2, v2, v33
	v_add_f32_e32 v0, v26, v0
	v_fmac_f32_e32 v14, v3, v30
	v_fmac_f32_e32 v2, v3, v32
	v_add_f32_e32 v26, v22, v14
	v_add_f32_e32 v20, v1, v12
	;; [unrolled: 1-line block ×3, first 2 shown]
	v_mul_f32_e32 v0, v41, v31
	v_mul_f32_e32 v1, v40, v31
	v_add_f32_e32 v5, v18, v5
	v_fma_f32 v0, v40, v30, -v0
	v_fmac_f32_e32 v1, v41, v30
	v_add_f32_e32 v16, v4, v0
	v_add_f32_e32 v18, v5, v1
	v_mul_f32_e32 v0, v41, v33
	v_mul_f32_e32 v1, v40, v33
	v_fma_f32 v0, v40, v32, -v0
	v_fmac_f32_e32 v1, v41, v32
	s_add_i32 s5, s5, 8
	v_add_f32_e32 v12, v6, v0
	v_add_f32_e32 v14, v7, v1
	v_lshl_add_u64 v[8:9], v[8:9], 0, s[14:15]
	s_cmp_lt_i32 s5, s19
	v_lshl_add_u64 v[10:11], v[10:11], 0, s[8:9]
	s_barrier
	s_cbranch_scc0 .LBB362_14
.LBB362_8:                              ; =>This Inner Loop Header: Depth=1
	v_add_u32_e32 v0, s5, v19
	v_cmp_gt_i32_e64 s[2:3], s19, v0
	s_and_b64 s[24:25], vcc, s[2:3]
	v_mov_b32_e32 v0, 0
	v_mov_b32_e32 v1, 0
	s_and_saveexec_b64 s[2:3], s[24:25]
	s_cbranch_execz .LBB362_10
; %bb.9:                                ;   in Loop: Header=BB362_8 Depth=1
	flat_load_dwordx2 v[0:1], v[8:9]
.LBB362_10:                             ;   in Loop: Header=BB362_8 Depth=1
	s_or_b64 exec, exec, s[2:3]
	s_waitcnt vmcnt(0) lgkmcnt(0)
	ds_write_b64 v21, v[0:1]
	v_add_u32_e32 v0, s5, v17
	v_cmp_le_i32_e64 s[2:3], s19, v0
	s_or_b64 s[2:3], s[2:3], s[20:21]
	s_and_saveexec_b64 s[24:25], s[2:3]
	s_xor_b64 s[2:3], exec, s[24:25]
; %bb.11:                               ;   in Loop: Header=BB362_8 Depth=1
	ds_write_b32 v23, v28
; %bb.12:                               ;   in Loop: Header=BB362_8 Depth=1
	s_or_saveexec_b64 s[2:3], s[2:3]
	v_mov_b32_e32 v0, 0
	s_xor_b64 exec, exec, s[2:3]
	s_cbranch_execz .LBB362_7
; %bb.13:                               ;   in Loop: Header=BB362_8 Depth=1
	flat_load_dwordx2 v[2:3], v[10:11]
	s_waitcnt vmcnt(0) lgkmcnt(0)
	v_xor_b32_e32 v0, 0x80000000, v3
	ds_write_b32 v23, v2
	s_branch .LBB362_7
.LBB362_14:
	s_load_dwordx2 s[2:3], s[0:1], 0x58
	s_load_dword s14, s[0:1], 0x50
	v_add_u32_e32 v0, s4, v13
	v_add_u32_e32 v10, s22, v15
	v_cmp_neq_f32_e64 s[0:1], s6, 0
	s_waitcnt lgkmcnt(0)
	s_lshl_b64 s[2:3], s[2:3], 3
	s_add_u32 s4, s12, s2
	s_addc_u32 s5, s13, s3
	s_xor_b64 s[8:9], s[10:11], -1
	v_mad_i64_i32 v[2:3], s[10:11], v10, s14, 0
	s_or_b64 s[0:1], s[0:1], s[8:9]
	v_cmp_gt_i32_e64 s[2:3], s18, v10
	v_lshl_add_u64 v[4:5], v[2:3], 3, s[4:5]
	v_cmp_le_i32_e32 vcc, v0, v10
	v_cndmask_b32_e64 v2, 0, 1, s[0:1]
	s_and_b64 s[10:11], s[2:3], vcc
	v_ashrrev_i32_e32 v1, 31, v0
	v_cmp_ne_u32_e64 s[0:1], 1, v2
	s_and_saveexec_b64 s[8:9], s[10:11]
	s_cbranch_execz .LBB362_18
; %bb.15:
	v_pk_mul_f32 v[6:7], v[26:27], s[16:17] op_sel:[0,1] op_sel_hi:[0,0]
	v_pk_fma_f32 v[2:3], v[24:25], s[16:17], v[6:7] op_sel_hi:[0,1,1] neg_lo:[0,0,1] neg_hi:[0,0,1]
	v_pk_fma_f32 v[8:9], v[24:25], s[16:17], v[6:7] op_sel_hi:[0,1,1]
	s_and_b64 vcc, exec, s[0:1]
	v_lshl_add_u64 v[6:7], v[0:1], 3, v[4:5]
	s_cbranch_vccnz .LBB362_17
; %bb.16:
	flat_load_dwordx2 v[24:25], v[6:7]
	s_mov_b32 s10, s7
	v_mov_b32_e32 v3, v9
	s_waitcnt vmcnt(0) lgkmcnt(0)
	v_pk_mul_f32 v[8:9], v[24:25], s[10:11] op_sel:[1,0] op_sel_hi:[0,0]
	v_pk_fma_f32 v[26:27], v[24:25], s[6:7], v[8:9] neg_lo:[0,0,1] neg_hi:[0,0,1]
	v_pk_fma_f32 v[8:9], v[24:25], s[6:7], v[8:9] op_sel_hi:[1,0,1]
	s_nop 0
	v_mov_b32_e32 v27, v9
	v_pk_add_f32 v[2:3], v[2:3], v[26:27]
	s_nop 0
	v_mov_b32_e32 v9, v3
.LBB362_17:
	v_mov_b32_e32 v3, v9
	flat_store_dwordx2 v[6:7], v[2:3]
.LBB362_18:
	s_or_b64 exec, exec, s[8:9]
	v_add_u32_e32 v2, 16, v0
	v_cmp_le_i32_e32 vcc, v2, v10
	s_and_b64 s[8:9], s[2:3], vcc
	v_ashrrev_i32_e32 v3, 31, v2
	s_and_saveexec_b64 s[2:3], s[8:9]
	s_cbranch_execz .LBB362_22
; %bb.19:
	v_pk_mul_f32 v[8:9], v[22:23], s[16:17] op_sel:[0,1] op_sel_hi:[0,0]
	v_pk_fma_f32 v[6:7], v[20:21], s[16:17], v[8:9] op_sel_hi:[0,1,1] neg_lo:[0,0,1] neg_hi:[0,0,1]
	v_pk_fma_f32 v[8:9], v[20:21], s[16:17], v[8:9] op_sel_hi:[0,1,1]
	s_and_b64 vcc, exec, s[0:1]
	v_lshl_add_u64 v[4:5], v[2:3], 3, v[4:5]
	s_cbranch_vccnz .LBB362_21
; %bb.20:
	flat_load_dwordx2 v[20:21], v[4:5]
	s_mov_b32 s8, s7
	v_mov_b32_e32 v7, v9
	s_waitcnt vmcnt(0) lgkmcnt(0)
	v_pk_mul_f32 v[8:9], v[20:21], s[8:9] op_sel:[1,0] op_sel_hi:[0,0]
	v_pk_fma_f32 v[22:23], v[20:21], s[6:7], v[8:9] neg_lo:[0,0,1] neg_hi:[0,0,1]
	v_pk_fma_f32 v[8:9], v[20:21], s[6:7], v[8:9] op_sel_hi:[1,0,1]
	s_nop 0
	v_mov_b32_e32 v23, v9
	v_pk_add_f32 v[6:7], v[6:7], v[22:23]
	s_nop 0
	v_mov_b32_e32 v9, v7
.LBB362_21:
	v_mov_b32_e32 v7, v9
	flat_store_dwordx2 v[4:5], v[6:7]
.LBB362_22:
	s_or_b64 exec, exec, s[2:3]
	v_add_u32_e32 v10, 16, v10
	v_cmp_gt_i32_e64 s[2:3], s18, v10
	v_mad_i64_i32 v[4:5], s[8:9], v10, s14, 0
	v_cmp_le_i32_e32 vcc, v0, v10
	v_lshl_add_u64 v[4:5], v[4:5], 3, s[4:5]
	s_and_b64 s[8:9], s[2:3], vcc
	s_and_saveexec_b64 s[4:5], s[8:9]
	s_cbranch_execz .LBB362_26
; %bb.23:
	v_pk_mul_f32 v[8:9], v[18:19], s[16:17] op_sel:[0,1] op_sel_hi:[0,0]
	v_pk_fma_f32 v[6:7], v[16:17], s[16:17], v[8:9] op_sel_hi:[0,1,1] neg_lo:[0,0,1] neg_hi:[0,0,1]
	v_pk_fma_f32 v[8:9], v[16:17], s[16:17], v[8:9] op_sel_hi:[0,1,1]
	s_and_b64 vcc, exec, s[0:1]
	v_lshl_add_u64 v[0:1], v[0:1], 3, v[4:5]
	s_cbranch_vccnz .LBB362_25
; %bb.24:
	flat_load_dwordx2 v[16:17], v[0:1]
	s_mov_b32 s8, s7
	v_mov_b32_e32 v7, v9
	s_waitcnt vmcnt(0) lgkmcnt(0)
	v_pk_mul_f32 v[8:9], v[16:17], s[8:9] op_sel:[1,0] op_sel_hi:[0,0]
	v_pk_fma_f32 v[18:19], v[16:17], s[6:7], v[8:9] neg_lo:[0,0,1] neg_hi:[0,0,1]
	v_pk_fma_f32 v[8:9], v[16:17], s[6:7], v[8:9] op_sel_hi:[1,0,1]
	s_nop 0
	v_mov_b32_e32 v19, v9
	v_pk_add_f32 v[6:7], v[6:7], v[18:19]
	s_nop 0
	v_mov_b32_e32 v9, v7
.LBB362_25:
	v_mov_b32_e32 v7, v9
	flat_store_dwordx2 v[0:1], v[6:7]
.LBB362_26:
	s_or_b64 exec, exec, s[4:5]
	v_cmp_le_i32_e32 vcc, v2, v10
	s_and_b64 s[2:3], s[2:3], vcc
	s_and_saveexec_b64 s[4:5], s[2:3]
	s_cbranch_execz .LBB362_30
; %bb.27:
	v_pk_mul_f32 v[6:7], v[14:15], s[16:17] op_sel:[0,1] op_sel_hi:[0,0]
	v_pk_fma_f32 v[0:1], v[12:13], s[16:17], v[6:7] op_sel_hi:[0,1,1] neg_lo:[0,0,1] neg_hi:[0,0,1]
	v_pk_fma_f32 v[6:7], v[12:13], s[16:17], v[6:7] op_sel_hi:[0,1,1]
	s_and_b64 vcc, exec, s[0:1]
	v_lshl_add_u64 v[2:3], v[2:3], 3, v[4:5]
	s_cbranch_vccnz .LBB362_29
; %bb.28:
	flat_load_dwordx2 v[4:5], v[2:3]
	s_mov_b32 s0, s7
	v_mov_b32_e32 v1, v7
	s_waitcnt vmcnt(0) lgkmcnt(0)
	v_pk_mul_f32 v[6:7], v[4:5], s[0:1] op_sel:[1,0] op_sel_hi:[0,0]
	v_pk_fma_f32 v[8:9], v[4:5], s[6:7], v[6:7] neg_lo:[0,0,1] neg_hi:[0,0,1]
	v_pk_fma_f32 v[4:5], v[4:5], s[6:7], v[6:7] op_sel_hi:[1,0,1]
	s_nop 0
	v_mov_b32_e32 v9, v5
	v_pk_add_f32 v[0:1], v[0:1], v[8:9]
	s_nop 0
	v_mov_b32_e32 v7, v1
.LBB362_29:
	v_mov_b32_e32 v1, v7
	flat_store_dwordx2 v[2:3], v[0:1]
.LBB362_30:
	s_endpgm
	.section	.rodata,"a",@progbits
	.p2align	6, 0x0
	.amdhsa_kernel _ZL29rocblas_internal_gemmt_kernelIiLi16ELi32ELi8ELc78ELc67ELc85ELb0ELb1E19rocblas_complex_numIfEPKS1_PKS3_PKPS1_EviT_T9_T10_S9_lSB_S9_lSA_T11_S9_li
		.amdhsa_group_segment_fixed_size 4096
		.amdhsa_private_segment_fixed_size 0
		.amdhsa_kernarg_size 100
		.amdhsa_user_sgpr_count 2
		.amdhsa_user_sgpr_dispatch_ptr 0
		.amdhsa_user_sgpr_queue_ptr 0
		.amdhsa_user_sgpr_kernarg_segment_ptr 1
		.amdhsa_user_sgpr_dispatch_id 0
		.amdhsa_user_sgpr_kernarg_preload_length 0
		.amdhsa_user_sgpr_kernarg_preload_offset 0
		.amdhsa_user_sgpr_private_segment_size 0
		.amdhsa_uses_dynamic_stack 0
		.amdhsa_enable_private_segment 0
		.amdhsa_system_sgpr_workgroup_id_x 1
		.amdhsa_system_sgpr_workgroup_id_y 1
		.amdhsa_system_sgpr_workgroup_id_z 1
		.amdhsa_system_sgpr_workgroup_info 0
		.amdhsa_system_vgpr_workitem_id 1
		.amdhsa_next_free_vgpr 54
		.amdhsa_next_free_sgpr 32
		.amdhsa_accum_offset 56
		.amdhsa_reserve_vcc 1
		.amdhsa_float_round_mode_32 0
		.amdhsa_float_round_mode_16_64 0
		.amdhsa_float_denorm_mode_32 3
		.amdhsa_float_denorm_mode_16_64 3
		.amdhsa_dx10_clamp 1
		.amdhsa_ieee_mode 1
		.amdhsa_fp16_overflow 0
		.amdhsa_tg_split 0
		.amdhsa_exception_fp_ieee_invalid_op 0
		.amdhsa_exception_fp_denorm_src 0
		.amdhsa_exception_fp_ieee_div_zero 0
		.amdhsa_exception_fp_ieee_overflow 0
		.amdhsa_exception_fp_ieee_underflow 0
		.amdhsa_exception_fp_ieee_inexact 0
		.amdhsa_exception_int_div_zero 0
	.end_amdhsa_kernel
	.section	.text._ZL29rocblas_internal_gemmt_kernelIiLi16ELi32ELi8ELc78ELc67ELc85ELb0ELb1E19rocblas_complex_numIfEPKS1_PKS3_PKPS1_EviT_T9_T10_S9_lSB_S9_lSA_T11_S9_li,"axG",@progbits,_ZL29rocblas_internal_gemmt_kernelIiLi16ELi32ELi8ELc78ELc67ELc85ELb0ELb1E19rocblas_complex_numIfEPKS1_PKS3_PKPS1_EviT_T9_T10_S9_lSB_S9_lSA_T11_S9_li,comdat
.Lfunc_end362:
	.size	_ZL29rocblas_internal_gemmt_kernelIiLi16ELi32ELi8ELc78ELc67ELc85ELb0ELb1E19rocblas_complex_numIfEPKS1_PKS3_PKPS1_EviT_T9_T10_S9_lSB_S9_lSA_T11_S9_li, .Lfunc_end362-_ZL29rocblas_internal_gemmt_kernelIiLi16ELi32ELi8ELc78ELc67ELc85ELb0ELb1E19rocblas_complex_numIfEPKS1_PKS3_PKPS1_EviT_T9_T10_S9_lSB_S9_lSA_T11_S9_li
                                        ; -- End function
	.set _ZL29rocblas_internal_gemmt_kernelIiLi16ELi32ELi8ELc78ELc67ELc85ELb0ELb1E19rocblas_complex_numIfEPKS1_PKS3_PKPS1_EviT_T9_T10_S9_lSB_S9_lSA_T11_S9_li.num_vgpr, 54
	.set _ZL29rocblas_internal_gemmt_kernelIiLi16ELi32ELi8ELc78ELc67ELc85ELb0ELb1E19rocblas_complex_numIfEPKS1_PKS3_PKPS1_EviT_T9_T10_S9_lSB_S9_lSA_T11_S9_li.num_agpr, 0
	.set _ZL29rocblas_internal_gemmt_kernelIiLi16ELi32ELi8ELc78ELc67ELc85ELb0ELb1E19rocblas_complex_numIfEPKS1_PKS3_PKPS1_EviT_T9_T10_S9_lSB_S9_lSA_T11_S9_li.numbered_sgpr, 32
	.set _ZL29rocblas_internal_gemmt_kernelIiLi16ELi32ELi8ELc78ELc67ELc85ELb0ELb1E19rocblas_complex_numIfEPKS1_PKS3_PKPS1_EviT_T9_T10_S9_lSB_S9_lSA_T11_S9_li.num_named_barrier, 0
	.set _ZL29rocblas_internal_gemmt_kernelIiLi16ELi32ELi8ELc78ELc67ELc85ELb0ELb1E19rocblas_complex_numIfEPKS1_PKS3_PKPS1_EviT_T9_T10_S9_lSB_S9_lSA_T11_S9_li.private_seg_size, 0
	.set _ZL29rocblas_internal_gemmt_kernelIiLi16ELi32ELi8ELc78ELc67ELc85ELb0ELb1E19rocblas_complex_numIfEPKS1_PKS3_PKPS1_EviT_T9_T10_S9_lSB_S9_lSA_T11_S9_li.uses_vcc, 1
	.set _ZL29rocblas_internal_gemmt_kernelIiLi16ELi32ELi8ELc78ELc67ELc85ELb0ELb1E19rocblas_complex_numIfEPKS1_PKS3_PKPS1_EviT_T9_T10_S9_lSB_S9_lSA_T11_S9_li.uses_flat_scratch, 0
	.set _ZL29rocblas_internal_gemmt_kernelIiLi16ELi32ELi8ELc78ELc67ELc85ELb0ELb1E19rocblas_complex_numIfEPKS1_PKS3_PKPS1_EviT_T9_T10_S9_lSB_S9_lSA_T11_S9_li.has_dyn_sized_stack, 0
	.set _ZL29rocblas_internal_gemmt_kernelIiLi16ELi32ELi8ELc78ELc67ELc85ELb0ELb1E19rocblas_complex_numIfEPKS1_PKS3_PKPS1_EviT_T9_T10_S9_lSB_S9_lSA_T11_S9_li.has_recursion, 0
	.set _ZL29rocblas_internal_gemmt_kernelIiLi16ELi32ELi8ELc78ELc67ELc85ELb0ELb1E19rocblas_complex_numIfEPKS1_PKS3_PKPS1_EviT_T9_T10_S9_lSB_S9_lSA_T11_S9_li.has_indirect_call, 0
	.section	.AMDGPU.csdata,"",@progbits
; Kernel info:
; codeLenInByte = 2520
; TotalNumSgprs: 38
; NumVgprs: 54
; NumAgprs: 0
; TotalNumVgprs: 54
; ScratchSize: 0
; MemoryBound: 0
; FloatMode: 240
; IeeeMode: 1
; LDSByteSize: 4096 bytes/workgroup (compile time only)
; SGPRBlocks: 4
; VGPRBlocks: 6
; NumSGPRsForWavesPerEU: 38
; NumVGPRsForWavesPerEU: 54
; AccumOffset: 56
; Occupancy: 8
; WaveLimiterHint : 1
; COMPUTE_PGM_RSRC2:SCRATCH_EN: 0
; COMPUTE_PGM_RSRC2:USER_SGPR: 2
; COMPUTE_PGM_RSRC2:TRAP_HANDLER: 0
; COMPUTE_PGM_RSRC2:TGID_X_EN: 1
; COMPUTE_PGM_RSRC2:TGID_Y_EN: 1
; COMPUTE_PGM_RSRC2:TGID_Z_EN: 1
; COMPUTE_PGM_RSRC2:TIDIG_COMP_CNT: 1
; COMPUTE_PGM_RSRC3_GFX90A:ACCUM_OFFSET: 13
; COMPUTE_PGM_RSRC3_GFX90A:TG_SPLIT: 0
	.section	.text._ZL29rocblas_internal_gemmt_kernelIiLi16ELi32ELi8ELc84ELc78ELc85ELb0ELb0E19rocblas_complex_numIfEPKS1_PKS3_PKPS1_EviT_T9_T10_S9_lSB_S9_lSA_T11_S9_li,"axG",@progbits,_ZL29rocblas_internal_gemmt_kernelIiLi16ELi32ELi8ELc84ELc78ELc85ELb0ELb0E19rocblas_complex_numIfEPKS1_PKS3_PKPS1_EviT_T9_T10_S9_lSB_S9_lSA_T11_S9_li,comdat
	.globl	_ZL29rocblas_internal_gemmt_kernelIiLi16ELi32ELi8ELc84ELc78ELc85ELb0ELb0E19rocblas_complex_numIfEPKS1_PKS3_PKPS1_EviT_T9_T10_S9_lSB_S9_lSA_T11_S9_li ; -- Begin function _ZL29rocblas_internal_gemmt_kernelIiLi16ELi32ELi8ELc84ELc78ELc85ELb0ELb0E19rocblas_complex_numIfEPKS1_PKS3_PKPS1_EviT_T9_T10_S9_lSB_S9_lSA_T11_S9_li
	.p2align	8
	.type	_ZL29rocblas_internal_gemmt_kernelIiLi16ELi32ELi8ELc84ELc78ELc85ELb0ELb0E19rocblas_complex_numIfEPKS1_PKS3_PKPS1_EviT_T9_T10_S9_lSB_S9_lSA_T11_S9_li,@function
_ZL29rocblas_internal_gemmt_kernelIiLi16ELi32ELi8ELc84ELc78ELc85ELb0ELb0E19rocblas_complex_numIfEPKS1_PKS3_PKPS1_EviT_T9_T10_S9_lSB_S9_lSA_T11_S9_li: ; @_ZL29rocblas_internal_gemmt_kernelIiLi16ELi32ELi8ELc84ELc78ELc85ELb0ELb0E19rocblas_complex_numIfEPKS1_PKS3_PKPS1_EviT_T9_T10_S9_lSB_S9_lSA_T11_S9_li
; %bb.0:
	s_load_dwordx4 s[8:11], s[0:1], 0x38
	s_load_dwordx4 s[12:15], s[0:1], 0x8
	s_waitcnt lgkmcnt(0)
	s_load_dwordx2 s[16:17], s[10:11], 0x0
	s_load_dwordx2 s[20:21], s[0:1], 0x0
	;; [unrolled: 1-line block ×3, first 2 shown]
	s_waitcnt lgkmcnt(0)
	s_and_b32 s5, s17, 0x7fffffff
	s_cmp_eq_u32 s5, 0
	v_cmp_eq_f32_e64 s[6:7], s16, 1.0
	s_cselect_b64 s[10:11], -1, 0
	s_and_b64 s[6:7], s[6:7], s[10:11]
	s_and_b64 vcc, exec, s[6:7]
	s_cbranch_vccnz .LBB363_2
; %bb.1:
	s_mov_b64 s[6:7], -1
	s_cbranch_execz .LBB363_3
	s_branch .LBB363_4
.LBB363_2:
	s_mov_b64 s[6:7], 0
.LBB363_3:
	s_cmp_lg_u32 s21, 0
	v_cmp_neq_f32_e64 s[12:13], s18, 0
	v_cmp_neq_f32_e64 s[22:23], s19, 0
	s_cselect_b64 s[6:7], -1, 0
	s_or_b64 s[12:13], s[12:13], s[22:23]
	s_and_b64 s[6:7], s[6:7], s[12:13]
.LBB363_4:
	s_andn2_b64 vcc, exec, s[6:7]
	s_cbranch_vccnz .LBB363_28
; %bb.5:
	s_load_dwordx2 s[12:13], s[0:1], 0x48
	s_mov_b32 s5, 0
	s_lshl_b64 s[6:7], s[4:5], 3
	v_cmp_eq_f32_e64 s[24:25], s19, 0
	v_and_b32_e32 v13, 0x3ff, v0
	s_waitcnt lgkmcnt(0)
	s_add_u32 s12, s12, s6
	s_addc_u32 s13, s13, s7
	s_lshl_b32 s4, s2, 5
	s_lshl_b32 s22, s3, 5
	v_cmp_eq_f32_e64 s[2:3], s18, 0
	s_load_dwordx2 s[12:13], s[12:13], 0x0
	s_and_b64 s[2:3], s[2:3], s[24:25]
	s_cmp_lt_i32 s21, 1
	s_cselect_b64 s[24:25], -1, 0
	s_or_b64 s[2:3], s[2:3], s[24:25]
	v_bfe_u32 v15, v0, 10, 10
	v_mov_b32_e32 v24, 0
	s_and_b64 vcc, exec, s[2:3]
	v_mov_b32_e32 v26, 0
	v_mov_b32_e32 v20, 0
	;; [unrolled: 1-line block ×7, first 2 shown]
	s_cbranch_vccnz .LBB363_12
; %bb.6:
	s_load_dword s23, s[0:1], 0x18
	s_load_dwordx4 s[24:27], s[0:1], 0x20
	s_load_dword s28, s[0:1], 0x30
	v_lshl_add_u32 v0, v15, 4, v13
	v_and_b32_e32 v2, 31, v0
	v_lshrrev_b32_e32 v19, 5, v0
	v_lshrrev_b32_e32 v1, 3, v0
	v_or_b32_e32 v0, s4, v2
	v_and_b32_e32 v17, 7, v13
	s_waitcnt lgkmcnt(0)
	s_add_u32 s2, s26, s6
	v_cmp_gt_i32_e32 vcc, s20, v0
	v_lshlrev_b32_e32 v0, 3, v2
	s_addc_u32 s3, s27, s7
	v_lshl_or_b32 v21, v19, 8, v0
	v_lshlrev_b32_e32 v0, 3, v17
	v_add_u32_e32 v6, s22, v1
	s_load_dwordx2 s[26:27], s[2:3], 0x0
	s_add_u32 s2, s14, s6
	v_lshl_or_b32 v1, v1, 6, v0
	s_addc_u32 s3, s15, s7
	v_add_u32_e32 v23, 0x800, v1
	v_mov_b32_e32 v1, 0x800
	s_load_dwordx2 s[6:7], s[2:3], 0x0
	v_lshl_add_u32 v27, v15, 6, v1
	v_add_u32_e32 v1, s4, v2
	v_mad_i64_i32 v[2:3], s[14:15], s23, v1, 0
	s_lshl_b64 s[14:15], s[24:25], 3
	s_nop 0
	v_lshl_add_u64 v[2:3], v[2:3], 3, s[14:15]
	v_lshlrev_b32_e32 v4, 3, v19
	v_mov_b32_e32 v5, 0
	v_lshl_add_u64 v[2:3], v[2:3], 0, v[4:5]
	s_waitcnt lgkmcnt(0)
	v_lshl_add_u64 v[8:9], s[6:7], 0, v[2:3]
	v_mad_i64_i32 v[2:3], s[6:7], s28, v6, 0
	s_lshl_b64 s[6:7], s[8:9], 3
	s_nop 0
	v_lshl_add_u64 v[2:3], v[2:3], 3, s[6:7]
	v_mov_b32_e32 v1, v5
	v_lshl_add_u64 v[0:1], v[2:3], 0, v[0:1]
	v_cmp_gt_i32_e64 s[2:3], s20, v6
	v_lshlrev_b32_e32 v25, 3, v13
	v_lshl_add_u64 v[10:11], s[26:27], 0, v[0:1]
	v_mov_b32_e32 v14, v5
	v_mov_b32_e32 v12, v5
	;; [unrolled: 1-line block ×8, first 2 shown]
	s_branch .LBB363_8
.LBB363_7:                              ;   in Loop: Header=BB363_8 Depth=1
	s_or_b64 exec, exec, s[6:7]
	s_waitcnt vmcnt(0) lgkmcnt(0)
	ds_write_b64 v23, v[0:1]
	s_waitcnt lgkmcnt(0)
	s_barrier
	ds_read2_b64 v[28:31], v25 offset1:16
	ds_read_b128 v[32:35], v27
	ds_read_b128 v[36:39], v27 offset:16
	ds_read_b128 v[4:7], v27 offset:32
	;; [unrolled: 1-line block ×3, first 2 shown]
	ds_read2_b64 v[48:51], v25 offset0:32 offset1:48
	s_waitcnt lgkmcnt(4)
	v_mul_f32_e32 v40, v33, v29
	v_fma_f32 v40, v32, v28, -v40
	v_mul_f32_e32 v41, v32, v29
	v_fmac_f32_e32 v41, v33, v28
	v_add_f32_e32 v24, v24, v40
	v_mul_f32_e32 v40, v33, v31
	v_add_f32_e32 v26, v26, v41
	v_fma_f32 v44, v32, v30, -v40
	ds_read_b128 v[40:43], v27 offset:1024
	v_mul_f32_e32 v32, v32, v31
	v_fmac_f32_e32 v32, v33, v30
	v_add_f32_e32 v20, v20, v44
	v_add_f32_e32 v22, v22, v32
	ds_read_b128 v[44:47], v27 offset:1040
	s_waitcnt lgkmcnt(1)
	v_mul_f32_e32 v32, v41, v29
	v_mul_f32_e32 v29, v40, v29
	v_fma_f32 v32, v40, v28, -v32
	v_fmac_f32_e32 v29, v41, v28
	v_mul_f32_e32 v28, v41, v31
	v_add_f32_e32 v18, v18, v29
	v_fma_f32 v28, v40, v30, -v28
	v_mul_f32_e32 v29, v40, v31
	v_fmac_f32_e32 v29, v41, v30
	v_add_f32_e32 v12, v12, v28
	v_mul_f32_e32 v28, v35, v49
	v_add_f32_e32 v14, v14, v29
	v_fma_f32 v28, v34, v48, -v28
	v_mul_f32_e32 v29, v34, v49
	v_fmac_f32_e32 v29, v35, v48
	v_add_f32_e32 v24, v24, v28
	;; [unrolled: 6-line block ×3, first 2 shown]
	v_mul_f32_e32 v28, v43, v49
	v_add_f32_e32 v16, v16, v32
	v_add_f32_e32 v22, v22, v29
	v_fma_f32 v28, v42, v48, -v28
	v_mul_f32_e32 v29, v42, v49
	v_fmac_f32_e32 v29, v43, v48
	v_add_f32_e32 v16, v16, v28
	v_mul_f32_e32 v28, v43, v51
	v_add_f32_e32 v18, v18, v29
	v_fma_f32 v32, v42, v50, -v28
	ds_read2_b64 v[28:31], v25 offset0:64 offset1:80
	v_mul_f32_e32 v33, v42, v51
	v_add_f32_e32 v12, v12, v32
	v_fmac_f32_e32 v33, v43, v50
	v_add_f32_e32 v14, v14, v33
	s_waitcnt lgkmcnt(0)
	v_mul_f32_e32 v32, v37, v29
	v_fma_f32 v32, v36, v28, -v32
	v_mul_f32_e32 v33, v36, v29
	v_add_f32_e32 v24, v24, v32
	v_mul_f32_e32 v32, v37, v31
	v_fmac_f32_e32 v33, v37, v28
	v_fma_f32 v32, v36, v30, -v32
	v_add_f32_e32 v26, v26, v33
	v_mul_f32_e32 v33, v36, v31
	v_add_f32_e32 v20, v20, v32
	v_mul_f32_e32 v32, v45, v29
	v_fmac_f32_e32 v33, v37, v30
	v_fma_f32 v32, v44, v28, -v32
	v_add_f32_e32 v22, v22, v33
	v_add_f32_e32 v16, v16, v32
	ds_read2_b64 v[32:35], v25 offset0:96 offset1:112
	v_mul_f32_e32 v29, v44, v29
	v_fmac_f32_e32 v29, v45, v28
	v_mul_f32_e32 v28, v45, v31
	v_add_f32_e32 v18, v18, v29
	v_fma_f32 v28, v44, v30, -v28
	v_mul_f32_e32 v29, v44, v31
	v_fmac_f32_e32 v29, v45, v30
	v_add_f32_e32 v12, v12, v28
	s_waitcnt lgkmcnt(0)
	v_mul_f32_e32 v28, v39, v33
	v_add_f32_e32 v14, v14, v29
	v_fma_f32 v28, v38, v32, -v28
	v_mul_f32_e32 v29, v38, v33
	v_fmac_f32_e32 v29, v39, v32
	v_add_f32_e32 v24, v24, v28
	v_mul_f32_e32 v28, v39, v35
	v_add_f32_e32 v26, v26, v29
	v_fma_f32 v28, v38, v34, -v28
	v_mul_f32_e32 v29, v38, v35
	v_fmac_f32_e32 v29, v39, v34
	v_add_f32_e32 v20, v20, v28
	;; [unrolled: 6-line block ×3, first 2 shown]
	v_mul_f32_e32 v28, v47, v35
	v_add_f32_e32 v18, v18, v29
	v_fma_f32 v32, v46, v34, -v28
	ds_read2_b64 v[28:31], v25 offset0:128 offset1:144
	v_mul_f32_e32 v33, v46, v35
	v_fmac_f32_e32 v33, v47, v34
	v_add_f32_e32 v12, v12, v32
	v_add_f32_e32 v14, v14, v33
	s_waitcnt lgkmcnt(0)
	v_mul_f32_e32 v32, v5, v29
	v_fma_f32 v32, v4, v28, -v32
	v_mul_f32_e32 v33, v4, v29
	v_fmac_f32_e32 v33, v5, v28
	v_add_f32_e32 v24, v24, v32
	v_mul_f32_e32 v32, v5, v31
	v_add_f32_e32 v26, v26, v33
	v_fma_f32 v36, v4, v30, -v32
	ds_read_b128 v[32:35], v27 offset:1056
	v_mul_f32_e32 v4, v4, v31
	ds_read2_b64 v[40:43], v25 offset0:160 offset1:176
	v_fmac_f32_e32 v4, v5, v30
	v_add_f32_e32 v5, v20, v36
	ds_read_b128 v[36:39], v27 offset:1072
	s_waitcnt lgkmcnt(2)
	v_mul_f32_e32 v20, v33, v29
	v_fma_f32 v20, v32, v28, -v20
	v_add_f32_e32 v16, v16, v20
	v_mul_f32_e32 v20, v33, v31
	v_add_f32_e32 v4, v22, v4
	v_mul_f32_e32 v22, v32, v29
	v_fma_f32 v20, v32, v30, -v20
	v_fmac_f32_e32 v22, v33, v28
	v_add_f32_e32 v12, v12, v20
	s_waitcnt lgkmcnt(1)
	v_mul_f32_e32 v20, v7, v41
	v_add_f32_e32 v18, v18, v22
	v_mul_f32_e32 v22, v32, v31
	v_fma_f32 v20, v6, v40, -v20
	v_fmac_f32_e32 v22, v33, v30
	v_add_f32_e32 v20, v24, v20
	v_mul_f32_e32 v24, v7, v43
	v_add_f32_e32 v14, v14, v22
	v_mul_f32_e32 v22, v6, v41
	v_fma_f32 v24, v6, v42, -v24
	v_mul_f32_e32 v6, v6, v43
	v_fmac_f32_e32 v22, v7, v40
	v_fmac_f32_e32 v6, v7, v42
	v_add_f32_e32 v22, v26, v22
	v_add_f32_e32 v26, v4, v6
	v_mul_f32_e32 v4, v35, v41
	v_add_f32_e32 v24, v5, v24
	v_fma_f32 v4, v34, v40, -v4
	v_mul_f32_e32 v5, v34, v41
	v_fmac_f32_e32 v5, v35, v40
	v_add_f32_e32 v16, v16, v4
	v_mul_f32_e32 v4, v35, v43
	v_add_f32_e32 v18, v18, v5
	v_fma_f32 v28, v34, v42, -v4
	ds_read2_b64 v[4:7], v25 offset0:192 offset1:208
	v_mul_f32_e32 v29, v34, v43
	v_add_f32_e32 v12, v12, v28
	v_fmac_f32_e32 v29, v35, v42
	v_add_f32_e32 v14, v14, v29
	s_waitcnt lgkmcnt(0)
	v_mul_f32_e32 v28, v1, v5
	v_fma_f32 v28, v0, v4, -v28
	v_mul_f32_e32 v29, v0, v5
	v_add_f32_e32 v20, v20, v28
	v_mul_f32_e32 v28, v1, v7
	v_fmac_f32_e32 v29, v1, v4
	v_fma_f32 v28, v0, v6, -v28
	v_mul_f32_e32 v0, v0, v7
	v_add_f32_e32 v22, v22, v29
	v_fmac_f32_e32 v0, v1, v6
	v_add_f32_e32 v1, v24, v28
	ds_read2_b64 v[28:31], v25 offset0:224 offset1:240
	v_mul_f32_e32 v24, v37, v5
	v_fma_f32 v24, v36, v4, -v24
	v_mul_f32_e32 v5, v36, v5
	v_fmac_f32_e32 v5, v37, v4
	v_add_f32_e32 v4, v16, v24
	v_mul_f32_e32 v16, v37, v7
	v_fma_f32 v16, v36, v6, -v16
	v_mul_f32_e32 v7, v36, v7
	v_fmac_f32_e32 v7, v37, v6
	v_add_f32_e32 v6, v12, v16
	s_waitcnt lgkmcnt(0)
	v_mul_f32_e32 v12, v3, v29
	v_fma_f32 v12, v2, v28, -v12
	v_add_f32_e32 v24, v20, v12
	v_mul_f32_e32 v12, v3, v31
	v_add_f32_e32 v7, v14, v7
	v_mul_f32_e32 v14, v2, v29
	v_fma_f32 v12, v2, v30, -v12
	v_mul_f32_e32 v2, v2, v31
	v_add_f32_e32 v0, v26, v0
	v_fmac_f32_e32 v14, v3, v28
	v_fmac_f32_e32 v2, v3, v30
	v_add_f32_e32 v26, v22, v14
	v_add_f32_e32 v20, v1, v12
	;; [unrolled: 1-line block ×3, first 2 shown]
	v_mul_f32_e32 v0, v39, v29
	v_mul_f32_e32 v1, v38, v29
	v_add_f32_e32 v5, v18, v5
	v_fma_f32 v0, v38, v28, -v0
	v_fmac_f32_e32 v1, v39, v28
	v_add_f32_e32 v16, v4, v0
	v_add_f32_e32 v18, v5, v1
	v_mul_f32_e32 v0, v39, v31
	v_mul_f32_e32 v1, v38, v31
	v_fma_f32 v0, v38, v30, -v0
	v_fmac_f32_e32 v1, v39, v30
	s_add_i32 s5, s5, 8
	v_add_f32_e32 v12, v6, v0
	v_add_f32_e32 v14, v7, v1
	v_lshl_add_u64 v[8:9], v[8:9], 0, 64
	s_cmp_lt_i32 s5, s21
	v_lshl_add_u64 v[10:11], v[10:11], 0, 64
	s_barrier
	s_cbranch_scc0 .LBB363_12
.LBB363_8:                              ; =>This Inner Loop Header: Depth=1
	v_add_u32_e32 v0, s5, v19
	v_cmp_gt_i32_e64 s[6:7], s21, v0
	s_and_b64 s[8:9], vcc, s[6:7]
	v_mov_b32_e32 v0, 0
	v_mov_b32_e32 v1, 0
	s_and_saveexec_b64 s[6:7], s[8:9]
	s_cbranch_execz .LBB363_10
; %bb.9:                                ;   in Loop: Header=BB363_8 Depth=1
	flat_load_dwordx2 v[0:1], v[8:9]
.LBB363_10:                             ;   in Loop: Header=BB363_8 Depth=1
	s_or_b64 exec, exec, s[6:7]
	s_waitcnt vmcnt(0) lgkmcnt(0)
	ds_write_b64 v21, v[0:1]
	v_add_u32_e32 v0, s5, v17
	v_cmp_gt_i32_e64 s[6:7], s21, v0
	s_and_b64 s[8:9], s[6:7], s[2:3]
	v_mov_b32_e32 v0, 0
	v_mov_b32_e32 v1, 0
	s_and_saveexec_b64 s[6:7], s[8:9]
	s_cbranch_execz .LBB363_7
; %bb.11:                               ;   in Loop: Header=BB363_8 Depth=1
	flat_load_dwordx2 v[0:1], v[10:11]
	s_branch .LBB363_7
.LBB363_12:
	s_load_dwordx2 s[2:3], s[0:1], 0x58
	s_load_dword s8, s[0:1], 0x50
	v_add_u32_e32 v0, s4, v13
	v_add_u32_e32 v10, s22, v15
	v_cmp_neq_f32_e64 s[0:1], s16, 0
	s_waitcnt lgkmcnt(0)
	s_lshl_b64 s[2:3], s[2:3], 3
	s_add_u32 s4, s12, s2
	s_addc_u32 s5, s13, s3
	s_xor_b64 s[6:7], s[10:11], -1
	v_mad_i64_i32 v[2:3], s[10:11], v10, s8, 0
	s_or_b64 s[0:1], s[0:1], s[6:7]
	v_cmp_gt_i32_e64 s[2:3], s20, v10
	v_lshl_add_u64 v[4:5], v[2:3], 3, s[4:5]
	v_cmp_le_i32_e32 vcc, v0, v10
	v_cndmask_b32_e64 v2, 0, 1, s[0:1]
	s_and_b64 s[10:11], s[2:3], vcc
	v_ashrrev_i32_e32 v1, 31, v0
	v_cmp_ne_u32_e64 s[0:1], 1, v2
	s_and_saveexec_b64 s[6:7], s[10:11]
	s_cbranch_execz .LBB363_16
; %bb.13:
	v_pk_mul_f32 v[6:7], v[26:27], s[18:19] op_sel:[0,1] op_sel_hi:[0,0]
	v_pk_fma_f32 v[2:3], v[24:25], s[18:19], v[6:7] op_sel_hi:[0,1,1] neg_lo:[0,0,1] neg_hi:[0,0,1]
	v_pk_fma_f32 v[8:9], v[24:25], s[18:19], v[6:7] op_sel_hi:[0,1,1]
	s_and_b64 vcc, exec, s[0:1]
	v_lshl_add_u64 v[6:7], v[0:1], 3, v[4:5]
	s_cbranch_vccnz .LBB363_15
; %bb.14:
	flat_load_dwordx2 v[24:25], v[6:7]
	s_mov_b32 s10, s17
	v_mov_b32_e32 v3, v9
	s_waitcnt vmcnt(0) lgkmcnt(0)
	v_pk_mul_f32 v[8:9], v[24:25], s[10:11] op_sel:[1,0] op_sel_hi:[0,0]
	v_pk_fma_f32 v[26:27], v[24:25], s[16:17], v[8:9] neg_lo:[0,0,1] neg_hi:[0,0,1]
	v_pk_fma_f32 v[8:9], v[24:25], s[16:17], v[8:9] op_sel_hi:[1,0,1]
	s_nop 0
	v_mov_b32_e32 v27, v9
	v_pk_add_f32 v[2:3], v[2:3], v[26:27]
	s_nop 0
	v_mov_b32_e32 v9, v3
.LBB363_15:
	v_mov_b32_e32 v3, v9
	flat_store_dwordx2 v[6:7], v[2:3]
.LBB363_16:
	s_or_b64 exec, exec, s[6:7]
	v_add_u32_e32 v2, 16, v0
	v_cmp_le_i32_e32 vcc, v2, v10
	s_and_b64 s[6:7], s[2:3], vcc
	v_ashrrev_i32_e32 v3, 31, v2
	s_and_saveexec_b64 s[2:3], s[6:7]
	s_cbranch_execz .LBB363_20
; %bb.17:
	v_pk_mul_f32 v[8:9], v[22:23], s[18:19] op_sel:[0,1] op_sel_hi:[0,0]
	v_pk_fma_f32 v[6:7], v[20:21], s[18:19], v[8:9] op_sel_hi:[0,1,1] neg_lo:[0,0,1] neg_hi:[0,0,1]
	v_pk_fma_f32 v[8:9], v[20:21], s[18:19], v[8:9] op_sel_hi:[0,1,1]
	s_and_b64 vcc, exec, s[0:1]
	v_lshl_add_u64 v[4:5], v[2:3], 3, v[4:5]
	s_cbranch_vccnz .LBB363_19
; %bb.18:
	flat_load_dwordx2 v[20:21], v[4:5]
	s_mov_b32 s6, s17
	v_mov_b32_e32 v7, v9
	s_waitcnt vmcnt(0) lgkmcnt(0)
	v_pk_mul_f32 v[8:9], v[20:21], s[6:7] op_sel:[1,0] op_sel_hi:[0,0]
	v_pk_fma_f32 v[22:23], v[20:21], s[16:17], v[8:9] neg_lo:[0,0,1] neg_hi:[0,0,1]
	v_pk_fma_f32 v[8:9], v[20:21], s[16:17], v[8:9] op_sel_hi:[1,0,1]
	s_nop 0
	v_mov_b32_e32 v23, v9
	v_pk_add_f32 v[6:7], v[6:7], v[22:23]
	s_nop 0
	v_mov_b32_e32 v9, v7
.LBB363_19:
	v_mov_b32_e32 v7, v9
	flat_store_dwordx2 v[4:5], v[6:7]
.LBB363_20:
	s_or_b64 exec, exec, s[2:3]
	v_add_u32_e32 v10, 16, v10
	v_cmp_gt_i32_e64 s[2:3], s20, v10
	v_mad_i64_i32 v[4:5], s[6:7], v10, s8, 0
	v_cmp_le_i32_e32 vcc, v0, v10
	v_lshl_add_u64 v[4:5], v[4:5], 3, s[4:5]
	s_and_b64 s[6:7], s[2:3], vcc
	s_and_saveexec_b64 s[4:5], s[6:7]
	s_cbranch_execz .LBB363_24
; %bb.21:
	v_pk_mul_f32 v[8:9], v[18:19], s[18:19] op_sel:[0,1] op_sel_hi:[0,0]
	v_pk_fma_f32 v[6:7], v[16:17], s[18:19], v[8:9] op_sel_hi:[0,1,1] neg_lo:[0,0,1] neg_hi:[0,0,1]
	v_pk_fma_f32 v[8:9], v[16:17], s[18:19], v[8:9] op_sel_hi:[0,1,1]
	s_and_b64 vcc, exec, s[0:1]
	v_lshl_add_u64 v[0:1], v[0:1], 3, v[4:5]
	s_cbranch_vccnz .LBB363_23
; %bb.22:
	flat_load_dwordx2 v[16:17], v[0:1]
	s_mov_b32 s6, s17
	v_mov_b32_e32 v7, v9
	s_waitcnt vmcnt(0) lgkmcnt(0)
	v_pk_mul_f32 v[8:9], v[16:17], s[6:7] op_sel:[1,0] op_sel_hi:[0,0]
	v_pk_fma_f32 v[18:19], v[16:17], s[16:17], v[8:9] neg_lo:[0,0,1] neg_hi:[0,0,1]
	v_pk_fma_f32 v[8:9], v[16:17], s[16:17], v[8:9] op_sel_hi:[1,0,1]
	s_nop 0
	v_mov_b32_e32 v19, v9
	v_pk_add_f32 v[6:7], v[6:7], v[18:19]
	s_nop 0
	v_mov_b32_e32 v9, v7
.LBB363_23:
	v_mov_b32_e32 v7, v9
	flat_store_dwordx2 v[0:1], v[6:7]
.LBB363_24:
	s_or_b64 exec, exec, s[4:5]
	v_cmp_le_i32_e32 vcc, v2, v10
	s_and_b64 s[2:3], s[2:3], vcc
	s_and_saveexec_b64 s[4:5], s[2:3]
	s_cbranch_execz .LBB363_28
; %bb.25:
	v_pk_mul_f32 v[6:7], v[14:15], s[18:19] op_sel:[0,1] op_sel_hi:[0,0]
	v_pk_fma_f32 v[0:1], v[12:13], s[18:19], v[6:7] op_sel_hi:[0,1,1] neg_lo:[0,0,1] neg_hi:[0,0,1]
	v_pk_fma_f32 v[6:7], v[12:13], s[18:19], v[6:7] op_sel_hi:[0,1,1]
	s_and_b64 vcc, exec, s[0:1]
	v_lshl_add_u64 v[2:3], v[2:3], 3, v[4:5]
	s_cbranch_vccnz .LBB363_27
; %bb.26:
	flat_load_dwordx2 v[4:5], v[2:3]
	s_mov_b32 s0, s17
	v_mov_b32_e32 v1, v7
	s_waitcnt vmcnt(0) lgkmcnt(0)
	v_pk_mul_f32 v[6:7], v[4:5], s[0:1] op_sel:[1,0] op_sel_hi:[0,0]
	v_pk_fma_f32 v[8:9], v[4:5], s[16:17], v[6:7] neg_lo:[0,0,1] neg_hi:[0,0,1]
	v_pk_fma_f32 v[4:5], v[4:5], s[16:17], v[6:7] op_sel_hi:[1,0,1]
	s_nop 0
	v_mov_b32_e32 v9, v5
	v_pk_add_f32 v[0:1], v[0:1], v[8:9]
	s_nop 0
	v_mov_b32_e32 v7, v1
.LBB363_27:
	v_mov_b32_e32 v1, v7
	flat_store_dwordx2 v[2:3], v[0:1]
.LBB363_28:
	s_endpgm
	.section	.rodata,"a",@progbits
	.p2align	6, 0x0
	.amdhsa_kernel _ZL29rocblas_internal_gemmt_kernelIiLi16ELi32ELi8ELc84ELc78ELc85ELb0ELb0E19rocblas_complex_numIfEPKS1_PKS3_PKPS1_EviT_T9_T10_S9_lSB_S9_lSA_T11_S9_li
		.amdhsa_group_segment_fixed_size 4096
		.amdhsa_private_segment_fixed_size 0
		.amdhsa_kernarg_size 100
		.amdhsa_user_sgpr_count 2
		.amdhsa_user_sgpr_dispatch_ptr 0
		.amdhsa_user_sgpr_queue_ptr 0
		.amdhsa_user_sgpr_kernarg_segment_ptr 1
		.amdhsa_user_sgpr_dispatch_id 0
		.amdhsa_user_sgpr_kernarg_preload_length 0
		.amdhsa_user_sgpr_kernarg_preload_offset 0
		.amdhsa_user_sgpr_private_segment_size 0
		.amdhsa_uses_dynamic_stack 0
		.amdhsa_enable_private_segment 0
		.amdhsa_system_sgpr_workgroup_id_x 1
		.amdhsa_system_sgpr_workgroup_id_y 1
		.amdhsa_system_sgpr_workgroup_id_z 1
		.amdhsa_system_sgpr_workgroup_info 0
		.amdhsa_system_vgpr_workitem_id 1
		.amdhsa_next_free_vgpr 52
		.amdhsa_next_free_sgpr 29
		.amdhsa_accum_offset 52
		.amdhsa_reserve_vcc 1
		.amdhsa_float_round_mode_32 0
		.amdhsa_float_round_mode_16_64 0
		.amdhsa_float_denorm_mode_32 3
		.amdhsa_float_denorm_mode_16_64 3
		.amdhsa_dx10_clamp 1
		.amdhsa_ieee_mode 1
		.amdhsa_fp16_overflow 0
		.amdhsa_tg_split 0
		.amdhsa_exception_fp_ieee_invalid_op 0
		.amdhsa_exception_fp_denorm_src 0
		.amdhsa_exception_fp_ieee_div_zero 0
		.amdhsa_exception_fp_ieee_overflow 0
		.amdhsa_exception_fp_ieee_underflow 0
		.amdhsa_exception_fp_ieee_inexact 0
		.amdhsa_exception_int_div_zero 0
	.end_amdhsa_kernel
	.section	.text._ZL29rocblas_internal_gemmt_kernelIiLi16ELi32ELi8ELc84ELc78ELc85ELb0ELb0E19rocblas_complex_numIfEPKS1_PKS3_PKPS1_EviT_T9_T10_S9_lSB_S9_lSA_T11_S9_li,"axG",@progbits,_ZL29rocblas_internal_gemmt_kernelIiLi16ELi32ELi8ELc84ELc78ELc85ELb0ELb0E19rocblas_complex_numIfEPKS1_PKS3_PKPS1_EviT_T9_T10_S9_lSB_S9_lSA_T11_S9_li,comdat
.Lfunc_end363:
	.size	_ZL29rocblas_internal_gemmt_kernelIiLi16ELi32ELi8ELc84ELc78ELc85ELb0ELb0E19rocblas_complex_numIfEPKS1_PKS3_PKPS1_EviT_T9_T10_S9_lSB_S9_lSA_T11_S9_li, .Lfunc_end363-_ZL29rocblas_internal_gemmt_kernelIiLi16ELi32ELi8ELc84ELc78ELc85ELb0ELb0E19rocblas_complex_numIfEPKS1_PKS3_PKPS1_EviT_T9_T10_S9_lSB_S9_lSA_T11_S9_li
                                        ; -- End function
	.set _ZL29rocblas_internal_gemmt_kernelIiLi16ELi32ELi8ELc84ELc78ELc85ELb0ELb0E19rocblas_complex_numIfEPKS1_PKS3_PKPS1_EviT_T9_T10_S9_lSB_S9_lSA_T11_S9_li.num_vgpr, 52
	.set _ZL29rocblas_internal_gemmt_kernelIiLi16ELi32ELi8ELc84ELc78ELc85ELb0ELb0E19rocblas_complex_numIfEPKS1_PKS3_PKPS1_EviT_T9_T10_S9_lSB_S9_lSA_T11_S9_li.num_agpr, 0
	.set _ZL29rocblas_internal_gemmt_kernelIiLi16ELi32ELi8ELc84ELc78ELc85ELb0ELb0E19rocblas_complex_numIfEPKS1_PKS3_PKPS1_EviT_T9_T10_S9_lSB_S9_lSA_T11_S9_li.numbered_sgpr, 29
	.set _ZL29rocblas_internal_gemmt_kernelIiLi16ELi32ELi8ELc84ELc78ELc85ELb0ELb0E19rocblas_complex_numIfEPKS1_PKS3_PKPS1_EviT_T9_T10_S9_lSB_S9_lSA_T11_S9_li.num_named_barrier, 0
	.set _ZL29rocblas_internal_gemmt_kernelIiLi16ELi32ELi8ELc84ELc78ELc85ELb0ELb0E19rocblas_complex_numIfEPKS1_PKS3_PKPS1_EviT_T9_T10_S9_lSB_S9_lSA_T11_S9_li.private_seg_size, 0
	.set _ZL29rocblas_internal_gemmt_kernelIiLi16ELi32ELi8ELc84ELc78ELc85ELb0ELb0E19rocblas_complex_numIfEPKS1_PKS3_PKPS1_EviT_T9_T10_S9_lSB_S9_lSA_T11_S9_li.uses_vcc, 1
	.set _ZL29rocblas_internal_gemmt_kernelIiLi16ELi32ELi8ELc84ELc78ELc85ELb0ELb0E19rocblas_complex_numIfEPKS1_PKS3_PKPS1_EviT_T9_T10_S9_lSB_S9_lSA_T11_S9_li.uses_flat_scratch, 0
	.set _ZL29rocblas_internal_gemmt_kernelIiLi16ELi32ELi8ELc84ELc78ELc85ELb0ELb0E19rocblas_complex_numIfEPKS1_PKS3_PKPS1_EviT_T9_T10_S9_lSB_S9_lSA_T11_S9_li.has_dyn_sized_stack, 0
	.set _ZL29rocblas_internal_gemmt_kernelIiLi16ELi32ELi8ELc84ELc78ELc85ELb0ELb0E19rocblas_complex_numIfEPKS1_PKS3_PKPS1_EviT_T9_T10_S9_lSB_S9_lSA_T11_S9_li.has_recursion, 0
	.set _ZL29rocblas_internal_gemmt_kernelIiLi16ELi32ELi8ELc84ELc78ELc85ELb0ELb0E19rocblas_complex_numIfEPKS1_PKS3_PKPS1_EviT_T9_T10_S9_lSB_S9_lSA_T11_S9_li.has_indirect_call, 0
	.section	.AMDGPU.csdata,"",@progbits
; Kernel info:
; codeLenInByte = 2476
; TotalNumSgprs: 35
; NumVgprs: 52
; NumAgprs: 0
; TotalNumVgprs: 52
; ScratchSize: 0
; MemoryBound: 0
; FloatMode: 240
; IeeeMode: 1
; LDSByteSize: 4096 bytes/workgroup (compile time only)
; SGPRBlocks: 4
; VGPRBlocks: 6
; NumSGPRsForWavesPerEU: 35
; NumVGPRsForWavesPerEU: 52
; AccumOffset: 52
; Occupancy: 8
; WaveLimiterHint : 1
; COMPUTE_PGM_RSRC2:SCRATCH_EN: 0
; COMPUTE_PGM_RSRC2:USER_SGPR: 2
; COMPUTE_PGM_RSRC2:TRAP_HANDLER: 0
; COMPUTE_PGM_RSRC2:TGID_X_EN: 1
; COMPUTE_PGM_RSRC2:TGID_Y_EN: 1
; COMPUTE_PGM_RSRC2:TGID_Z_EN: 1
; COMPUTE_PGM_RSRC2:TIDIG_COMP_CNT: 1
; COMPUTE_PGM_RSRC3_GFX90A:ACCUM_OFFSET: 12
; COMPUTE_PGM_RSRC3_GFX90A:TG_SPLIT: 0
	.section	.text._ZL29rocblas_internal_gemmt_kernelIiLi16ELi32ELi8ELc84ELc84ELc85ELb0ELb0E19rocblas_complex_numIfEPKS1_PKS3_PKPS1_EviT_T9_T10_S9_lSB_S9_lSA_T11_S9_li,"axG",@progbits,_ZL29rocblas_internal_gemmt_kernelIiLi16ELi32ELi8ELc84ELc84ELc85ELb0ELb0E19rocblas_complex_numIfEPKS1_PKS3_PKPS1_EviT_T9_T10_S9_lSB_S9_lSA_T11_S9_li,comdat
	.globl	_ZL29rocblas_internal_gemmt_kernelIiLi16ELi32ELi8ELc84ELc84ELc85ELb0ELb0E19rocblas_complex_numIfEPKS1_PKS3_PKPS1_EviT_T9_T10_S9_lSB_S9_lSA_T11_S9_li ; -- Begin function _ZL29rocblas_internal_gemmt_kernelIiLi16ELi32ELi8ELc84ELc84ELc85ELb0ELb0E19rocblas_complex_numIfEPKS1_PKS3_PKPS1_EviT_T9_T10_S9_lSB_S9_lSA_T11_S9_li
	.p2align	8
	.type	_ZL29rocblas_internal_gemmt_kernelIiLi16ELi32ELi8ELc84ELc84ELc85ELb0ELb0E19rocblas_complex_numIfEPKS1_PKS3_PKPS1_EviT_T9_T10_S9_lSB_S9_lSA_T11_S9_li,@function
_ZL29rocblas_internal_gemmt_kernelIiLi16ELi32ELi8ELc84ELc84ELc85ELb0ELb0E19rocblas_complex_numIfEPKS1_PKS3_PKPS1_EviT_T9_T10_S9_lSB_S9_lSA_T11_S9_li: ; @_ZL29rocblas_internal_gemmt_kernelIiLi16ELi32ELi8ELc84ELc84ELc85ELb0ELb0E19rocblas_complex_numIfEPKS1_PKS3_PKPS1_EviT_T9_T10_S9_lSB_S9_lSA_T11_S9_li
; %bb.0:
	s_load_dwordx4 s[8:11], s[0:1], 0x38
	s_load_dwordx4 s[12:15], s[0:1], 0x8
	s_waitcnt lgkmcnt(0)
	s_load_dwordx2 s[16:17], s[10:11], 0x0
	s_load_dwordx2 s[20:21], s[0:1], 0x0
	;; [unrolled: 1-line block ×3, first 2 shown]
	s_waitcnt lgkmcnt(0)
	s_and_b32 s5, s17, 0x7fffffff
	s_cmp_eq_u32 s5, 0
	v_cmp_eq_f32_e64 s[6:7], s16, 1.0
	s_cselect_b64 s[10:11], -1, 0
	s_and_b64 s[6:7], s[6:7], s[10:11]
	s_and_b64 vcc, exec, s[6:7]
	s_cbranch_vccnz .LBB364_2
; %bb.1:
	s_mov_b64 s[6:7], -1
	s_cbranch_execz .LBB364_3
	s_branch .LBB364_4
.LBB364_2:
	s_mov_b64 s[6:7], 0
.LBB364_3:
	s_cmp_lg_u32 s21, 0
	v_cmp_neq_f32_e64 s[12:13], s18, 0
	v_cmp_neq_f32_e64 s[22:23], s19, 0
	s_cselect_b64 s[6:7], -1, 0
	s_or_b64 s[12:13], s[12:13], s[22:23]
	s_and_b64 s[6:7], s[6:7], s[12:13]
.LBB364_4:
	s_andn2_b64 vcc, exec, s[6:7]
	s_cbranch_vccnz .LBB364_28
; %bb.5:
	s_load_dwordx2 s[12:13], s[0:1], 0x48
	s_mov_b32 s5, 0
	s_lshl_b64 s[6:7], s[4:5], 3
	v_cmp_eq_f32_e64 s[24:25], s19, 0
	v_and_b32_e32 v13, 0x3ff, v0
	s_waitcnt lgkmcnt(0)
	s_add_u32 s12, s12, s6
	s_addc_u32 s13, s13, s7
	s_lshl_b32 s4, s2, 5
	s_lshl_b32 s22, s3, 5
	v_cmp_eq_f32_e64 s[2:3], s18, 0
	s_load_dwordx2 s[12:13], s[12:13], 0x0
	s_and_b64 s[2:3], s[2:3], s[24:25]
	s_cmp_lt_i32 s21, 1
	s_cselect_b64 s[24:25], -1, 0
	s_or_b64 s[2:3], s[2:3], s[24:25]
	v_bfe_u32 v15, v0, 10, 10
	v_mov_b32_e32 v24, 0
	s_and_b64 vcc, exec, s[2:3]
	v_mov_b32_e32 v26, 0
	v_mov_b32_e32 v20, 0
	;; [unrolled: 1-line block ×7, first 2 shown]
	s_cbranch_vccnz .LBB364_12
; %bb.6:
	s_load_dword s23, s[0:1], 0x18
	s_load_dword s28, s[0:1], 0x30
	s_load_dwordx4 s[24:27], s[0:1], 0x20
	v_lshl_add_u32 v1, v15, 4, v13
	v_and_b32_e32 v3, 31, v1
	v_lshrrev_b32_e32 v19, 5, v1
	s_waitcnt lgkmcnt(0)
	s_ashr_i32 s29, s28, 31
	v_lshrrev_b32_e32 v2, 3, v1
	v_or_b32_e32 v1, s4, v3
	s_add_u32 s2, s26, s6
	v_and_b32_e32 v17, 7, v13
	s_addc_u32 s3, s27, s7
	v_cmp_gt_i32_e32 vcc, s20, v1
	v_lshlrev_b32_e32 v1, 3, v3
	s_load_dwordx2 s[26:27], s[2:3], 0x0
	s_add_u32 s2, s14, s6
	v_lshl_or_b32 v21, v19, 8, v1
	v_lshlrev_b32_e32 v1, 3, v17
	v_add_u32_e32 v0, s22, v2
	s_addc_u32 s3, s15, s7
	v_lshl_or_b32 v1, v2, 6, v1
	v_mov_b32_e32 v2, 0x800
	s_load_dwordx2 s[6:7], s[2:3], 0x0
	v_lshl_add_u32 v27, v15, 6, v2
	v_add_u32_e32 v2, s4, v3
	v_mad_i64_i32 v[2:3], s[14:15], s23, v2, 0
	s_lshl_b64 s[14:15], s[24:25], 3
	s_nop 0
	v_lshl_add_u64 v[2:3], v[2:3], 3, s[14:15]
	v_lshlrev_b32_e32 v4, 3, v19
	v_mov_b32_e32 v5, 0
	v_lshl_add_u64 v[2:3], v[2:3], 0, v[4:5]
	s_waitcnt lgkmcnt(0)
	v_lshl_add_u64 v[8:9], s[6:7], 0, v[2:3]
	v_mad_i64_i32 v[2:3], s[6:7], s28, v17, 0
	s_lshl_b64 s[6:7], s[8:9], 3
	v_add_u32_e32 v23, 0x800, v1
	v_ashrrev_i32_e32 v1, 31, v0
	v_lshl_add_u64 v[2:3], v[2:3], 3, s[6:7]
	v_cmp_gt_i32_e64 s[2:3], s20, v0
	v_lshl_add_u64 v[0:1], v[0:1], 3, v[2:3]
	v_lshlrev_b32_e32 v25, 3, v13
	v_lshl_add_u64 v[10:11], s[26:27], 0, v[0:1]
	s_lshl_b64 s[8:9], s[28:29], 6
	v_mov_b32_e32 v14, v5
	v_mov_b32_e32 v12, v5
	;; [unrolled: 1-line block ×8, first 2 shown]
	s_branch .LBB364_8
.LBB364_7:                              ;   in Loop: Header=BB364_8 Depth=1
	s_or_b64 exec, exec, s[6:7]
	s_waitcnt vmcnt(0) lgkmcnt(0)
	ds_write_b64 v23, v[0:1]
	s_waitcnt lgkmcnt(0)
	s_barrier
	ds_read2_b64 v[28:31], v25 offset1:16
	ds_read_b128 v[32:35], v27
	ds_read_b128 v[36:39], v27 offset:16
	ds_read_b128 v[4:7], v27 offset:32
	;; [unrolled: 1-line block ×3, first 2 shown]
	ds_read2_b64 v[48:51], v25 offset0:32 offset1:48
	s_waitcnt lgkmcnt(4)
	v_mul_f32_e32 v40, v33, v29
	v_fma_f32 v40, v32, v28, -v40
	v_mul_f32_e32 v41, v32, v29
	v_fmac_f32_e32 v41, v33, v28
	v_add_f32_e32 v24, v24, v40
	v_mul_f32_e32 v40, v33, v31
	v_add_f32_e32 v26, v26, v41
	v_fma_f32 v44, v32, v30, -v40
	ds_read_b128 v[40:43], v27 offset:1024
	v_mul_f32_e32 v32, v32, v31
	v_fmac_f32_e32 v32, v33, v30
	v_add_f32_e32 v20, v20, v44
	v_add_f32_e32 v22, v22, v32
	ds_read_b128 v[44:47], v27 offset:1040
	s_waitcnt lgkmcnt(1)
	v_mul_f32_e32 v32, v41, v29
	v_mul_f32_e32 v29, v40, v29
	v_fma_f32 v32, v40, v28, -v32
	v_fmac_f32_e32 v29, v41, v28
	v_mul_f32_e32 v28, v41, v31
	v_add_f32_e32 v18, v18, v29
	v_fma_f32 v28, v40, v30, -v28
	v_mul_f32_e32 v29, v40, v31
	v_fmac_f32_e32 v29, v41, v30
	v_add_f32_e32 v12, v12, v28
	v_mul_f32_e32 v28, v35, v49
	v_add_f32_e32 v14, v14, v29
	v_fma_f32 v28, v34, v48, -v28
	v_mul_f32_e32 v29, v34, v49
	v_fmac_f32_e32 v29, v35, v48
	v_add_f32_e32 v24, v24, v28
	;; [unrolled: 6-line block ×3, first 2 shown]
	v_mul_f32_e32 v28, v43, v49
	v_add_f32_e32 v16, v16, v32
	v_add_f32_e32 v22, v22, v29
	v_fma_f32 v28, v42, v48, -v28
	v_mul_f32_e32 v29, v42, v49
	v_fmac_f32_e32 v29, v43, v48
	v_add_f32_e32 v16, v16, v28
	v_mul_f32_e32 v28, v43, v51
	v_add_f32_e32 v18, v18, v29
	v_fma_f32 v32, v42, v50, -v28
	ds_read2_b64 v[28:31], v25 offset0:64 offset1:80
	v_mul_f32_e32 v33, v42, v51
	v_add_f32_e32 v12, v12, v32
	v_fmac_f32_e32 v33, v43, v50
	v_add_f32_e32 v14, v14, v33
	s_waitcnt lgkmcnt(0)
	v_mul_f32_e32 v32, v37, v29
	v_fma_f32 v32, v36, v28, -v32
	v_mul_f32_e32 v33, v36, v29
	v_add_f32_e32 v24, v24, v32
	v_mul_f32_e32 v32, v37, v31
	v_fmac_f32_e32 v33, v37, v28
	v_fma_f32 v32, v36, v30, -v32
	v_add_f32_e32 v26, v26, v33
	v_mul_f32_e32 v33, v36, v31
	v_add_f32_e32 v20, v20, v32
	v_mul_f32_e32 v32, v45, v29
	v_fmac_f32_e32 v33, v37, v30
	v_fma_f32 v32, v44, v28, -v32
	v_add_f32_e32 v22, v22, v33
	v_add_f32_e32 v16, v16, v32
	ds_read2_b64 v[32:35], v25 offset0:96 offset1:112
	v_mul_f32_e32 v29, v44, v29
	v_fmac_f32_e32 v29, v45, v28
	v_mul_f32_e32 v28, v45, v31
	v_add_f32_e32 v18, v18, v29
	v_fma_f32 v28, v44, v30, -v28
	v_mul_f32_e32 v29, v44, v31
	v_fmac_f32_e32 v29, v45, v30
	v_add_f32_e32 v12, v12, v28
	s_waitcnt lgkmcnt(0)
	v_mul_f32_e32 v28, v39, v33
	v_add_f32_e32 v14, v14, v29
	v_fma_f32 v28, v38, v32, -v28
	v_mul_f32_e32 v29, v38, v33
	v_fmac_f32_e32 v29, v39, v32
	v_add_f32_e32 v24, v24, v28
	v_mul_f32_e32 v28, v39, v35
	v_add_f32_e32 v26, v26, v29
	v_fma_f32 v28, v38, v34, -v28
	v_mul_f32_e32 v29, v38, v35
	v_fmac_f32_e32 v29, v39, v34
	v_add_f32_e32 v20, v20, v28
	;; [unrolled: 6-line block ×3, first 2 shown]
	v_mul_f32_e32 v28, v47, v35
	v_add_f32_e32 v18, v18, v29
	v_fma_f32 v32, v46, v34, -v28
	ds_read2_b64 v[28:31], v25 offset0:128 offset1:144
	v_mul_f32_e32 v33, v46, v35
	v_fmac_f32_e32 v33, v47, v34
	v_add_f32_e32 v12, v12, v32
	v_add_f32_e32 v14, v14, v33
	s_waitcnt lgkmcnt(0)
	v_mul_f32_e32 v32, v5, v29
	v_fma_f32 v32, v4, v28, -v32
	v_mul_f32_e32 v33, v4, v29
	v_fmac_f32_e32 v33, v5, v28
	v_add_f32_e32 v24, v24, v32
	v_mul_f32_e32 v32, v5, v31
	v_add_f32_e32 v26, v26, v33
	v_fma_f32 v36, v4, v30, -v32
	ds_read_b128 v[32:35], v27 offset:1056
	v_mul_f32_e32 v4, v4, v31
	ds_read2_b64 v[40:43], v25 offset0:160 offset1:176
	v_fmac_f32_e32 v4, v5, v30
	v_add_f32_e32 v5, v20, v36
	ds_read_b128 v[36:39], v27 offset:1072
	s_waitcnt lgkmcnt(2)
	v_mul_f32_e32 v20, v33, v29
	v_fma_f32 v20, v32, v28, -v20
	v_add_f32_e32 v16, v16, v20
	v_mul_f32_e32 v20, v33, v31
	v_add_f32_e32 v4, v22, v4
	v_mul_f32_e32 v22, v32, v29
	v_fma_f32 v20, v32, v30, -v20
	v_fmac_f32_e32 v22, v33, v28
	v_add_f32_e32 v12, v12, v20
	s_waitcnt lgkmcnt(1)
	v_mul_f32_e32 v20, v7, v41
	v_add_f32_e32 v18, v18, v22
	v_mul_f32_e32 v22, v32, v31
	v_fma_f32 v20, v6, v40, -v20
	v_fmac_f32_e32 v22, v33, v30
	v_add_f32_e32 v20, v24, v20
	v_mul_f32_e32 v24, v7, v43
	v_add_f32_e32 v14, v14, v22
	v_mul_f32_e32 v22, v6, v41
	v_fma_f32 v24, v6, v42, -v24
	v_mul_f32_e32 v6, v6, v43
	v_fmac_f32_e32 v22, v7, v40
	v_fmac_f32_e32 v6, v7, v42
	v_add_f32_e32 v22, v26, v22
	v_add_f32_e32 v26, v4, v6
	v_mul_f32_e32 v4, v35, v41
	v_add_f32_e32 v24, v5, v24
	v_fma_f32 v4, v34, v40, -v4
	v_mul_f32_e32 v5, v34, v41
	v_fmac_f32_e32 v5, v35, v40
	v_add_f32_e32 v16, v16, v4
	v_mul_f32_e32 v4, v35, v43
	v_add_f32_e32 v18, v18, v5
	v_fma_f32 v28, v34, v42, -v4
	ds_read2_b64 v[4:7], v25 offset0:192 offset1:208
	v_mul_f32_e32 v29, v34, v43
	v_add_f32_e32 v12, v12, v28
	v_fmac_f32_e32 v29, v35, v42
	v_add_f32_e32 v14, v14, v29
	s_waitcnt lgkmcnt(0)
	v_mul_f32_e32 v28, v1, v5
	v_fma_f32 v28, v0, v4, -v28
	v_mul_f32_e32 v29, v0, v5
	v_add_f32_e32 v20, v20, v28
	v_mul_f32_e32 v28, v1, v7
	v_fmac_f32_e32 v29, v1, v4
	v_fma_f32 v28, v0, v6, -v28
	v_mul_f32_e32 v0, v0, v7
	v_add_f32_e32 v22, v22, v29
	v_fmac_f32_e32 v0, v1, v6
	v_add_f32_e32 v1, v24, v28
	ds_read2_b64 v[28:31], v25 offset0:224 offset1:240
	v_mul_f32_e32 v24, v37, v5
	v_fma_f32 v24, v36, v4, -v24
	v_mul_f32_e32 v5, v36, v5
	v_fmac_f32_e32 v5, v37, v4
	v_add_f32_e32 v4, v16, v24
	v_mul_f32_e32 v16, v37, v7
	v_fma_f32 v16, v36, v6, -v16
	v_mul_f32_e32 v7, v36, v7
	v_fmac_f32_e32 v7, v37, v6
	v_add_f32_e32 v6, v12, v16
	s_waitcnt lgkmcnt(0)
	v_mul_f32_e32 v12, v3, v29
	v_fma_f32 v12, v2, v28, -v12
	v_add_f32_e32 v24, v20, v12
	v_mul_f32_e32 v12, v3, v31
	v_add_f32_e32 v7, v14, v7
	v_mul_f32_e32 v14, v2, v29
	v_fma_f32 v12, v2, v30, -v12
	v_mul_f32_e32 v2, v2, v31
	v_add_f32_e32 v0, v26, v0
	v_fmac_f32_e32 v14, v3, v28
	v_fmac_f32_e32 v2, v3, v30
	v_add_f32_e32 v26, v22, v14
	v_add_f32_e32 v20, v1, v12
	;; [unrolled: 1-line block ×3, first 2 shown]
	v_mul_f32_e32 v0, v39, v29
	v_mul_f32_e32 v1, v38, v29
	v_add_f32_e32 v5, v18, v5
	v_fma_f32 v0, v38, v28, -v0
	v_fmac_f32_e32 v1, v39, v28
	v_add_f32_e32 v16, v4, v0
	v_add_f32_e32 v18, v5, v1
	v_mul_f32_e32 v0, v39, v31
	v_mul_f32_e32 v1, v38, v31
	v_fma_f32 v0, v38, v30, -v0
	v_fmac_f32_e32 v1, v39, v30
	s_add_i32 s5, s5, 8
	v_add_f32_e32 v12, v6, v0
	v_add_f32_e32 v14, v7, v1
	v_lshl_add_u64 v[8:9], v[8:9], 0, 64
	s_cmp_lt_i32 s5, s21
	v_lshl_add_u64 v[10:11], v[10:11], 0, s[8:9]
	s_barrier
	s_cbranch_scc0 .LBB364_12
.LBB364_8:                              ; =>This Inner Loop Header: Depth=1
	v_add_u32_e32 v0, s5, v19
	v_cmp_gt_i32_e64 s[6:7], s21, v0
	s_and_b64 s[14:15], vcc, s[6:7]
	v_mov_b32_e32 v0, 0
	v_mov_b32_e32 v1, 0
	s_and_saveexec_b64 s[6:7], s[14:15]
	s_cbranch_execz .LBB364_10
; %bb.9:                                ;   in Loop: Header=BB364_8 Depth=1
	flat_load_dwordx2 v[0:1], v[8:9]
.LBB364_10:                             ;   in Loop: Header=BB364_8 Depth=1
	s_or_b64 exec, exec, s[6:7]
	s_waitcnt vmcnt(0) lgkmcnt(0)
	ds_write_b64 v21, v[0:1]
	v_add_u32_e32 v0, s5, v17
	v_cmp_gt_i32_e64 s[6:7], s21, v0
	s_and_b64 s[14:15], s[6:7], s[2:3]
	v_mov_b32_e32 v0, 0
	v_mov_b32_e32 v1, 0
	s_and_saveexec_b64 s[6:7], s[14:15]
	s_cbranch_execz .LBB364_7
; %bb.11:                               ;   in Loop: Header=BB364_8 Depth=1
	flat_load_dwordx2 v[0:1], v[10:11]
	s_branch .LBB364_7
.LBB364_12:
	s_load_dwordx2 s[2:3], s[0:1], 0x58
	s_load_dword s8, s[0:1], 0x50
	v_add_u32_e32 v0, s4, v13
	v_add_u32_e32 v10, s22, v15
	v_cmp_neq_f32_e64 s[0:1], s16, 0
	s_waitcnt lgkmcnt(0)
	s_lshl_b64 s[2:3], s[2:3], 3
	s_add_u32 s4, s12, s2
	s_addc_u32 s5, s13, s3
	s_xor_b64 s[6:7], s[10:11], -1
	v_mad_i64_i32 v[2:3], s[10:11], v10, s8, 0
	s_or_b64 s[0:1], s[0:1], s[6:7]
	v_cmp_gt_i32_e64 s[2:3], s20, v10
	v_lshl_add_u64 v[4:5], v[2:3], 3, s[4:5]
	v_cmp_le_i32_e32 vcc, v0, v10
	v_cndmask_b32_e64 v2, 0, 1, s[0:1]
	s_and_b64 s[10:11], s[2:3], vcc
	v_ashrrev_i32_e32 v1, 31, v0
	v_cmp_ne_u32_e64 s[0:1], 1, v2
	s_and_saveexec_b64 s[6:7], s[10:11]
	s_cbranch_execz .LBB364_16
; %bb.13:
	v_pk_mul_f32 v[6:7], v[26:27], s[18:19] op_sel:[0,1] op_sel_hi:[0,0]
	v_pk_fma_f32 v[2:3], v[24:25], s[18:19], v[6:7] op_sel_hi:[0,1,1] neg_lo:[0,0,1] neg_hi:[0,0,1]
	v_pk_fma_f32 v[8:9], v[24:25], s[18:19], v[6:7] op_sel_hi:[0,1,1]
	s_and_b64 vcc, exec, s[0:1]
	v_lshl_add_u64 v[6:7], v[0:1], 3, v[4:5]
	s_cbranch_vccnz .LBB364_15
; %bb.14:
	flat_load_dwordx2 v[24:25], v[6:7]
	s_mov_b32 s10, s17
	v_mov_b32_e32 v3, v9
	s_waitcnt vmcnt(0) lgkmcnt(0)
	v_pk_mul_f32 v[8:9], v[24:25], s[10:11] op_sel:[1,0] op_sel_hi:[0,0]
	v_pk_fma_f32 v[26:27], v[24:25], s[16:17], v[8:9] neg_lo:[0,0,1] neg_hi:[0,0,1]
	v_pk_fma_f32 v[8:9], v[24:25], s[16:17], v[8:9] op_sel_hi:[1,0,1]
	s_nop 0
	v_mov_b32_e32 v27, v9
	v_pk_add_f32 v[2:3], v[2:3], v[26:27]
	s_nop 0
	v_mov_b32_e32 v9, v3
.LBB364_15:
	v_mov_b32_e32 v3, v9
	flat_store_dwordx2 v[6:7], v[2:3]
.LBB364_16:
	s_or_b64 exec, exec, s[6:7]
	v_add_u32_e32 v2, 16, v0
	v_cmp_le_i32_e32 vcc, v2, v10
	s_and_b64 s[6:7], s[2:3], vcc
	v_ashrrev_i32_e32 v3, 31, v2
	s_and_saveexec_b64 s[2:3], s[6:7]
	s_cbranch_execz .LBB364_20
; %bb.17:
	v_pk_mul_f32 v[8:9], v[22:23], s[18:19] op_sel:[0,1] op_sel_hi:[0,0]
	v_pk_fma_f32 v[6:7], v[20:21], s[18:19], v[8:9] op_sel_hi:[0,1,1] neg_lo:[0,0,1] neg_hi:[0,0,1]
	v_pk_fma_f32 v[8:9], v[20:21], s[18:19], v[8:9] op_sel_hi:[0,1,1]
	s_and_b64 vcc, exec, s[0:1]
	v_lshl_add_u64 v[4:5], v[2:3], 3, v[4:5]
	s_cbranch_vccnz .LBB364_19
; %bb.18:
	flat_load_dwordx2 v[20:21], v[4:5]
	s_mov_b32 s6, s17
	v_mov_b32_e32 v7, v9
	s_waitcnt vmcnt(0) lgkmcnt(0)
	v_pk_mul_f32 v[8:9], v[20:21], s[6:7] op_sel:[1,0] op_sel_hi:[0,0]
	v_pk_fma_f32 v[22:23], v[20:21], s[16:17], v[8:9] neg_lo:[0,0,1] neg_hi:[0,0,1]
	v_pk_fma_f32 v[8:9], v[20:21], s[16:17], v[8:9] op_sel_hi:[1,0,1]
	s_nop 0
	v_mov_b32_e32 v23, v9
	v_pk_add_f32 v[6:7], v[6:7], v[22:23]
	s_nop 0
	v_mov_b32_e32 v9, v7
.LBB364_19:
	v_mov_b32_e32 v7, v9
	flat_store_dwordx2 v[4:5], v[6:7]
.LBB364_20:
	s_or_b64 exec, exec, s[2:3]
	v_add_u32_e32 v10, 16, v10
	v_cmp_gt_i32_e64 s[2:3], s20, v10
	v_mad_i64_i32 v[4:5], s[6:7], v10, s8, 0
	v_cmp_le_i32_e32 vcc, v0, v10
	v_lshl_add_u64 v[4:5], v[4:5], 3, s[4:5]
	s_and_b64 s[6:7], s[2:3], vcc
	s_and_saveexec_b64 s[4:5], s[6:7]
	s_cbranch_execz .LBB364_24
; %bb.21:
	v_pk_mul_f32 v[8:9], v[18:19], s[18:19] op_sel:[0,1] op_sel_hi:[0,0]
	v_pk_fma_f32 v[6:7], v[16:17], s[18:19], v[8:9] op_sel_hi:[0,1,1] neg_lo:[0,0,1] neg_hi:[0,0,1]
	v_pk_fma_f32 v[8:9], v[16:17], s[18:19], v[8:9] op_sel_hi:[0,1,1]
	s_and_b64 vcc, exec, s[0:1]
	v_lshl_add_u64 v[0:1], v[0:1], 3, v[4:5]
	s_cbranch_vccnz .LBB364_23
; %bb.22:
	flat_load_dwordx2 v[16:17], v[0:1]
	s_mov_b32 s6, s17
	v_mov_b32_e32 v7, v9
	s_waitcnt vmcnt(0) lgkmcnt(0)
	v_pk_mul_f32 v[8:9], v[16:17], s[6:7] op_sel:[1,0] op_sel_hi:[0,0]
	v_pk_fma_f32 v[18:19], v[16:17], s[16:17], v[8:9] neg_lo:[0,0,1] neg_hi:[0,0,1]
	v_pk_fma_f32 v[8:9], v[16:17], s[16:17], v[8:9] op_sel_hi:[1,0,1]
	s_nop 0
	v_mov_b32_e32 v19, v9
	v_pk_add_f32 v[6:7], v[6:7], v[18:19]
	s_nop 0
	v_mov_b32_e32 v9, v7
.LBB364_23:
	v_mov_b32_e32 v7, v9
	flat_store_dwordx2 v[0:1], v[6:7]
.LBB364_24:
	s_or_b64 exec, exec, s[4:5]
	v_cmp_le_i32_e32 vcc, v2, v10
	s_and_b64 s[2:3], s[2:3], vcc
	s_and_saveexec_b64 s[4:5], s[2:3]
	s_cbranch_execz .LBB364_28
; %bb.25:
	v_pk_mul_f32 v[6:7], v[14:15], s[18:19] op_sel:[0,1] op_sel_hi:[0,0]
	v_pk_fma_f32 v[0:1], v[12:13], s[18:19], v[6:7] op_sel_hi:[0,1,1] neg_lo:[0,0,1] neg_hi:[0,0,1]
	v_pk_fma_f32 v[6:7], v[12:13], s[18:19], v[6:7] op_sel_hi:[0,1,1]
	s_and_b64 vcc, exec, s[0:1]
	v_lshl_add_u64 v[2:3], v[2:3], 3, v[4:5]
	s_cbranch_vccnz .LBB364_27
; %bb.26:
	flat_load_dwordx2 v[4:5], v[2:3]
	s_mov_b32 s0, s17
	v_mov_b32_e32 v1, v7
	s_waitcnt vmcnt(0) lgkmcnt(0)
	v_pk_mul_f32 v[6:7], v[4:5], s[0:1] op_sel:[1,0] op_sel_hi:[0,0]
	v_pk_fma_f32 v[8:9], v[4:5], s[16:17], v[6:7] neg_lo:[0,0,1] neg_hi:[0,0,1]
	v_pk_fma_f32 v[4:5], v[4:5], s[16:17], v[6:7] op_sel_hi:[1,0,1]
	s_nop 0
	v_mov_b32_e32 v9, v5
	v_pk_add_f32 v[0:1], v[0:1], v[8:9]
	s_nop 0
	v_mov_b32_e32 v7, v1
.LBB364_27:
	v_mov_b32_e32 v1, v7
	flat_store_dwordx2 v[2:3], v[0:1]
.LBB364_28:
	s_endpgm
	.section	.rodata,"a",@progbits
	.p2align	6, 0x0
	.amdhsa_kernel _ZL29rocblas_internal_gemmt_kernelIiLi16ELi32ELi8ELc84ELc84ELc85ELb0ELb0E19rocblas_complex_numIfEPKS1_PKS3_PKPS1_EviT_T9_T10_S9_lSB_S9_lSA_T11_S9_li
		.amdhsa_group_segment_fixed_size 4096
		.amdhsa_private_segment_fixed_size 0
		.amdhsa_kernarg_size 100
		.amdhsa_user_sgpr_count 2
		.amdhsa_user_sgpr_dispatch_ptr 0
		.amdhsa_user_sgpr_queue_ptr 0
		.amdhsa_user_sgpr_kernarg_segment_ptr 1
		.amdhsa_user_sgpr_dispatch_id 0
		.amdhsa_user_sgpr_kernarg_preload_length 0
		.amdhsa_user_sgpr_kernarg_preload_offset 0
		.amdhsa_user_sgpr_private_segment_size 0
		.amdhsa_uses_dynamic_stack 0
		.amdhsa_enable_private_segment 0
		.amdhsa_system_sgpr_workgroup_id_x 1
		.amdhsa_system_sgpr_workgroup_id_y 1
		.amdhsa_system_sgpr_workgroup_id_z 1
		.amdhsa_system_sgpr_workgroup_info 0
		.amdhsa_system_vgpr_workitem_id 1
		.amdhsa_next_free_vgpr 52
		.amdhsa_next_free_sgpr 30
		.amdhsa_accum_offset 52
		.amdhsa_reserve_vcc 1
		.amdhsa_float_round_mode_32 0
		.amdhsa_float_round_mode_16_64 0
		.amdhsa_float_denorm_mode_32 3
		.amdhsa_float_denorm_mode_16_64 3
		.amdhsa_dx10_clamp 1
		.amdhsa_ieee_mode 1
		.amdhsa_fp16_overflow 0
		.amdhsa_tg_split 0
		.amdhsa_exception_fp_ieee_invalid_op 0
		.amdhsa_exception_fp_denorm_src 0
		.amdhsa_exception_fp_ieee_div_zero 0
		.amdhsa_exception_fp_ieee_overflow 0
		.amdhsa_exception_fp_ieee_underflow 0
		.amdhsa_exception_fp_ieee_inexact 0
		.amdhsa_exception_int_div_zero 0
	.end_amdhsa_kernel
	.section	.text._ZL29rocblas_internal_gemmt_kernelIiLi16ELi32ELi8ELc84ELc84ELc85ELb0ELb0E19rocblas_complex_numIfEPKS1_PKS3_PKPS1_EviT_T9_T10_S9_lSB_S9_lSA_T11_S9_li,"axG",@progbits,_ZL29rocblas_internal_gemmt_kernelIiLi16ELi32ELi8ELc84ELc84ELc85ELb0ELb0E19rocblas_complex_numIfEPKS1_PKS3_PKPS1_EviT_T9_T10_S9_lSB_S9_lSA_T11_S9_li,comdat
.Lfunc_end364:
	.size	_ZL29rocblas_internal_gemmt_kernelIiLi16ELi32ELi8ELc84ELc84ELc85ELb0ELb0E19rocblas_complex_numIfEPKS1_PKS3_PKPS1_EviT_T9_T10_S9_lSB_S9_lSA_T11_S9_li, .Lfunc_end364-_ZL29rocblas_internal_gemmt_kernelIiLi16ELi32ELi8ELc84ELc84ELc85ELb0ELb0E19rocblas_complex_numIfEPKS1_PKS3_PKPS1_EviT_T9_T10_S9_lSB_S9_lSA_T11_S9_li
                                        ; -- End function
	.set _ZL29rocblas_internal_gemmt_kernelIiLi16ELi32ELi8ELc84ELc84ELc85ELb0ELb0E19rocblas_complex_numIfEPKS1_PKS3_PKPS1_EviT_T9_T10_S9_lSB_S9_lSA_T11_S9_li.num_vgpr, 52
	.set _ZL29rocblas_internal_gemmt_kernelIiLi16ELi32ELi8ELc84ELc84ELc85ELb0ELb0E19rocblas_complex_numIfEPKS1_PKS3_PKPS1_EviT_T9_T10_S9_lSB_S9_lSA_T11_S9_li.num_agpr, 0
	.set _ZL29rocblas_internal_gemmt_kernelIiLi16ELi32ELi8ELc84ELc84ELc85ELb0ELb0E19rocblas_complex_numIfEPKS1_PKS3_PKPS1_EviT_T9_T10_S9_lSB_S9_lSA_T11_S9_li.numbered_sgpr, 30
	.set _ZL29rocblas_internal_gemmt_kernelIiLi16ELi32ELi8ELc84ELc84ELc85ELb0ELb0E19rocblas_complex_numIfEPKS1_PKS3_PKPS1_EviT_T9_T10_S9_lSB_S9_lSA_T11_S9_li.num_named_barrier, 0
	.set _ZL29rocblas_internal_gemmt_kernelIiLi16ELi32ELi8ELc84ELc84ELc85ELb0ELb0E19rocblas_complex_numIfEPKS1_PKS3_PKPS1_EviT_T9_T10_S9_lSB_S9_lSA_T11_S9_li.private_seg_size, 0
	.set _ZL29rocblas_internal_gemmt_kernelIiLi16ELi32ELi8ELc84ELc84ELc85ELb0ELb0E19rocblas_complex_numIfEPKS1_PKS3_PKPS1_EviT_T9_T10_S9_lSB_S9_lSA_T11_S9_li.uses_vcc, 1
	.set _ZL29rocblas_internal_gemmt_kernelIiLi16ELi32ELi8ELc84ELc84ELc85ELb0ELb0E19rocblas_complex_numIfEPKS1_PKS3_PKPS1_EviT_T9_T10_S9_lSB_S9_lSA_T11_S9_li.uses_flat_scratch, 0
	.set _ZL29rocblas_internal_gemmt_kernelIiLi16ELi32ELi8ELc84ELc84ELc85ELb0ELb0E19rocblas_complex_numIfEPKS1_PKS3_PKPS1_EviT_T9_T10_S9_lSB_S9_lSA_T11_S9_li.has_dyn_sized_stack, 0
	.set _ZL29rocblas_internal_gemmt_kernelIiLi16ELi32ELi8ELc84ELc84ELc85ELb0ELb0E19rocblas_complex_numIfEPKS1_PKS3_PKPS1_EviT_T9_T10_S9_lSB_S9_lSA_T11_S9_li.has_recursion, 0
	.set _ZL29rocblas_internal_gemmt_kernelIiLi16ELi32ELi8ELc84ELc84ELc85ELb0ELb0E19rocblas_complex_numIfEPKS1_PKS3_PKPS1_EviT_T9_T10_S9_lSB_S9_lSA_T11_S9_li.has_indirect_call, 0
	.section	.AMDGPU.csdata,"",@progbits
; Kernel info:
; codeLenInByte = 2480
; TotalNumSgprs: 36
; NumVgprs: 52
; NumAgprs: 0
; TotalNumVgprs: 52
; ScratchSize: 0
; MemoryBound: 0
; FloatMode: 240
; IeeeMode: 1
; LDSByteSize: 4096 bytes/workgroup (compile time only)
; SGPRBlocks: 4
; VGPRBlocks: 6
; NumSGPRsForWavesPerEU: 36
; NumVGPRsForWavesPerEU: 52
; AccumOffset: 52
; Occupancy: 8
; WaveLimiterHint : 1
; COMPUTE_PGM_RSRC2:SCRATCH_EN: 0
; COMPUTE_PGM_RSRC2:USER_SGPR: 2
; COMPUTE_PGM_RSRC2:TRAP_HANDLER: 0
; COMPUTE_PGM_RSRC2:TGID_X_EN: 1
; COMPUTE_PGM_RSRC2:TGID_Y_EN: 1
; COMPUTE_PGM_RSRC2:TGID_Z_EN: 1
; COMPUTE_PGM_RSRC2:TIDIG_COMP_CNT: 1
; COMPUTE_PGM_RSRC3_GFX90A:ACCUM_OFFSET: 12
; COMPUTE_PGM_RSRC3_GFX90A:TG_SPLIT: 0
	.section	.text._ZL29rocblas_internal_gemmt_kernelIiLi16ELi32ELi8ELc84ELc67ELc85ELb0ELb1E19rocblas_complex_numIfEPKS1_PKS3_PKPS1_EviT_T9_T10_S9_lSB_S9_lSA_T11_S9_li,"axG",@progbits,_ZL29rocblas_internal_gemmt_kernelIiLi16ELi32ELi8ELc84ELc67ELc85ELb0ELb1E19rocblas_complex_numIfEPKS1_PKS3_PKPS1_EviT_T9_T10_S9_lSB_S9_lSA_T11_S9_li,comdat
	.globl	_ZL29rocblas_internal_gemmt_kernelIiLi16ELi32ELi8ELc84ELc67ELc85ELb0ELb1E19rocblas_complex_numIfEPKS1_PKS3_PKPS1_EviT_T9_T10_S9_lSB_S9_lSA_T11_S9_li ; -- Begin function _ZL29rocblas_internal_gemmt_kernelIiLi16ELi32ELi8ELc84ELc67ELc85ELb0ELb1E19rocblas_complex_numIfEPKS1_PKS3_PKPS1_EviT_T9_T10_S9_lSB_S9_lSA_T11_S9_li
	.p2align	8
	.type	_ZL29rocblas_internal_gemmt_kernelIiLi16ELi32ELi8ELc84ELc67ELc85ELb0ELb1E19rocblas_complex_numIfEPKS1_PKS3_PKPS1_EviT_T9_T10_S9_lSB_S9_lSA_T11_S9_li,@function
_ZL29rocblas_internal_gemmt_kernelIiLi16ELi32ELi8ELc84ELc67ELc85ELb0ELb1E19rocblas_complex_numIfEPKS1_PKS3_PKPS1_EviT_T9_T10_S9_lSB_S9_lSA_T11_S9_li: ; @_ZL29rocblas_internal_gemmt_kernelIiLi16ELi32ELi8ELc84ELc67ELc85ELb0ELb1E19rocblas_complex_numIfEPKS1_PKS3_PKPS1_EviT_T9_T10_S9_lSB_S9_lSA_T11_S9_li
; %bb.0:
	s_load_dwordx4 s[8:11], s[0:1], 0x38
	s_load_dwordx4 s[12:15], s[0:1], 0x8
	s_waitcnt lgkmcnt(0)
	s_load_dwordx2 s[6:7], s[10:11], 0x0
	s_load_dwordx2 s[18:19], s[0:1], 0x0
	;; [unrolled: 1-line block ×3, first 2 shown]
	s_waitcnt lgkmcnt(0)
	s_and_b32 s5, s7, 0x7fffffff
	s_cmp_eq_u32 s5, 0
	v_cmp_eq_f32_e64 s[12:13], s6, 1.0
	s_cselect_b64 s[10:11], -1, 0
	s_and_b64 s[12:13], s[12:13], s[10:11]
	s_and_b64 vcc, exec, s[12:13]
	s_cbranch_vccnz .LBB365_2
; %bb.1:
	s_mov_b64 s[12:13], -1
	s_cbranch_execz .LBB365_3
	s_branch .LBB365_4
.LBB365_2:
	s_mov_b64 s[12:13], 0
.LBB365_3:
	s_cmp_lg_u32 s19, 0
	v_cmp_neq_f32_e64 s[20:21], s16, 0
	v_cmp_neq_f32_e64 s[22:23], s17, 0
	s_cselect_b64 s[12:13], -1, 0
	s_or_b64 s[20:21], s[20:21], s[22:23]
	s_and_b64 s[12:13], s[12:13], s[20:21]
.LBB365_4:
	s_andn2_b64 vcc, exec, s[12:13]
	s_cbranch_vccnz .LBB365_30
; %bb.5:
	s_load_dwordx2 s[12:13], s[0:1], 0x48
	s_mov_b32 s5, 0
	s_lshl_b64 s[20:21], s[4:5], 3
	v_cmp_eq_f32_e64 s[24:25], s17, 0
	v_and_b32_e32 v15, 0x3ff, v0
	s_waitcnt lgkmcnt(0)
	s_add_u32 s12, s12, s20
	s_addc_u32 s13, s13, s21
	s_lshl_b32 s4, s2, 5
	s_lshl_b32 s22, s3, 5
	v_cmp_eq_f32_e64 s[2:3], s16, 0
	s_load_dwordx2 s[12:13], s[12:13], 0x0
	s_and_b64 s[2:3], s[2:3], s[24:25]
	s_cmp_lt_i32 s19, 1
	s_cselect_b64 s[24:25], -1, 0
	s_or_b64 s[2:3], s[2:3], s[24:25]
	v_bfe_u32 v17, v0, 10, 10
	v_mov_b32_e32 v24, 0
	s_and_b64 vcc, exec, s[2:3]
	v_mov_b32_e32 v26, 0
	v_mov_b32_e32 v20, 0
	;; [unrolled: 1-line block ×7, first 2 shown]
	s_cbranch_vccnz .LBB365_14
; %bb.6:
	s_load_dword s23, s[0:1], 0x18
	s_load_dword s28, s[0:1], 0x30
	s_load_dwordx4 s[24:27], s[0:1], 0x20
	v_lshl_add_u32 v1, v17, 4, v15
	v_and_b32_e32 v3, 31, v1
	v_lshrrev_b32_e32 v21, 5, v1
	s_waitcnt lgkmcnt(0)
	s_ashr_i32 s29, s28, 31
	v_lshrrev_b32_e32 v2, 3, v1
	v_or_b32_e32 v1, s4, v3
	s_add_u32 s2, s26, s20
	v_and_b32_e32 v19, 7, v15
	s_addc_u32 s3, s27, s21
	v_cmp_gt_i32_e32 vcc, s18, v1
	v_lshlrev_b32_e32 v1, 3, v3
	s_load_dwordx2 s[26:27], s[2:3], 0x0
	s_add_u32 s2, s14, s20
	v_lshl_or_b32 v23, v21, 8, v1
	v_lshlrev_b32_e32 v1, 3, v19
	v_add_u32_e32 v0, s22, v2
	s_addc_u32 s3, s15, s21
	v_lshl_or_b32 v1, v2, 6, v1
	v_mov_b32_e32 v2, 0x800
	s_load_dwordx2 s[14:15], s[2:3], 0x0
	v_lshl_add_u32 v28, v17, 6, v2
	v_add_u32_e32 v2, s4, v3
	v_mad_i64_i32 v[2:3], s[20:21], s23, v2, 0
	s_lshl_b64 s[20:21], s[24:25], 3
	s_nop 0
	v_lshl_add_u64 v[2:3], v[2:3], 3, s[20:21]
	v_lshlrev_b32_e32 v8, 3, v21
	v_mov_b32_e32 v9, 0
	v_lshl_add_u64 v[2:3], v[2:3], 0, v[8:9]
	s_waitcnt lgkmcnt(0)
	v_lshl_add_u64 v[10:11], s[14:15], 0, v[2:3]
	v_mad_i64_i32 v[2:3], s[14:15], s28, v19, 0
	s_lshl_b64 s[8:9], s[8:9], 3
	v_add_u32_e32 v25, 0x800, v1
	v_ashrrev_i32_e32 v1, 31, v0
	v_lshl_add_u64 v[2:3], v[2:3], 3, s[8:9]
	v_cmp_gt_i32_e64 s[2:3], s18, v0
	v_lshl_add_u64 v[0:1], v[0:1], 3, v[2:3]
	v_lshlrev_b32_e32 v27, 3, v15
	v_lshl_add_u64 v[12:13], s[26:27], 0, v[0:1]
	s_lshl_b64 s[8:9], s[28:29], 6
	s_xor_b64 s[14:15], s[2:3], -1
	v_mov_b32_e32 v14, 0
	v_mov_b32_e32 v8, 0
	v_mov_b32_e32 v18, 0
	v_mov_b32_e32 v16, 0
	v_mov_b32_e32 v22, 0
	v_mov_b32_e32 v20, 0
	v_mov_b32_e32 v26, 0
	v_mov_b32_e32 v24, 0
	s_branch .LBB365_8
.LBB365_7:                              ;   in Loop: Header=BB365_8 Depth=1
	s_or_b64 exec, exec, s[2:3]
	ds_write_b32 v25, v0 offset:4
	s_waitcnt lgkmcnt(0)
	s_barrier
	ds_read2_b64 v[30:33], v27 offset1:16
	ds_read_b128 v[34:37], v28
	ds_read_b128 v[38:41], v28 offset:16
	ds_read_b128 v[4:7], v28 offset:32
	;; [unrolled: 1-line block ×3, first 2 shown]
	ds_read2_b64 v[50:53], v27 offset0:32 offset1:48
	s_waitcnt lgkmcnt(4)
	v_mul_f32_e32 v42, v34, v31
	v_fmac_f32_e32 v42, v35, v30
	v_add_f32_e32 v26, v26, v42
	ds_read_b128 v[42:45], v28 offset:1024
	ds_read_b128 v[46:49], v28 offset:1040
	v_mul_f32_e32 v29, v35, v31
	v_fma_f32 v29, v34, v30, -v29
	v_add_f32_e32 v24, v24, v29
	v_mul_f32_e32 v29, v35, v33
	v_fma_f32 v29, v34, v32, -v29
	v_add_f32_e32 v20, v20, v29
	s_waitcnt lgkmcnt(1)
	v_mul_f32_e32 v29, v43, v31
	v_mul_f32_e32 v31, v42, v31
	v_fma_f32 v29, v42, v30, -v29
	v_fmac_f32_e32 v31, v43, v30
	v_mul_f32_e32 v30, v42, v33
	v_fmac_f32_e32 v30, v43, v32
	v_add_f32_e32 v14, v14, v30
	v_mul_f32_e32 v30, v36, v51
	v_mul_f32_e32 v34, v34, v33
	v_fmac_f32_e32 v30, v37, v50
	v_fmac_f32_e32 v34, v35, v32
	v_add_f32_e32 v26, v26, v30
	v_mul_f32_e32 v30, v36, v53
	v_add_f32_e32 v22, v22, v34
	v_add_f32_e32 v16, v16, v29
	v_mul_f32_e32 v29, v43, v33
	v_fmac_f32_e32 v30, v37, v52
	v_fma_f32 v29, v42, v32, -v29
	v_add_f32_e32 v22, v22, v30
	v_mul_f32_e32 v30, v44, v51
	v_add_f32_e32 v18, v18, v31
	v_add_f32_e32 v8, v8, v29
	v_mul_f32_e32 v29, v37, v51
	v_fmac_f32_e32 v30, v45, v50
	v_fma_f32 v29, v36, v50, -v29
	v_add_f32_e32 v18, v18, v30
	ds_read2_b64 v[30:33], v27 offset0:64 offset1:80
	v_add_f32_e32 v24, v24, v29
	v_mul_f32_e32 v29, v37, v53
	v_fma_f32 v29, v36, v52, -v29
	v_add_f32_e32 v20, v20, v29
	v_mul_f32_e32 v29, v45, v51
	v_mul_f32_e32 v34, v44, v53
	v_fma_f32 v29, v44, v50, -v29
	v_fmac_f32_e32 v34, v45, v52
	v_add_f32_e32 v16, v16, v29
	v_mul_f32_e32 v29, v45, v53
	v_add_f32_e32 v14, v14, v34
	s_waitcnt lgkmcnt(0)
	v_mul_f32_e32 v34, v38, v31
	v_fma_f32 v29, v44, v52, -v29
	v_fmac_f32_e32 v34, v39, v30
	v_add_f32_e32 v8, v8, v29
	v_mul_f32_e32 v29, v39, v31
	v_add_f32_e32 v26, v26, v34
	v_mul_f32_e32 v34, v38, v33
	v_fma_f32 v29, v38, v30, -v29
	v_fmac_f32_e32 v34, v39, v32
	v_add_f32_e32 v24, v24, v29
	v_mul_f32_e32 v29, v39, v33
	v_add_f32_e32 v22, v22, v34
	ds_read2_b64 v[34:37], v27 offset0:96 offset1:112
	v_fma_f32 v29, v38, v32, -v29
	v_add_f32_e32 v20, v20, v29
	v_mul_f32_e32 v29, v47, v31
	v_mul_f32_e32 v31, v46, v31
	v_fma_f32 v29, v46, v30, -v29
	v_fmac_f32_e32 v31, v47, v30
	v_mul_f32_e32 v30, v46, v33
	v_fmac_f32_e32 v30, v47, v32
	v_add_f32_e32 v14, v14, v30
	s_waitcnt lgkmcnt(0)
	v_mul_f32_e32 v30, v40, v35
	v_fmac_f32_e32 v30, v41, v34
	v_add_f32_e32 v16, v16, v29
	v_mul_f32_e32 v29, v47, v33
	v_add_f32_e32 v26, v26, v30
	v_mul_f32_e32 v30, v40, v37
	v_fma_f32 v29, v46, v32, -v29
	v_fmac_f32_e32 v30, v41, v36
	v_add_f32_e32 v8, v8, v29
	v_mul_f32_e32 v29, v41, v35
	v_add_f32_e32 v22, v22, v30
	v_mul_f32_e32 v30, v48, v35
	v_add_f32_e32 v18, v18, v31
	v_fma_f32 v29, v40, v34, -v29
	v_fmac_f32_e32 v30, v49, v34
	v_add_f32_e32 v24, v24, v29
	v_mul_f32_e32 v29, v41, v37
	v_add_f32_e32 v18, v18, v30
	ds_read2_b64 v[30:33], v27 offset0:128 offset1:144
	v_fma_f32 v29, v40, v36, -v29
	v_add_f32_e32 v20, v20, v29
	v_mul_f32_e32 v29, v49, v35
	v_fma_f32 v29, v48, v34, -v29
	v_mul_f32_e32 v34, v48, v37
	v_fmac_f32_e32 v34, v49, v36
	v_add_f32_e32 v14, v14, v34
	s_waitcnt lgkmcnt(0)
	v_mul_f32_e32 v34, v4, v31
	v_add_f32_e32 v16, v16, v29
	v_mul_f32_e32 v29, v49, v37
	v_fmac_f32_e32 v34, v5, v30
	v_fma_f32 v29, v48, v36, -v29
	v_add_f32_e32 v26, v26, v34
	ds_read_b128 v[34:37], v28 offset:1056
	ds_read_b128 v[38:41], v28 offset:1072
	v_add_f32_e32 v8, v8, v29
	v_mul_f32_e32 v29, v5, v31
	v_fma_f32 v29, v4, v30, -v29
	v_add_f32_e32 v24, v24, v29
	v_mul_f32_e32 v29, v5, v33
	v_fma_f32 v29, v4, v32, -v29
	v_mul_f32_e32 v4, v4, v33
	ds_read2_b64 v[42:45], v27 offset0:160 offset1:176
	v_fmac_f32_e32 v4, v5, v32
	v_add_f32_e32 v5, v20, v29
	s_waitcnt lgkmcnt(2)
	v_mul_f32_e32 v20, v35, v31
	v_fma_f32 v20, v34, v30, -v20
	v_add_f32_e32 v16, v16, v20
	v_mul_f32_e32 v20, v35, v33
	v_add_f32_e32 v4, v22, v4
	v_mul_f32_e32 v22, v34, v31
	v_fma_f32 v20, v34, v32, -v20
	v_fmac_f32_e32 v22, v35, v30
	v_add_f32_e32 v8, v8, v20
	s_waitcnt lgkmcnt(0)
	v_mul_f32_e32 v20, v7, v43
	v_add_f32_e32 v18, v18, v22
	v_mul_f32_e32 v22, v34, v33
	v_fma_f32 v20, v6, v42, -v20
	v_fmac_f32_e32 v22, v35, v32
	v_add_f32_e32 v20, v24, v20
	v_mul_f32_e32 v24, v7, v45
	v_add_f32_e32 v14, v14, v22
	v_mul_f32_e32 v22, v6, v43
	v_fma_f32 v24, v6, v44, -v24
	v_mul_f32_e32 v6, v6, v45
	v_fmac_f32_e32 v22, v7, v42
	v_fmac_f32_e32 v6, v7, v44
	v_add_f32_e32 v22, v26, v22
	v_add_f32_e32 v26, v4, v6
	v_mul_f32_e32 v4, v37, v43
	v_add_f32_e32 v24, v5, v24
	v_fma_f32 v4, v36, v42, -v4
	v_mul_f32_e32 v5, v36, v43
	v_fmac_f32_e32 v5, v37, v42
	v_add_f32_e32 v16, v16, v4
	v_mul_f32_e32 v4, v37, v45
	v_add_f32_e32 v18, v18, v5
	v_fma_f32 v29, v36, v44, -v4
	ds_read2_b64 v[4:7], v27 offset0:192 offset1:208
	v_mul_f32_e32 v30, v36, v45
	v_fmac_f32_e32 v30, v37, v44
	v_add_f32_e32 v8, v8, v29
	v_add_f32_e32 v14, v14, v30
	s_waitcnt lgkmcnt(0)
	v_mul_f32_e32 v29, v1, v5
	v_fma_f32 v29, v0, v4, -v29
	v_mul_f32_e32 v30, v0, v5
	v_fmac_f32_e32 v30, v1, v4
	v_add_f32_e32 v20, v20, v29
	v_mul_f32_e32 v29, v1, v7
	v_add_f32_e32 v22, v22, v30
	v_fma_f32 v29, v0, v6, -v29
	v_mul_f32_e32 v0, v0, v7
	ds_read2_b64 v[30:33], v27 offset0:224 offset1:240
	v_fmac_f32_e32 v0, v1, v6
	v_add_f32_e32 v1, v24, v29
	v_mul_f32_e32 v24, v39, v5
	v_fma_f32 v24, v38, v4, -v24
	v_mul_f32_e32 v5, v38, v5
	v_fmac_f32_e32 v5, v39, v4
	v_add_f32_e32 v4, v16, v24
	v_mul_f32_e32 v16, v39, v7
	v_fma_f32 v16, v38, v6, -v16
	v_mul_f32_e32 v7, v38, v7
	v_fmac_f32_e32 v7, v39, v6
	v_add_f32_e32 v6, v8, v16
	s_waitcnt lgkmcnt(0)
	v_mul_f32_e32 v8, v3, v31
	v_fma_f32 v8, v2, v30, -v8
	v_add_f32_e32 v24, v20, v8
	v_mul_f32_e32 v8, v3, v33
	v_add_f32_e32 v7, v14, v7
	v_mul_f32_e32 v14, v2, v31
	v_fma_f32 v8, v2, v32, -v8
	v_mul_f32_e32 v2, v2, v33
	v_add_f32_e32 v0, v26, v0
	v_fmac_f32_e32 v14, v3, v30
	v_fmac_f32_e32 v2, v3, v32
	v_add_f32_e32 v26, v22, v14
	v_add_f32_e32 v20, v1, v8
	;; [unrolled: 1-line block ×3, first 2 shown]
	v_mul_f32_e32 v0, v41, v31
	v_mul_f32_e32 v1, v40, v31
	v_add_f32_e32 v5, v18, v5
	v_fma_f32 v0, v40, v30, -v0
	v_fmac_f32_e32 v1, v41, v30
	v_add_f32_e32 v16, v4, v0
	v_add_f32_e32 v18, v5, v1
	v_mul_f32_e32 v0, v41, v33
	v_mul_f32_e32 v1, v40, v33
	v_fma_f32 v0, v40, v32, -v0
	v_fmac_f32_e32 v1, v41, v32
	s_add_i32 s5, s5, 8
	v_add_f32_e32 v8, v6, v0
	v_add_f32_e32 v14, v7, v1
	v_lshl_add_u64 v[10:11], v[10:11], 0, 64
	s_cmp_lt_i32 s5, s19
	v_lshl_add_u64 v[12:13], v[12:13], 0, s[8:9]
	s_barrier
	s_cbranch_scc0 .LBB365_14
.LBB365_8:                              ; =>This Inner Loop Header: Depth=1
	v_add_u32_e32 v0, s5, v21
	v_cmp_gt_i32_e64 s[2:3], s19, v0
	s_and_b64 s[20:21], vcc, s[2:3]
	v_mov_b32_e32 v0, 0
	v_mov_b32_e32 v1, 0
	s_and_saveexec_b64 s[2:3], s[20:21]
	s_cbranch_execz .LBB365_10
; %bb.9:                                ;   in Loop: Header=BB365_8 Depth=1
	flat_load_dwordx2 v[0:1], v[10:11]
.LBB365_10:                             ;   in Loop: Header=BB365_8 Depth=1
	s_or_b64 exec, exec, s[2:3]
	s_waitcnt vmcnt(0) lgkmcnt(0)
	ds_write_b64 v23, v[0:1]
	v_add_u32_e32 v0, s5, v19
	v_cmp_le_i32_e64 s[2:3], s19, v0
	s_or_b64 s[2:3], s[2:3], s[14:15]
	s_and_saveexec_b64 s[20:21], s[2:3]
	s_xor_b64 s[2:3], exec, s[20:21]
; %bb.11:                               ;   in Loop: Header=BB365_8 Depth=1
	ds_write_b32 v25, v9
; %bb.12:                               ;   in Loop: Header=BB365_8 Depth=1
	s_or_saveexec_b64 s[2:3], s[2:3]
	v_mov_b32_e32 v0, 0
	s_xor_b64 exec, exec, s[2:3]
	s_cbranch_execz .LBB365_7
; %bb.13:                               ;   in Loop: Header=BB365_8 Depth=1
	flat_load_dwordx2 v[2:3], v[12:13]
	s_waitcnt vmcnt(0) lgkmcnt(0)
	v_xor_b32_e32 v0, 0x80000000, v3
	ds_write_b32 v25, v2
	s_branch .LBB365_7
.LBB365_14:
	s_load_dwordx2 s[2:3], s[0:1], 0x58
	s_load_dword s14, s[0:1], 0x50
	v_add_u32_e32 v0, s4, v15
	v_add_u32_e32 v9, s22, v17
	v_cmp_neq_f32_e64 s[0:1], s6, 0
	s_waitcnt lgkmcnt(0)
	s_lshl_b64 s[2:3], s[2:3], 3
	s_add_u32 s4, s12, s2
	s_addc_u32 s5, s13, s3
	s_xor_b64 s[8:9], s[10:11], -1
	v_mad_i64_i32 v[2:3], s[10:11], v9, s14, 0
	s_or_b64 s[0:1], s[0:1], s[8:9]
	v_cmp_gt_i32_e64 s[2:3], s18, v9
	v_lshl_add_u64 v[4:5], v[2:3], 3, s[4:5]
	v_cmp_le_i32_e32 vcc, v0, v9
	v_cndmask_b32_e64 v2, 0, 1, s[0:1]
	s_and_b64 s[10:11], s[2:3], vcc
	v_ashrrev_i32_e32 v1, 31, v0
	v_cmp_ne_u32_e64 s[0:1], 1, v2
	s_and_saveexec_b64 s[8:9], s[10:11]
	s_cbranch_execz .LBB365_18
; %bb.15:
	v_pk_mul_f32 v[6:7], v[26:27], s[16:17] op_sel:[0,1] op_sel_hi:[0,0]
	v_pk_fma_f32 v[2:3], v[24:25], s[16:17], v[6:7] op_sel_hi:[0,1,1] neg_lo:[0,0,1] neg_hi:[0,0,1]
	v_pk_fma_f32 v[10:11], v[24:25], s[16:17], v[6:7] op_sel_hi:[0,1,1]
	s_and_b64 vcc, exec, s[0:1]
	v_lshl_add_u64 v[6:7], v[0:1], 3, v[4:5]
	s_cbranch_vccnz .LBB365_17
; %bb.16:
	flat_load_dwordx2 v[12:13], v[6:7]
	s_mov_b32 s10, s7
	v_mov_b32_e32 v3, v11
	s_waitcnt vmcnt(0) lgkmcnt(0)
	v_pk_mul_f32 v[10:11], v[12:13], s[10:11] op_sel:[1,0] op_sel_hi:[0,0]
	v_pk_fma_f32 v[24:25], v[12:13], s[6:7], v[10:11] neg_lo:[0,0,1] neg_hi:[0,0,1]
	v_pk_fma_f32 v[10:11], v[12:13], s[6:7], v[10:11] op_sel_hi:[1,0,1]
	s_nop 0
	v_mov_b32_e32 v25, v11
	v_pk_add_f32 v[2:3], v[2:3], v[24:25]
	s_nop 0
	v_mov_b32_e32 v11, v3
.LBB365_17:
	v_mov_b32_e32 v3, v11
	flat_store_dwordx2 v[6:7], v[2:3]
.LBB365_18:
	s_or_b64 exec, exec, s[8:9]
	v_add_u32_e32 v2, 16, v0
	v_cmp_le_i32_e32 vcc, v2, v9
	s_and_b64 s[8:9], s[2:3], vcc
	v_ashrrev_i32_e32 v3, 31, v2
	s_and_saveexec_b64 s[2:3], s[8:9]
	s_cbranch_execz .LBB365_22
; %bb.19:
	v_pk_mul_f32 v[10:11], v[22:23], s[16:17] op_sel:[0,1] op_sel_hi:[0,0]
	v_pk_fma_f32 v[6:7], v[20:21], s[16:17], v[10:11] op_sel_hi:[0,1,1] neg_lo:[0,0,1] neg_hi:[0,0,1]
	v_pk_fma_f32 v[10:11], v[20:21], s[16:17], v[10:11] op_sel_hi:[0,1,1]
	s_and_b64 vcc, exec, s[0:1]
	v_lshl_add_u64 v[4:5], v[2:3], 3, v[4:5]
	s_cbranch_vccnz .LBB365_21
; %bb.20:
	flat_load_dwordx2 v[12:13], v[4:5]
	s_mov_b32 s8, s7
	v_mov_b32_e32 v7, v11
	s_waitcnt vmcnt(0) lgkmcnt(0)
	v_pk_mul_f32 v[10:11], v[12:13], s[8:9] op_sel:[1,0] op_sel_hi:[0,0]
	v_pk_fma_f32 v[20:21], v[12:13], s[6:7], v[10:11] neg_lo:[0,0,1] neg_hi:[0,0,1]
	v_pk_fma_f32 v[10:11], v[12:13], s[6:7], v[10:11] op_sel_hi:[1,0,1]
	s_nop 0
	v_mov_b32_e32 v21, v11
	v_pk_add_f32 v[6:7], v[6:7], v[20:21]
	s_nop 0
	v_mov_b32_e32 v11, v7
.LBB365_21:
	v_mov_b32_e32 v7, v11
	flat_store_dwordx2 v[4:5], v[6:7]
.LBB365_22:
	s_or_b64 exec, exec, s[2:3]
	v_add_u32_e32 v9, 16, v9
	v_cmp_gt_i32_e64 s[2:3], s18, v9
	v_mad_i64_i32 v[4:5], s[8:9], v9, s14, 0
	v_cmp_le_i32_e32 vcc, v0, v9
	v_lshl_add_u64 v[4:5], v[4:5], 3, s[4:5]
	s_and_b64 s[8:9], s[2:3], vcc
	s_and_saveexec_b64 s[4:5], s[8:9]
	s_cbranch_execz .LBB365_26
; %bb.23:
	v_pk_mul_f32 v[10:11], v[18:19], s[16:17] op_sel:[0,1] op_sel_hi:[0,0]
	v_pk_fma_f32 v[6:7], v[16:17], s[16:17], v[10:11] op_sel_hi:[0,1,1] neg_lo:[0,0,1] neg_hi:[0,0,1]
	v_pk_fma_f32 v[10:11], v[16:17], s[16:17], v[10:11] op_sel_hi:[0,1,1]
	s_and_b64 vcc, exec, s[0:1]
	v_lshl_add_u64 v[0:1], v[0:1], 3, v[4:5]
	s_cbranch_vccnz .LBB365_25
; %bb.24:
	flat_load_dwordx2 v[12:13], v[0:1]
	s_mov_b32 s8, s7
	v_mov_b32_e32 v7, v11
	s_waitcnt vmcnt(0) lgkmcnt(0)
	v_pk_mul_f32 v[10:11], v[12:13], s[8:9] op_sel:[1,0] op_sel_hi:[0,0]
	v_pk_fma_f32 v[16:17], v[12:13], s[6:7], v[10:11] neg_lo:[0,0,1] neg_hi:[0,0,1]
	v_pk_fma_f32 v[10:11], v[12:13], s[6:7], v[10:11] op_sel_hi:[1,0,1]
	s_nop 0
	v_mov_b32_e32 v17, v11
	v_pk_add_f32 v[6:7], v[6:7], v[16:17]
	s_nop 0
	v_mov_b32_e32 v11, v7
.LBB365_25:
	v_mov_b32_e32 v7, v11
	flat_store_dwordx2 v[0:1], v[6:7]
.LBB365_26:
	s_or_b64 exec, exec, s[4:5]
	v_cmp_le_i32_e32 vcc, v2, v9
	s_and_b64 s[2:3], s[2:3], vcc
	s_and_saveexec_b64 s[4:5], s[2:3]
	s_cbranch_execz .LBB365_30
; %bb.27:
	v_pk_mul_f32 v[6:7], v[14:15], s[16:17] op_sel:[0,1] op_sel_hi:[0,0]
	v_pk_fma_f32 v[0:1], v[8:9], s[16:17], v[6:7] op_sel_hi:[0,1,1] neg_lo:[0,0,1] neg_hi:[0,0,1]
	v_pk_fma_f32 v[6:7], v[8:9], s[16:17], v[6:7] op_sel_hi:[0,1,1]
	s_and_b64 vcc, exec, s[0:1]
	v_lshl_add_u64 v[2:3], v[2:3], 3, v[4:5]
	s_cbranch_vccnz .LBB365_29
; %bb.28:
	flat_load_dwordx2 v[4:5], v[2:3]
	s_mov_b32 s0, s7
	v_mov_b32_e32 v1, v7
	s_waitcnt vmcnt(0) lgkmcnt(0)
	v_pk_mul_f32 v[6:7], v[4:5], s[0:1] op_sel:[1,0] op_sel_hi:[0,0]
	v_pk_fma_f32 v[8:9], v[4:5], s[6:7], v[6:7] neg_lo:[0,0,1] neg_hi:[0,0,1]
	v_pk_fma_f32 v[4:5], v[4:5], s[6:7], v[6:7] op_sel_hi:[1,0,1]
	s_nop 0
	v_mov_b32_e32 v9, v5
	v_pk_add_f32 v[0:1], v[0:1], v[8:9]
	s_nop 0
	v_mov_b32_e32 v7, v1
.LBB365_29:
	v_mov_b32_e32 v1, v7
	flat_store_dwordx2 v[2:3], v[0:1]
.LBB365_30:
	s_endpgm
	.section	.rodata,"a",@progbits
	.p2align	6, 0x0
	.amdhsa_kernel _ZL29rocblas_internal_gemmt_kernelIiLi16ELi32ELi8ELc84ELc67ELc85ELb0ELb1E19rocblas_complex_numIfEPKS1_PKS3_PKPS1_EviT_T9_T10_S9_lSB_S9_lSA_T11_S9_li
		.amdhsa_group_segment_fixed_size 4096
		.amdhsa_private_segment_fixed_size 0
		.amdhsa_kernarg_size 100
		.amdhsa_user_sgpr_count 2
		.amdhsa_user_sgpr_dispatch_ptr 0
		.amdhsa_user_sgpr_queue_ptr 0
		.amdhsa_user_sgpr_kernarg_segment_ptr 1
		.amdhsa_user_sgpr_dispatch_id 0
		.amdhsa_user_sgpr_kernarg_preload_length 0
		.amdhsa_user_sgpr_kernarg_preload_offset 0
		.amdhsa_user_sgpr_private_segment_size 0
		.amdhsa_uses_dynamic_stack 0
		.amdhsa_enable_private_segment 0
		.amdhsa_system_sgpr_workgroup_id_x 1
		.amdhsa_system_sgpr_workgroup_id_y 1
		.amdhsa_system_sgpr_workgroup_id_z 1
		.amdhsa_system_sgpr_workgroup_info 0
		.amdhsa_system_vgpr_workitem_id 1
		.amdhsa_next_free_vgpr 54
		.amdhsa_next_free_sgpr 30
		.amdhsa_accum_offset 56
		.amdhsa_reserve_vcc 1
		.amdhsa_float_round_mode_32 0
		.amdhsa_float_round_mode_16_64 0
		.amdhsa_float_denorm_mode_32 3
		.amdhsa_float_denorm_mode_16_64 3
		.amdhsa_dx10_clamp 1
		.amdhsa_ieee_mode 1
		.amdhsa_fp16_overflow 0
		.amdhsa_tg_split 0
		.amdhsa_exception_fp_ieee_invalid_op 0
		.amdhsa_exception_fp_denorm_src 0
		.amdhsa_exception_fp_ieee_div_zero 0
		.amdhsa_exception_fp_ieee_overflow 0
		.amdhsa_exception_fp_ieee_underflow 0
		.amdhsa_exception_fp_ieee_inexact 0
		.amdhsa_exception_int_div_zero 0
	.end_amdhsa_kernel
	.section	.text._ZL29rocblas_internal_gemmt_kernelIiLi16ELi32ELi8ELc84ELc67ELc85ELb0ELb1E19rocblas_complex_numIfEPKS1_PKS3_PKPS1_EviT_T9_T10_S9_lSB_S9_lSA_T11_S9_li,"axG",@progbits,_ZL29rocblas_internal_gemmt_kernelIiLi16ELi32ELi8ELc84ELc67ELc85ELb0ELb1E19rocblas_complex_numIfEPKS1_PKS3_PKPS1_EviT_T9_T10_S9_lSB_S9_lSA_T11_S9_li,comdat
.Lfunc_end365:
	.size	_ZL29rocblas_internal_gemmt_kernelIiLi16ELi32ELi8ELc84ELc67ELc85ELb0ELb1E19rocblas_complex_numIfEPKS1_PKS3_PKPS1_EviT_T9_T10_S9_lSB_S9_lSA_T11_S9_li, .Lfunc_end365-_ZL29rocblas_internal_gemmt_kernelIiLi16ELi32ELi8ELc84ELc67ELc85ELb0ELb1E19rocblas_complex_numIfEPKS1_PKS3_PKPS1_EviT_T9_T10_S9_lSB_S9_lSA_T11_S9_li
                                        ; -- End function
	.set _ZL29rocblas_internal_gemmt_kernelIiLi16ELi32ELi8ELc84ELc67ELc85ELb0ELb1E19rocblas_complex_numIfEPKS1_PKS3_PKPS1_EviT_T9_T10_S9_lSB_S9_lSA_T11_S9_li.num_vgpr, 54
	.set _ZL29rocblas_internal_gemmt_kernelIiLi16ELi32ELi8ELc84ELc67ELc85ELb0ELb1E19rocblas_complex_numIfEPKS1_PKS3_PKPS1_EviT_T9_T10_S9_lSB_S9_lSA_T11_S9_li.num_agpr, 0
	.set _ZL29rocblas_internal_gemmt_kernelIiLi16ELi32ELi8ELc84ELc67ELc85ELb0ELb1E19rocblas_complex_numIfEPKS1_PKS3_PKPS1_EviT_T9_T10_S9_lSB_S9_lSA_T11_S9_li.numbered_sgpr, 30
	.set _ZL29rocblas_internal_gemmt_kernelIiLi16ELi32ELi8ELc84ELc67ELc85ELb0ELb1E19rocblas_complex_numIfEPKS1_PKS3_PKPS1_EviT_T9_T10_S9_lSB_S9_lSA_T11_S9_li.num_named_barrier, 0
	.set _ZL29rocblas_internal_gemmt_kernelIiLi16ELi32ELi8ELc84ELc67ELc85ELb0ELb1E19rocblas_complex_numIfEPKS1_PKS3_PKPS1_EviT_T9_T10_S9_lSB_S9_lSA_T11_S9_li.private_seg_size, 0
	.set _ZL29rocblas_internal_gemmt_kernelIiLi16ELi32ELi8ELc84ELc67ELc85ELb0ELb1E19rocblas_complex_numIfEPKS1_PKS3_PKPS1_EviT_T9_T10_S9_lSB_S9_lSA_T11_S9_li.uses_vcc, 1
	.set _ZL29rocblas_internal_gemmt_kernelIiLi16ELi32ELi8ELc84ELc67ELc85ELb0ELb1E19rocblas_complex_numIfEPKS1_PKS3_PKPS1_EviT_T9_T10_S9_lSB_S9_lSA_T11_S9_li.uses_flat_scratch, 0
	.set _ZL29rocblas_internal_gemmt_kernelIiLi16ELi32ELi8ELc84ELc67ELc85ELb0ELb1E19rocblas_complex_numIfEPKS1_PKS3_PKPS1_EviT_T9_T10_S9_lSB_S9_lSA_T11_S9_li.has_dyn_sized_stack, 0
	.set _ZL29rocblas_internal_gemmt_kernelIiLi16ELi32ELi8ELc84ELc67ELc85ELb0ELb1E19rocblas_complex_numIfEPKS1_PKS3_PKPS1_EviT_T9_T10_S9_lSB_S9_lSA_T11_S9_li.has_recursion, 0
	.set _ZL29rocblas_internal_gemmt_kernelIiLi16ELi32ELi8ELc84ELc67ELc85ELb0ELb1E19rocblas_complex_numIfEPKS1_PKS3_PKPS1_EviT_T9_T10_S9_lSB_S9_lSA_T11_S9_li.has_indirect_call, 0
	.section	.AMDGPU.csdata,"",@progbits
; Kernel info:
; codeLenInByte = 2516
; TotalNumSgprs: 36
; NumVgprs: 54
; NumAgprs: 0
; TotalNumVgprs: 54
; ScratchSize: 0
; MemoryBound: 0
; FloatMode: 240
; IeeeMode: 1
; LDSByteSize: 4096 bytes/workgroup (compile time only)
; SGPRBlocks: 4
; VGPRBlocks: 6
; NumSGPRsForWavesPerEU: 36
; NumVGPRsForWavesPerEU: 54
; AccumOffset: 56
; Occupancy: 8
; WaveLimiterHint : 1
; COMPUTE_PGM_RSRC2:SCRATCH_EN: 0
; COMPUTE_PGM_RSRC2:USER_SGPR: 2
; COMPUTE_PGM_RSRC2:TRAP_HANDLER: 0
; COMPUTE_PGM_RSRC2:TGID_X_EN: 1
; COMPUTE_PGM_RSRC2:TGID_Y_EN: 1
; COMPUTE_PGM_RSRC2:TGID_Z_EN: 1
; COMPUTE_PGM_RSRC2:TIDIG_COMP_CNT: 1
; COMPUTE_PGM_RSRC3_GFX90A:ACCUM_OFFSET: 13
; COMPUTE_PGM_RSRC3_GFX90A:TG_SPLIT: 0
	.section	.text._ZL29rocblas_internal_gemmt_kernelIiLi16ELi32ELi8ELc67ELc78ELc85ELb1ELb0E19rocblas_complex_numIfEPKS1_PKS3_PKPS1_EviT_T9_T10_S9_lSB_S9_lSA_T11_S9_li,"axG",@progbits,_ZL29rocblas_internal_gemmt_kernelIiLi16ELi32ELi8ELc67ELc78ELc85ELb1ELb0E19rocblas_complex_numIfEPKS1_PKS3_PKPS1_EviT_T9_T10_S9_lSB_S9_lSA_T11_S9_li,comdat
	.globl	_ZL29rocblas_internal_gemmt_kernelIiLi16ELi32ELi8ELc67ELc78ELc85ELb1ELb0E19rocblas_complex_numIfEPKS1_PKS3_PKPS1_EviT_T9_T10_S9_lSB_S9_lSA_T11_S9_li ; -- Begin function _ZL29rocblas_internal_gemmt_kernelIiLi16ELi32ELi8ELc67ELc78ELc85ELb1ELb0E19rocblas_complex_numIfEPKS1_PKS3_PKPS1_EviT_T9_T10_S9_lSB_S9_lSA_T11_S9_li
	.p2align	8
	.type	_ZL29rocblas_internal_gemmt_kernelIiLi16ELi32ELi8ELc67ELc78ELc85ELb1ELb0E19rocblas_complex_numIfEPKS1_PKS3_PKPS1_EviT_T9_T10_S9_lSB_S9_lSA_T11_S9_li,@function
_ZL29rocblas_internal_gemmt_kernelIiLi16ELi32ELi8ELc67ELc78ELc85ELb1ELb0E19rocblas_complex_numIfEPKS1_PKS3_PKPS1_EviT_T9_T10_S9_lSB_S9_lSA_T11_S9_li: ; @_ZL29rocblas_internal_gemmt_kernelIiLi16ELi32ELi8ELc67ELc78ELc85ELb1ELb0E19rocblas_complex_numIfEPKS1_PKS3_PKPS1_EviT_T9_T10_S9_lSB_S9_lSA_T11_S9_li
; %bb.0:
	s_load_dwordx4 s[8:11], s[0:1], 0x38
	s_load_dwordx4 s[12:15], s[0:1], 0x8
	s_waitcnt lgkmcnt(0)
	s_load_dwordx2 s[6:7], s[10:11], 0x0
	s_load_dwordx2 s[18:19], s[0:1], 0x0
	;; [unrolled: 1-line block ×3, first 2 shown]
	s_waitcnt lgkmcnt(0)
	s_and_b32 s5, s7, 0x7fffffff
	s_cmp_eq_u32 s5, 0
	v_cmp_eq_f32_e64 s[12:13], s6, 1.0
	s_cselect_b64 s[10:11], -1, 0
	s_and_b64 s[12:13], s[12:13], s[10:11]
	s_and_b64 vcc, exec, s[12:13]
	s_cbranch_vccnz .LBB366_2
; %bb.1:
	s_mov_b64 s[12:13], -1
	s_cbranch_execz .LBB366_3
	s_branch .LBB366_4
.LBB366_2:
	s_mov_b64 s[12:13], 0
.LBB366_3:
	s_cmp_lg_u32 s19, 0
	v_cmp_neq_f32_e64 s[20:21], s16, 0
	v_cmp_neq_f32_e64 s[22:23], s17, 0
	s_cselect_b64 s[12:13], -1, 0
	s_or_b64 s[20:21], s[20:21], s[22:23]
	s_and_b64 s[12:13], s[12:13], s[20:21]
.LBB366_4:
	s_andn2_b64 vcc, exec, s[12:13]
	s_cbranch_vccnz .LBB366_30
; %bb.5:
	s_load_dwordx2 s[12:13], s[0:1], 0x48
	s_mov_b32 s5, 0
	s_lshl_b64 s[20:21], s[4:5], 3
	v_cmp_eq_f32_e64 s[24:25], s17, 0
	v_and_b32_e32 v15, 0x3ff, v0
	s_waitcnt lgkmcnt(0)
	s_add_u32 s12, s12, s20
	s_addc_u32 s13, s13, s21
	s_lshl_b32 s4, s2, 5
	s_lshl_b32 s22, s3, 5
	v_cmp_eq_f32_e64 s[2:3], s16, 0
	s_load_dwordx2 s[12:13], s[12:13], 0x0
	s_and_b64 s[2:3], s[2:3], s[24:25]
	s_cmp_lt_i32 s19, 1
	s_cselect_b64 s[24:25], -1, 0
	s_or_b64 s[2:3], s[2:3], s[24:25]
	v_bfe_u32 v17, v0, 10, 10
	v_mov_b32_e32 v24, 0
	s_and_b64 vcc, exec, s[2:3]
	v_mov_b32_e32 v26, 0
	v_mov_b32_e32 v20, 0
	;; [unrolled: 1-line block ×7, first 2 shown]
	s_cbranch_vccnz .LBB366_14
; %bb.6:
	s_load_dword s23, s[0:1], 0x18
	s_load_dwordx4 s[24:27], s[0:1], 0x20
	s_load_dword s28, s[0:1], 0x30
	v_lshl_add_u32 v0, v17, 4, v15
	v_and_b32_e32 v2, 31, v0
	v_lshrrev_b32_e32 v21, 5, v0
	s_waitcnt lgkmcnt(0)
	s_add_u32 s2, s26, s20
	s_addc_u32 s3, s27, s21
	s_load_dwordx2 s[26:27], s[2:3], 0x0
	s_add_u32 s2, s14, s20
	v_lshrrev_b32_e32 v1, 3, v0
	v_or_b32_e32 v0, s4, v2
	s_addc_u32 s3, s15, s21
	v_and_b32_e32 v19, 7, v15
	s_load_dwordx2 s[14:15], s[2:3], 0x0
	v_cmp_gt_i32_e64 s[2:3], s18, v0
	v_lshlrev_b32_e32 v0, 3, v2
	v_lshl_or_b32 v23, v21, 8, v0
	v_lshlrev_b32_e32 v0, 3, v19
	v_add_u32_e32 v4, s22, v1
	v_lshl_or_b32 v1, v1, 6, v0
	v_add_u32_e32 v25, 0x800, v1
	v_mov_b32_e32 v1, 0x800
	v_lshl_add_u32 v28, v17, 6, v1
	v_add_u32_e32 v1, s4, v2
	v_mad_i64_i32 v[2:3], s[20:21], s23, v1, 0
	s_lshl_b64 s[20:21], s[24:25], 3
	s_nop 0
	v_lshl_add_u64 v[2:3], v[2:3], 3, s[20:21]
	v_lshlrev_b32_e32 v8, 3, v21
	v_mov_b32_e32 v9, 0
	v_lshl_add_u64 v[2:3], v[2:3], 0, v[8:9]
	s_waitcnt lgkmcnt(0)
	v_lshl_add_u64 v[10:11], s[14:15], 0, v[2:3]
	v_mad_i64_i32 v[2:3], s[14:15], s28, v4, 0
	s_lshl_b64 s[8:9], s[8:9], 3
	v_lshl_add_u64 v[2:3], v[2:3], 3, s[8:9]
	v_mov_b32_e32 v1, v9
	v_lshl_add_u64 v[0:1], v[2:3], 0, v[0:1]
	v_cmp_gt_i32_e32 vcc, s18, v4
	v_lshlrev_b32_e32 v27, 3, v15
	v_lshl_add_u64 v[12:13], s[26:27], 0, v[0:1]
	s_xor_b64 s[8:9], s[2:3], -1
	v_mov_b32_e32 v14, 0
	v_mov_b32_e32 v8, 0
	;; [unrolled: 1-line block ×8, first 2 shown]
	s_branch .LBB366_8
.LBB366_7:                              ;   in Loop: Header=BB366_8 Depth=1
	s_or_b64 exec, exec, s[2:3]
	s_waitcnt vmcnt(0) lgkmcnt(0)
	ds_write_b64 v25, v[2:3]
	s_waitcnt lgkmcnt(0)
	s_barrier
	ds_read2_b64 v[30:33], v27 offset1:16
	ds_read_b128 v[34:37], v28
	ds_read_b128 v[38:41], v28 offset:16
	ds_read_b128 v[4:7], v28 offset:32
	;; [unrolled: 1-line block ×3, first 2 shown]
	ds_read2_b64 v[50:53], v27 offset0:32 offset1:48
	s_waitcnt lgkmcnt(4)
	v_mul_f32_e32 v42, v34, v31
	v_fmac_f32_e32 v42, v35, v30
	v_add_f32_e32 v26, v26, v42
	ds_read_b128 v[42:45], v28 offset:1024
	ds_read_b128 v[46:49], v28 offset:1040
	v_mul_f32_e32 v29, v35, v31
	v_fma_f32 v29, v34, v30, -v29
	v_add_f32_e32 v24, v24, v29
	v_mul_f32_e32 v29, v35, v33
	v_fma_f32 v29, v34, v32, -v29
	v_add_f32_e32 v20, v20, v29
	s_waitcnt lgkmcnt(1)
	v_mul_f32_e32 v29, v43, v31
	v_mul_f32_e32 v31, v42, v31
	v_fma_f32 v29, v42, v30, -v29
	v_fmac_f32_e32 v31, v43, v30
	v_mul_f32_e32 v30, v42, v33
	v_fmac_f32_e32 v30, v43, v32
	v_add_f32_e32 v14, v14, v30
	v_mul_f32_e32 v30, v36, v51
	v_mul_f32_e32 v34, v34, v33
	v_fmac_f32_e32 v30, v37, v50
	v_fmac_f32_e32 v34, v35, v32
	v_add_f32_e32 v26, v26, v30
	v_mul_f32_e32 v30, v36, v53
	v_add_f32_e32 v22, v22, v34
	v_add_f32_e32 v16, v16, v29
	v_mul_f32_e32 v29, v43, v33
	v_fmac_f32_e32 v30, v37, v52
	v_fma_f32 v29, v42, v32, -v29
	v_add_f32_e32 v22, v22, v30
	v_mul_f32_e32 v30, v44, v51
	v_add_f32_e32 v18, v18, v31
	v_add_f32_e32 v8, v8, v29
	v_mul_f32_e32 v29, v37, v51
	v_fmac_f32_e32 v30, v45, v50
	v_fma_f32 v29, v36, v50, -v29
	v_add_f32_e32 v18, v18, v30
	ds_read2_b64 v[30:33], v27 offset0:64 offset1:80
	v_add_f32_e32 v24, v24, v29
	v_mul_f32_e32 v29, v37, v53
	v_fma_f32 v29, v36, v52, -v29
	v_add_f32_e32 v20, v20, v29
	v_mul_f32_e32 v29, v45, v51
	v_mul_f32_e32 v34, v44, v53
	v_fma_f32 v29, v44, v50, -v29
	v_fmac_f32_e32 v34, v45, v52
	v_add_f32_e32 v16, v16, v29
	v_mul_f32_e32 v29, v45, v53
	v_add_f32_e32 v14, v14, v34
	s_waitcnt lgkmcnt(0)
	v_mul_f32_e32 v34, v38, v31
	v_fma_f32 v29, v44, v52, -v29
	v_fmac_f32_e32 v34, v39, v30
	v_add_f32_e32 v8, v8, v29
	v_mul_f32_e32 v29, v39, v31
	v_add_f32_e32 v26, v26, v34
	v_mul_f32_e32 v34, v38, v33
	v_fma_f32 v29, v38, v30, -v29
	v_fmac_f32_e32 v34, v39, v32
	v_add_f32_e32 v24, v24, v29
	v_mul_f32_e32 v29, v39, v33
	v_add_f32_e32 v22, v22, v34
	ds_read2_b64 v[34:37], v27 offset0:96 offset1:112
	v_fma_f32 v29, v38, v32, -v29
	v_add_f32_e32 v20, v20, v29
	v_mul_f32_e32 v29, v47, v31
	v_mul_f32_e32 v31, v46, v31
	v_fma_f32 v29, v46, v30, -v29
	v_fmac_f32_e32 v31, v47, v30
	v_mul_f32_e32 v30, v46, v33
	v_fmac_f32_e32 v30, v47, v32
	v_add_f32_e32 v14, v14, v30
	s_waitcnt lgkmcnt(0)
	v_mul_f32_e32 v30, v40, v35
	v_fmac_f32_e32 v30, v41, v34
	v_add_f32_e32 v16, v16, v29
	v_mul_f32_e32 v29, v47, v33
	v_add_f32_e32 v26, v26, v30
	v_mul_f32_e32 v30, v40, v37
	v_fma_f32 v29, v46, v32, -v29
	v_fmac_f32_e32 v30, v41, v36
	v_add_f32_e32 v8, v8, v29
	v_mul_f32_e32 v29, v41, v35
	v_add_f32_e32 v22, v22, v30
	v_mul_f32_e32 v30, v48, v35
	v_add_f32_e32 v18, v18, v31
	v_fma_f32 v29, v40, v34, -v29
	v_fmac_f32_e32 v30, v49, v34
	v_add_f32_e32 v24, v24, v29
	v_mul_f32_e32 v29, v41, v37
	v_add_f32_e32 v18, v18, v30
	ds_read2_b64 v[30:33], v27 offset0:128 offset1:144
	v_fma_f32 v29, v40, v36, -v29
	v_add_f32_e32 v20, v20, v29
	v_mul_f32_e32 v29, v49, v35
	v_fma_f32 v29, v48, v34, -v29
	v_mul_f32_e32 v34, v48, v37
	v_fmac_f32_e32 v34, v49, v36
	v_add_f32_e32 v14, v14, v34
	s_waitcnt lgkmcnt(0)
	v_mul_f32_e32 v34, v4, v31
	v_add_f32_e32 v16, v16, v29
	v_mul_f32_e32 v29, v49, v37
	v_fmac_f32_e32 v34, v5, v30
	v_fma_f32 v29, v48, v36, -v29
	v_add_f32_e32 v26, v26, v34
	ds_read_b128 v[34:37], v28 offset:1056
	ds_read_b128 v[38:41], v28 offset:1072
	v_add_f32_e32 v8, v8, v29
	v_mul_f32_e32 v29, v5, v31
	v_fma_f32 v29, v4, v30, -v29
	v_add_f32_e32 v24, v24, v29
	v_mul_f32_e32 v29, v5, v33
	v_fma_f32 v29, v4, v32, -v29
	v_mul_f32_e32 v4, v4, v33
	ds_read2_b64 v[42:45], v27 offset0:160 offset1:176
	v_fmac_f32_e32 v4, v5, v32
	v_add_f32_e32 v5, v20, v29
	s_waitcnt lgkmcnt(2)
	v_mul_f32_e32 v20, v35, v31
	v_fma_f32 v20, v34, v30, -v20
	v_add_f32_e32 v16, v16, v20
	v_mul_f32_e32 v20, v35, v33
	v_add_f32_e32 v4, v22, v4
	v_mul_f32_e32 v22, v34, v31
	v_fma_f32 v20, v34, v32, -v20
	v_fmac_f32_e32 v22, v35, v30
	v_add_f32_e32 v8, v8, v20
	s_waitcnt lgkmcnt(0)
	v_mul_f32_e32 v20, v7, v43
	v_add_f32_e32 v18, v18, v22
	v_mul_f32_e32 v22, v34, v33
	v_fma_f32 v20, v6, v42, -v20
	v_fmac_f32_e32 v22, v35, v32
	v_add_f32_e32 v20, v24, v20
	v_mul_f32_e32 v24, v7, v45
	v_add_f32_e32 v14, v14, v22
	v_mul_f32_e32 v22, v6, v43
	v_fma_f32 v24, v6, v44, -v24
	v_mul_f32_e32 v6, v6, v45
	v_fmac_f32_e32 v22, v7, v42
	v_fmac_f32_e32 v6, v7, v44
	v_add_f32_e32 v22, v26, v22
	v_add_f32_e32 v26, v4, v6
	v_mul_f32_e32 v4, v37, v43
	v_add_f32_e32 v24, v5, v24
	v_fma_f32 v4, v36, v42, -v4
	v_mul_f32_e32 v5, v36, v43
	v_fmac_f32_e32 v5, v37, v42
	v_add_f32_e32 v16, v16, v4
	v_mul_f32_e32 v4, v37, v45
	v_add_f32_e32 v18, v18, v5
	v_fma_f32 v29, v36, v44, -v4
	ds_read2_b64 v[4:7], v27 offset0:192 offset1:208
	v_mul_f32_e32 v30, v36, v45
	v_fmac_f32_e32 v30, v37, v44
	v_add_f32_e32 v8, v8, v29
	v_add_f32_e32 v14, v14, v30
	s_waitcnt lgkmcnt(0)
	v_mul_f32_e32 v29, v1, v5
	v_fma_f32 v29, v0, v4, -v29
	v_mul_f32_e32 v30, v0, v5
	v_fmac_f32_e32 v30, v1, v4
	v_add_f32_e32 v20, v20, v29
	v_mul_f32_e32 v29, v1, v7
	v_add_f32_e32 v22, v22, v30
	v_fma_f32 v29, v0, v6, -v29
	v_mul_f32_e32 v0, v0, v7
	ds_read2_b64 v[30:33], v27 offset0:224 offset1:240
	v_fmac_f32_e32 v0, v1, v6
	v_add_f32_e32 v1, v24, v29
	v_mul_f32_e32 v24, v39, v5
	v_fma_f32 v24, v38, v4, -v24
	v_mul_f32_e32 v5, v38, v5
	v_fmac_f32_e32 v5, v39, v4
	v_add_f32_e32 v4, v16, v24
	v_mul_f32_e32 v16, v39, v7
	v_fma_f32 v16, v38, v6, -v16
	v_mul_f32_e32 v7, v38, v7
	v_fmac_f32_e32 v7, v39, v6
	v_add_f32_e32 v6, v8, v16
	s_waitcnt lgkmcnt(0)
	v_mul_f32_e32 v8, v3, v31
	v_fma_f32 v8, v2, v30, -v8
	v_add_f32_e32 v24, v20, v8
	v_mul_f32_e32 v8, v3, v33
	v_add_f32_e32 v7, v14, v7
	v_mul_f32_e32 v14, v2, v31
	v_fma_f32 v8, v2, v32, -v8
	v_mul_f32_e32 v2, v2, v33
	v_add_f32_e32 v0, v26, v0
	v_fmac_f32_e32 v14, v3, v30
	v_fmac_f32_e32 v2, v3, v32
	v_add_f32_e32 v26, v22, v14
	v_add_f32_e32 v20, v1, v8
	;; [unrolled: 1-line block ×3, first 2 shown]
	v_mul_f32_e32 v0, v41, v31
	v_mul_f32_e32 v1, v40, v31
	v_add_f32_e32 v5, v18, v5
	v_fma_f32 v0, v40, v30, -v0
	v_fmac_f32_e32 v1, v41, v30
	v_add_f32_e32 v16, v4, v0
	v_add_f32_e32 v18, v5, v1
	v_mul_f32_e32 v0, v41, v33
	v_mul_f32_e32 v1, v40, v33
	v_fma_f32 v0, v40, v32, -v0
	v_fmac_f32_e32 v1, v41, v32
	s_add_i32 s5, s5, 8
	v_add_f32_e32 v8, v6, v0
	v_add_f32_e32 v14, v7, v1
	v_lshl_add_u64 v[10:11], v[10:11], 0, 64
	s_cmp_lt_i32 s5, s19
	v_lshl_add_u64 v[12:13], v[12:13], 0, 64
	s_barrier
	s_cbranch_scc0 .LBB366_14
.LBB366_8:                              ; =>This Inner Loop Header: Depth=1
	v_add_u32_e32 v0, s5, v21
	v_cmp_le_i32_e64 s[2:3], s19, v0
	s_or_b64 s[2:3], s[8:9], s[2:3]
	s_and_saveexec_b64 s[14:15], s[2:3]
	s_xor_b64 s[2:3], exec, s[14:15]
; %bb.9:                                ;   in Loop: Header=BB366_8 Depth=1
	ds_write_b32 v23, v9
; %bb.10:                               ;   in Loop: Header=BB366_8 Depth=1
	s_or_saveexec_b64 s[2:3], s[2:3]
	v_mov_b32_e32 v2, 0
	v_mov_b32_e32 v0, 0
	s_xor_b64 exec, exec, s[2:3]
	s_cbranch_execz .LBB366_12
; %bb.11:                               ;   in Loop: Header=BB366_8 Depth=1
	flat_load_dwordx2 v[4:5], v[10:11]
	s_waitcnt vmcnt(0) lgkmcnt(0)
	v_xor_b32_e32 v0, 0x80000000, v5
	ds_write_b32 v23, v4
.LBB366_12:                             ;   in Loop: Header=BB366_8 Depth=1
	s_or_b64 exec, exec, s[2:3]
	ds_write_b32 v23, v0 offset:4
	v_add_u32_e32 v0, s5, v19
	v_cmp_gt_i32_e64 s[2:3], s19, v0
	s_and_b64 s[14:15], s[2:3], vcc
	v_mov_b32_e32 v3, 0
	s_and_saveexec_b64 s[2:3], s[14:15]
	s_cbranch_execz .LBB366_7
; %bb.13:                               ;   in Loop: Header=BB366_8 Depth=1
	flat_load_dwordx2 v[2:3], v[12:13]
	s_branch .LBB366_7
.LBB366_14:
	s_load_dwordx2 s[2:3], s[0:1], 0x58
	s_load_dword s14, s[0:1], 0x50
	v_add_u32_e32 v0, s4, v15
	v_add_u32_e32 v9, s22, v17
	v_cmp_neq_f32_e64 s[0:1], s6, 0
	s_waitcnt lgkmcnt(0)
	s_lshl_b64 s[2:3], s[2:3], 3
	s_add_u32 s4, s12, s2
	s_addc_u32 s5, s13, s3
	s_xor_b64 s[8:9], s[10:11], -1
	v_mad_i64_i32 v[2:3], s[10:11], v9, s14, 0
	s_or_b64 s[0:1], s[0:1], s[8:9]
	v_cmp_gt_i32_e64 s[2:3], s18, v9
	v_lshl_add_u64 v[4:5], v[2:3], 3, s[4:5]
	v_cmp_le_i32_e32 vcc, v0, v9
	v_cndmask_b32_e64 v2, 0, 1, s[0:1]
	s_and_b64 s[10:11], s[2:3], vcc
	v_ashrrev_i32_e32 v1, 31, v0
	v_cmp_ne_u32_e64 s[0:1], 1, v2
	s_and_saveexec_b64 s[8:9], s[10:11]
	s_cbranch_execz .LBB366_18
; %bb.15:
	v_pk_mul_f32 v[6:7], v[26:27], s[16:17] op_sel:[0,1] op_sel_hi:[0,0]
	v_pk_fma_f32 v[2:3], v[24:25], s[16:17], v[6:7] op_sel_hi:[0,1,1] neg_lo:[0,0,1] neg_hi:[0,0,1]
	v_pk_fma_f32 v[10:11], v[24:25], s[16:17], v[6:7] op_sel_hi:[0,1,1]
	s_and_b64 vcc, exec, s[0:1]
	v_lshl_add_u64 v[6:7], v[0:1], 3, v[4:5]
	s_cbranch_vccnz .LBB366_17
; %bb.16:
	flat_load_dwordx2 v[12:13], v[6:7]
	s_mov_b32 s10, s7
	v_mov_b32_e32 v3, v11
	s_waitcnt vmcnt(0) lgkmcnt(0)
	v_pk_mul_f32 v[10:11], v[12:13], s[10:11] op_sel:[1,0] op_sel_hi:[0,0]
	v_pk_fma_f32 v[24:25], v[12:13], s[6:7], v[10:11] neg_lo:[0,0,1] neg_hi:[0,0,1]
	v_pk_fma_f32 v[10:11], v[12:13], s[6:7], v[10:11] op_sel_hi:[1,0,1]
	s_nop 0
	v_mov_b32_e32 v25, v11
	v_pk_add_f32 v[2:3], v[2:3], v[24:25]
	s_nop 0
	v_mov_b32_e32 v11, v3
.LBB366_17:
	v_mov_b32_e32 v3, v11
	flat_store_dwordx2 v[6:7], v[2:3]
.LBB366_18:
	s_or_b64 exec, exec, s[8:9]
	v_add_u32_e32 v2, 16, v0
	v_cmp_le_i32_e32 vcc, v2, v9
	s_and_b64 s[8:9], s[2:3], vcc
	v_ashrrev_i32_e32 v3, 31, v2
	s_and_saveexec_b64 s[2:3], s[8:9]
	s_cbranch_execz .LBB366_22
; %bb.19:
	v_pk_mul_f32 v[10:11], v[22:23], s[16:17] op_sel:[0,1] op_sel_hi:[0,0]
	v_pk_fma_f32 v[6:7], v[20:21], s[16:17], v[10:11] op_sel_hi:[0,1,1] neg_lo:[0,0,1] neg_hi:[0,0,1]
	v_pk_fma_f32 v[10:11], v[20:21], s[16:17], v[10:11] op_sel_hi:[0,1,1]
	s_and_b64 vcc, exec, s[0:1]
	v_lshl_add_u64 v[4:5], v[2:3], 3, v[4:5]
	s_cbranch_vccnz .LBB366_21
; %bb.20:
	flat_load_dwordx2 v[12:13], v[4:5]
	s_mov_b32 s8, s7
	v_mov_b32_e32 v7, v11
	s_waitcnt vmcnt(0) lgkmcnt(0)
	v_pk_mul_f32 v[10:11], v[12:13], s[8:9] op_sel:[1,0] op_sel_hi:[0,0]
	v_pk_fma_f32 v[20:21], v[12:13], s[6:7], v[10:11] neg_lo:[0,0,1] neg_hi:[0,0,1]
	v_pk_fma_f32 v[10:11], v[12:13], s[6:7], v[10:11] op_sel_hi:[1,0,1]
	s_nop 0
	v_mov_b32_e32 v21, v11
	v_pk_add_f32 v[6:7], v[6:7], v[20:21]
	s_nop 0
	v_mov_b32_e32 v11, v7
.LBB366_21:
	v_mov_b32_e32 v7, v11
	flat_store_dwordx2 v[4:5], v[6:7]
.LBB366_22:
	s_or_b64 exec, exec, s[2:3]
	v_add_u32_e32 v9, 16, v9
	v_cmp_gt_i32_e64 s[2:3], s18, v9
	v_mad_i64_i32 v[4:5], s[8:9], v9, s14, 0
	v_cmp_le_i32_e32 vcc, v0, v9
	v_lshl_add_u64 v[4:5], v[4:5], 3, s[4:5]
	s_and_b64 s[8:9], s[2:3], vcc
	s_and_saveexec_b64 s[4:5], s[8:9]
	s_cbranch_execz .LBB366_26
; %bb.23:
	v_pk_mul_f32 v[10:11], v[18:19], s[16:17] op_sel:[0,1] op_sel_hi:[0,0]
	v_pk_fma_f32 v[6:7], v[16:17], s[16:17], v[10:11] op_sel_hi:[0,1,1] neg_lo:[0,0,1] neg_hi:[0,0,1]
	v_pk_fma_f32 v[10:11], v[16:17], s[16:17], v[10:11] op_sel_hi:[0,1,1]
	s_and_b64 vcc, exec, s[0:1]
	v_lshl_add_u64 v[0:1], v[0:1], 3, v[4:5]
	s_cbranch_vccnz .LBB366_25
; %bb.24:
	flat_load_dwordx2 v[12:13], v[0:1]
	s_mov_b32 s8, s7
	v_mov_b32_e32 v7, v11
	s_waitcnt vmcnt(0) lgkmcnt(0)
	v_pk_mul_f32 v[10:11], v[12:13], s[8:9] op_sel:[1,0] op_sel_hi:[0,0]
	v_pk_fma_f32 v[16:17], v[12:13], s[6:7], v[10:11] neg_lo:[0,0,1] neg_hi:[0,0,1]
	v_pk_fma_f32 v[10:11], v[12:13], s[6:7], v[10:11] op_sel_hi:[1,0,1]
	s_nop 0
	v_mov_b32_e32 v17, v11
	v_pk_add_f32 v[6:7], v[6:7], v[16:17]
	s_nop 0
	v_mov_b32_e32 v11, v7
.LBB366_25:
	v_mov_b32_e32 v7, v11
	flat_store_dwordx2 v[0:1], v[6:7]
.LBB366_26:
	s_or_b64 exec, exec, s[4:5]
	v_cmp_le_i32_e32 vcc, v2, v9
	s_and_b64 s[2:3], s[2:3], vcc
	s_and_saveexec_b64 s[4:5], s[2:3]
	s_cbranch_execz .LBB366_30
; %bb.27:
	v_pk_mul_f32 v[6:7], v[14:15], s[16:17] op_sel:[0,1] op_sel_hi:[0,0]
	v_pk_fma_f32 v[0:1], v[8:9], s[16:17], v[6:7] op_sel_hi:[0,1,1] neg_lo:[0,0,1] neg_hi:[0,0,1]
	v_pk_fma_f32 v[6:7], v[8:9], s[16:17], v[6:7] op_sel_hi:[0,1,1]
	s_and_b64 vcc, exec, s[0:1]
	v_lshl_add_u64 v[2:3], v[2:3], 3, v[4:5]
	s_cbranch_vccnz .LBB366_29
; %bb.28:
	flat_load_dwordx2 v[4:5], v[2:3]
	s_mov_b32 s0, s7
	v_mov_b32_e32 v1, v7
	s_waitcnt vmcnt(0) lgkmcnt(0)
	v_pk_mul_f32 v[6:7], v[4:5], s[0:1] op_sel:[1,0] op_sel_hi:[0,0]
	v_pk_fma_f32 v[8:9], v[4:5], s[6:7], v[6:7] neg_lo:[0,0,1] neg_hi:[0,0,1]
	v_pk_fma_f32 v[4:5], v[4:5], s[6:7], v[6:7] op_sel_hi:[1,0,1]
	s_nop 0
	v_mov_b32_e32 v9, v5
	v_pk_add_f32 v[0:1], v[0:1], v[8:9]
	s_nop 0
	v_mov_b32_e32 v7, v1
.LBB366_29:
	v_mov_b32_e32 v1, v7
	flat_store_dwordx2 v[2:3], v[0:1]
.LBB366_30:
	s_endpgm
	.section	.rodata,"a",@progbits
	.p2align	6, 0x0
	.amdhsa_kernel _ZL29rocblas_internal_gemmt_kernelIiLi16ELi32ELi8ELc67ELc78ELc85ELb1ELb0E19rocblas_complex_numIfEPKS1_PKS3_PKPS1_EviT_T9_T10_S9_lSB_S9_lSA_T11_S9_li
		.amdhsa_group_segment_fixed_size 4096
		.amdhsa_private_segment_fixed_size 0
		.amdhsa_kernarg_size 100
		.amdhsa_user_sgpr_count 2
		.amdhsa_user_sgpr_dispatch_ptr 0
		.amdhsa_user_sgpr_queue_ptr 0
		.amdhsa_user_sgpr_kernarg_segment_ptr 1
		.amdhsa_user_sgpr_dispatch_id 0
		.amdhsa_user_sgpr_kernarg_preload_length 0
		.amdhsa_user_sgpr_kernarg_preload_offset 0
		.amdhsa_user_sgpr_private_segment_size 0
		.amdhsa_uses_dynamic_stack 0
		.amdhsa_enable_private_segment 0
		.amdhsa_system_sgpr_workgroup_id_x 1
		.amdhsa_system_sgpr_workgroup_id_y 1
		.amdhsa_system_sgpr_workgroup_id_z 1
		.amdhsa_system_sgpr_workgroup_info 0
		.amdhsa_system_vgpr_workitem_id 1
		.amdhsa_next_free_vgpr 54
		.amdhsa_next_free_sgpr 29
		.amdhsa_accum_offset 56
		.amdhsa_reserve_vcc 1
		.amdhsa_float_round_mode_32 0
		.amdhsa_float_round_mode_16_64 0
		.amdhsa_float_denorm_mode_32 3
		.amdhsa_float_denorm_mode_16_64 3
		.amdhsa_dx10_clamp 1
		.amdhsa_ieee_mode 1
		.amdhsa_fp16_overflow 0
		.amdhsa_tg_split 0
		.amdhsa_exception_fp_ieee_invalid_op 0
		.amdhsa_exception_fp_denorm_src 0
		.amdhsa_exception_fp_ieee_div_zero 0
		.amdhsa_exception_fp_ieee_overflow 0
		.amdhsa_exception_fp_ieee_underflow 0
		.amdhsa_exception_fp_ieee_inexact 0
		.amdhsa_exception_int_div_zero 0
	.end_amdhsa_kernel
	.section	.text._ZL29rocblas_internal_gemmt_kernelIiLi16ELi32ELi8ELc67ELc78ELc85ELb1ELb0E19rocblas_complex_numIfEPKS1_PKS3_PKPS1_EviT_T9_T10_S9_lSB_S9_lSA_T11_S9_li,"axG",@progbits,_ZL29rocblas_internal_gemmt_kernelIiLi16ELi32ELi8ELc67ELc78ELc85ELb1ELb0E19rocblas_complex_numIfEPKS1_PKS3_PKPS1_EviT_T9_T10_S9_lSB_S9_lSA_T11_S9_li,comdat
.Lfunc_end366:
	.size	_ZL29rocblas_internal_gemmt_kernelIiLi16ELi32ELi8ELc67ELc78ELc85ELb1ELb0E19rocblas_complex_numIfEPKS1_PKS3_PKPS1_EviT_T9_T10_S9_lSB_S9_lSA_T11_S9_li, .Lfunc_end366-_ZL29rocblas_internal_gemmt_kernelIiLi16ELi32ELi8ELc67ELc78ELc85ELb1ELb0E19rocblas_complex_numIfEPKS1_PKS3_PKPS1_EviT_T9_T10_S9_lSB_S9_lSA_T11_S9_li
                                        ; -- End function
	.set _ZL29rocblas_internal_gemmt_kernelIiLi16ELi32ELi8ELc67ELc78ELc85ELb1ELb0E19rocblas_complex_numIfEPKS1_PKS3_PKPS1_EviT_T9_T10_S9_lSB_S9_lSA_T11_S9_li.num_vgpr, 54
	.set _ZL29rocblas_internal_gemmt_kernelIiLi16ELi32ELi8ELc67ELc78ELc85ELb1ELb0E19rocblas_complex_numIfEPKS1_PKS3_PKPS1_EviT_T9_T10_S9_lSB_S9_lSA_T11_S9_li.num_agpr, 0
	.set _ZL29rocblas_internal_gemmt_kernelIiLi16ELi32ELi8ELc67ELc78ELc85ELb1ELb0E19rocblas_complex_numIfEPKS1_PKS3_PKPS1_EviT_T9_T10_S9_lSB_S9_lSA_T11_S9_li.numbered_sgpr, 29
	.set _ZL29rocblas_internal_gemmt_kernelIiLi16ELi32ELi8ELc67ELc78ELc85ELb1ELb0E19rocblas_complex_numIfEPKS1_PKS3_PKPS1_EviT_T9_T10_S9_lSB_S9_lSA_T11_S9_li.num_named_barrier, 0
	.set _ZL29rocblas_internal_gemmt_kernelIiLi16ELi32ELi8ELc67ELc78ELc85ELb1ELb0E19rocblas_complex_numIfEPKS1_PKS3_PKPS1_EviT_T9_T10_S9_lSB_S9_lSA_T11_S9_li.private_seg_size, 0
	.set _ZL29rocblas_internal_gemmt_kernelIiLi16ELi32ELi8ELc67ELc78ELc85ELb1ELb0E19rocblas_complex_numIfEPKS1_PKS3_PKPS1_EviT_T9_T10_S9_lSB_S9_lSA_T11_S9_li.uses_vcc, 1
	.set _ZL29rocblas_internal_gemmt_kernelIiLi16ELi32ELi8ELc67ELc78ELc85ELb1ELb0E19rocblas_complex_numIfEPKS1_PKS3_PKPS1_EviT_T9_T10_S9_lSB_S9_lSA_T11_S9_li.uses_flat_scratch, 0
	.set _ZL29rocblas_internal_gemmt_kernelIiLi16ELi32ELi8ELc67ELc78ELc85ELb1ELb0E19rocblas_complex_numIfEPKS1_PKS3_PKPS1_EviT_T9_T10_S9_lSB_S9_lSA_T11_S9_li.has_dyn_sized_stack, 0
	.set _ZL29rocblas_internal_gemmt_kernelIiLi16ELi32ELi8ELc67ELc78ELc85ELb1ELb0E19rocblas_complex_numIfEPKS1_PKS3_PKPS1_EviT_T9_T10_S9_lSB_S9_lSA_T11_S9_li.has_recursion, 0
	.set _ZL29rocblas_internal_gemmt_kernelIiLi16ELi32ELi8ELc67ELc78ELc85ELb1ELb0E19rocblas_complex_numIfEPKS1_PKS3_PKPS1_EviT_T9_T10_S9_lSB_S9_lSA_T11_S9_li.has_indirect_call, 0
	.section	.AMDGPU.csdata,"",@progbits
; Kernel info:
; codeLenInByte = 2508
; TotalNumSgprs: 35
; NumVgprs: 54
; NumAgprs: 0
; TotalNumVgprs: 54
; ScratchSize: 0
; MemoryBound: 0
; FloatMode: 240
; IeeeMode: 1
; LDSByteSize: 4096 bytes/workgroup (compile time only)
; SGPRBlocks: 4
; VGPRBlocks: 6
; NumSGPRsForWavesPerEU: 35
; NumVGPRsForWavesPerEU: 54
; AccumOffset: 56
; Occupancy: 8
; WaveLimiterHint : 1
; COMPUTE_PGM_RSRC2:SCRATCH_EN: 0
; COMPUTE_PGM_RSRC2:USER_SGPR: 2
; COMPUTE_PGM_RSRC2:TRAP_HANDLER: 0
; COMPUTE_PGM_RSRC2:TGID_X_EN: 1
; COMPUTE_PGM_RSRC2:TGID_Y_EN: 1
; COMPUTE_PGM_RSRC2:TGID_Z_EN: 1
; COMPUTE_PGM_RSRC2:TIDIG_COMP_CNT: 1
; COMPUTE_PGM_RSRC3_GFX90A:ACCUM_OFFSET: 13
; COMPUTE_PGM_RSRC3_GFX90A:TG_SPLIT: 0
	.section	.text._ZL29rocblas_internal_gemmt_kernelIiLi16ELi32ELi8ELc67ELc84ELc85ELb1ELb0E19rocblas_complex_numIfEPKS1_PKS3_PKPS1_EviT_T9_T10_S9_lSB_S9_lSA_T11_S9_li,"axG",@progbits,_ZL29rocblas_internal_gemmt_kernelIiLi16ELi32ELi8ELc67ELc84ELc85ELb1ELb0E19rocblas_complex_numIfEPKS1_PKS3_PKPS1_EviT_T9_T10_S9_lSB_S9_lSA_T11_S9_li,comdat
	.globl	_ZL29rocblas_internal_gemmt_kernelIiLi16ELi32ELi8ELc67ELc84ELc85ELb1ELb0E19rocblas_complex_numIfEPKS1_PKS3_PKPS1_EviT_T9_T10_S9_lSB_S9_lSA_T11_S9_li ; -- Begin function _ZL29rocblas_internal_gemmt_kernelIiLi16ELi32ELi8ELc67ELc84ELc85ELb1ELb0E19rocblas_complex_numIfEPKS1_PKS3_PKPS1_EviT_T9_T10_S9_lSB_S9_lSA_T11_S9_li
	.p2align	8
	.type	_ZL29rocblas_internal_gemmt_kernelIiLi16ELi32ELi8ELc67ELc84ELc85ELb1ELb0E19rocblas_complex_numIfEPKS1_PKS3_PKPS1_EviT_T9_T10_S9_lSB_S9_lSA_T11_S9_li,@function
_ZL29rocblas_internal_gemmt_kernelIiLi16ELi32ELi8ELc67ELc84ELc85ELb1ELb0E19rocblas_complex_numIfEPKS1_PKS3_PKPS1_EviT_T9_T10_S9_lSB_S9_lSA_T11_S9_li: ; @_ZL29rocblas_internal_gemmt_kernelIiLi16ELi32ELi8ELc67ELc84ELc85ELb1ELb0E19rocblas_complex_numIfEPKS1_PKS3_PKPS1_EviT_T9_T10_S9_lSB_S9_lSA_T11_S9_li
; %bb.0:
	s_load_dwordx4 s[8:11], s[0:1], 0x38
	s_load_dwordx4 s[12:15], s[0:1], 0x8
	s_waitcnt lgkmcnt(0)
	s_load_dwordx2 s[6:7], s[10:11], 0x0
	s_load_dwordx2 s[18:19], s[0:1], 0x0
	;; [unrolled: 1-line block ×3, first 2 shown]
	s_waitcnt lgkmcnt(0)
	s_and_b32 s5, s7, 0x7fffffff
	s_cmp_eq_u32 s5, 0
	v_cmp_eq_f32_e64 s[12:13], s6, 1.0
	s_cselect_b64 s[10:11], -1, 0
	s_and_b64 s[12:13], s[12:13], s[10:11]
	s_and_b64 vcc, exec, s[12:13]
	s_cbranch_vccnz .LBB367_2
; %bb.1:
	s_mov_b64 s[12:13], -1
	s_cbranch_execz .LBB367_3
	s_branch .LBB367_4
.LBB367_2:
	s_mov_b64 s[12:13], 0
.LBB367_3:
	s_cmp_lg_u32 s19, 0
	v_cmp_neq_f32_e64 s[20:21], s16, 0
	v_cmp_neq_f32_e64 s[22:23], s17, 0
	s_cselect_b64 s[12:13], -1, 0
	s_or_b64 s[20:21], s[20:21], s[22:23]
	s_and_b64 s[12:13], s[12:13], s[20:21]
.LBB367_4:
	s_andn2_b64 vcc, exec, s[12:13]
	s_cbranch_vccnz .LBB367_30
; %bb.5:
	s_load_dwordx2 s[12:13], s[0:1], 0x48
	s_mov_b32 s5, 0
	s_lshl_b64 s[20:21], s[4:5], 3
	v_cmp_eq_f32_e64 s[24:25], s17, 0
	v_and_b32_e32 v15, 0x3ff, v0
	s_waitcnt lgkmcnt(0)
	s_add_u32 s12, s12, s20
	s_addc_u32 s13, s13, s21
	s_lshl_b32 s4, s2, 5
	s_lshl_b32 s22, s3, 5
	v_cmp_eq_f32_e64 s[2:3], s16, 0
	s_load_dwordx2 s[12:13], s[12:13], 0x0
	s_and_b64 s[2:3], s[2:3], s[24:25]
	s_cmp_lt_i32 s19, 1
	s_cselect_b64 s[24:25], -1, 0
	s_or_b64 s[2:3], s[2:3], s[24:25]
	v_bfe_u32 v17, v0, 10, 10
	v_mov_b32_e32 v24, 0
	s_and_b64 vcc, exec, s[2:3]
	v_mov_b32_e32 v26, 0
	v_mov_b32_e32 v20, 0
	;; [unrolled: 1-line block ×7, first 2 shown]
	s_cbranch_vccnz .LBB367_14
; %bb.6:
	s_load_dword s23, s[0:1], 0x18
	s_load_dword s28, s[0:1], 0x30
	s_load_dwordx4 s[24:27], s[0:1], 0x20
	v_lshl_add_u32 v1, v17, 4, v15
	v_and_b32_e32 v3, 31, v1
	v_lshrrev_b32_e32 v21, 5, v1
	s_waitcnt lgkmcnt(0)
	s_ashr_i32 s29, s28, 31
	s_add_u32 s2, s26, s20
	s_addc_u32 s3, s27, s21
	s_load_dwordx2 s[26:27], s[2:3], 0x0
	s_add_u32 s2, s14, s20
	v_lshrrev_b32_e32 v2, 3, v1
	v_or_b32_e32 v1, s4, v3
	s_addc_u32 s3, s15, s21
	v_and_b32_e32 v19, 7, v15
	s_load_dwordx2 s[14:15], s[2:3], 0x0
	v_cmp_gt_i32_e64 s[2:3], s18, v1
	v_lshlrev_b32_e32 v1, 3, v3
	v_lshl_or_b32 v23, v21, 8, v1
	v_lshlrev_b32_e32 v1, 3, v19
	v_add_u32_e32 v0, s22, v2
	v_lshl_or_b32 v1, v2, 6, v1
	v_mov_b32_e32 v2, 0x800
	v_lshl_add_u32 v28, v17, 6, v2
	v_add_u32_e32 v2, s4, v3
	v_mad_i64_i32 v[2:3], s[20:21], s23, v2, 0
	s_lshl_b64 s[20:21], s[24:25], 3
	s_nop 0
	v_lshl_add_u64 v[2:3], v[2:3], 3, s[20:21]
	v_lshlrev_b32_e32 v8, 3, v21
	v_mov_b32_e32 v9, 0
	v_lshl_add_u64 v[2:3], v[2:3], 0, v[8:9]
	s_waitcnt lgkmcnt(0)
	v_lshl_add_u64 v[10:11], s[14:15], 0, v[2:3]
	v_mad_i64_i32 v[2:3], s[14:15], s28, v19, 0
	s_lshl_b64 s[8:9], s[8:9], 3
	v_add_u32_e32 v25, 0x800, v1
	v_ashrrev_i32_e32 v1, 31, v0
	v_lshl_add_u64 v[2:3], v[2:3], 3, s[8:9]
	v_cmp_gt_i32_e32 vcc, s18, v0
	v_lshl_add_u64 v[0:1], v[0:1], 3, v[2:3]
	v_lshlrev_b32_e32 v27, 3, v15
	v_lshl_add_u64 v[12:13], s[26:27], 0, v[0:1]
	s_lshl_b64 s[8:9], s[28:29], 6
	s_xor_b64 s[14:15], s[2:3], -1
	v_mov_b32_e32 v14, 0
	v_mov_b32_e32 v8, 0
	v_mov_b32_e32 v18, 0
	v_mov_b32_e32 v16, 0
	v_mov_b32_e32 v22, 0
	v_mov_b32_e32 v20, 0
	v_mov_b32_e32 v26, 0
	v_mov_b32_e32 v24, 0
	s_branch .LBB367_8
.LBB367_7:                              ;   in Loop: Header=BB367_8 Depth=1
	s_or_b64 exec, exec, s[2:3]
	s_waitcnt vmcnt(0) lgkmcnt(0)
	ds_write_b64 v25, v[2:3]
	s_waitcnt lgkmcnt(0)
	s_barrier
	ds_read2_b64 v[30:33], v27 offset1:16
	ds_read_b128 v[34:37], v28
	ds_read_b128 v[38:41], v28 offset:16
	ds_read_b128 v[4:7], v28 offset:32
	;; [unrolled: 1-line block ×3, first 2 shown]
	ds_read2_b64 v[50:53], v27 offset0:32 offset1:48
	s_waitcnt lgkmcnt(4)
	v_mul_f32_e32 v42, v34, v31
	v_fmac_f32_e32 v42, v35, v30
	v_add_f32_e32 v26, v26, v42
	ds_read_b128 v[42:45], v28 offset:1024
	ds_read_b128 v[46:49], v28 offset:1040
	v_mul_f32_e32 v29, v35, v31
	v_fma_f32 v29, v34, v30, -v29
	v_add_f32_e32 v24, v24, v29
	v_mul_f32_e32 v29, v35, v33
	v_fma_f32 v29, v34, v32, -v29
	v_add_f32_e32 v20, v20, v29
	s_waitcnt lgkmcnt(1)
	v_mul_f32_e32 v29, v43, v31
	v_mul_f32_e32 v31, v42, v31
	v_fma_f32 v29, v42, v30, -v29
	v_fmac_f32_e32 v31, v43, v30
	v_mul_f32_e32 v30, v42, v33
	v_fmac_f32_e32 v30, v43, v32
	v_add_f32_e32 v14, v14, v30
	v_mul_f32_e32 v30, v36, v51
	v_mul_f32_e32 v34, v34, v33
	v_fmac_f32_e32 v30, v37, v50
	v_fmac_f32_e32 v34, v35, v32
	v_add_f32_e32 v26, v26, v30
	v_mul_f32_e32 v30, v36, v53
	v_add_f32_e32 v22, v22, v34
	v_add_f32_e32 v16, v16, v29
	v_mul_f32_e32 v29, v43, v33
	v_fmac_f32_e32 v30, v37, v52
	v_fma_f32 v29, v42, v32, -v29
	v_add_f32_e32 v22, v22, v30
	v_mul_f32_e32 v30, v44, v51
	v_add_f32_e32 v18, v18, v31
	v_add_f32_e32 v8, v8, v29
	v_mul_f32_e32 v29, v37, v51
	v_fmac_f32_e32 v30, v45, v50
	v_fma_f32 v29, v36, v50, -v29
	v_add_f32_e32 v18, v18, v30
	ds_read2_b64 v[30:33], v27 offset0:64 offset1:80
	v_add_f32_e32 v24, v24, v29
	v_mul_f32_e32 v29, v37, v53
	v_fma_f32 v29, v36, v52, -v29
	v_add_f32_e32 v20, v20, v29
	v_mul_f32_e32 v29, v45, v51
	v_mul_f32_e32 v34, v44, v53
	v_fma_f32 v29, v44, v50, -v29
	v_fmac_f32_e32 v34, v45, v52
	v_add_f32_e32 v16, v16, v29
	v_mul_f32_e32 v29, v45, v53
	v_add_f32_e32 v14, v14, v34
	s_waitcnt lgkmcnt(0)
	v_mul_f32_e32 v34, v38, v31
	v_fma_f32 v29, v44, v52, -v29
	v_fmac_f32_e32 v34, v39, v30
	v_add_f32_e32 v8, v8, v29
	v_mul_f32_e32 v29, v39, v31
	v_add_f32_e32 v26, v26, v34
	v_mul_f32_e32 v34, v38, v33
	v_fma_f32 v29, v38, v30, -v29
	v_fmac_f32_e32 v34, v39, v32
	v_add_f32_e32 v24, v24, v29
	v_mul_f32_e32 v29, v39, v33
	v_add_f32_e32 v22, v22, v34
	ds_read2_b64 v[34:37], v27 offset0:96 offset1:112
	v_fma_f32 v29, v38, v32, -v29
	v_add_f32_e32 v20, v20, v29
	v_mul_f32_e32 v29, v47, v31
	v_mul_f32_e32 v31, v46, v31
	v_fma_f32 v29, v46, v30, -v29
	v_fmac_f32_e32 v31, v47, v30
	v_mul_f32_e32 v30, v46, v33
	v_fmac_f32_e32 v30, v47, v32
	v_add_f32_e32 v14, v14, v30
	s_waitcnt lgkmcnt(0)
	v_mul_f32_e32 v30, v40, v35
	v_fmac_f32_e32 v30, v41, v34
	v_add_f32_e32 v16, v16, v29
	v_mul_f32_e32 v29, v47, v33
	v_add_f32_e32 v26, v26, v30
	v_mul_f32_e32 v30, v40, v37
	v_fma_f32 v29, v46, v32, -v29
	v_fmac_f32_e32 v30, v41, v36
	v_add_f32_e32 v8, v8, v29
	v_mul_f32_e32 v29, v41, v35
	v_add_f32_e32 v22, v22, v30
	v_mul_f32_e32 v30, v48, v35
	v_add_f32_e32 v18, v18, v31
	v_fma_f32 v29, v40, v34, -v29
	v_fmac_f32_e32 v30, v49, v34
	v_add_f32_e32 v24, v24, v29
	v_mul_f32_e32 v29, v41, v37
	v_add_f32_e32 v18, v18, v30
	ds_read2_b64 v[30:33], v27 offset0:128 offset1:144
	v_fma_f32 v29, v40, v36, -v29
	v_add_f32_e32 v20, v20, v29
	v_mul_f32_e32 v29, v49, v35
	v_fma_f32 v29, v48, v34, -v29
	v_mul_f32_e32 v34, v48, v37
	v_fmac_f32_e32 v34, v49, v36
	v_add_f32_e32 v14, v14, v34
	s_waitcnt lgkmcnt(0)
	v_mul_f32_e32 v34, v4, v31
	v_add_f32_e32 v16, v16, v29
	v_mul_f32_e32 v29, v49, v37
	v_fmac_f32_e32 v34, v5, v30
	v_fma_f32 v29, v48, v36, -v29
	v_add_f32_e32 v26, v26, v34
	ds_read_b128 v[34:37], v28 offset:1056
	ds_read_b128 v[38:41], v28 offset:1072
	v_add_f32_e32 v8, v8, v29
	v_mul_f32_e32 v29, v5, v31
	v_fma_f32 v29, v4, v30, -v29
	v_add_f32_e32 v24, v24, v29
	v_mul_f32_e32 v29, v5, v33
	v_fma_f32 v29, v4, v32, -v29
	v_mul_f32_e32 v4, v4, v33
	ds_read2_b64 v[42:45], v27 offset0:160 offset1:176
	v_fmac_f32_e32 v4, v5, v32
	v_add_f32_e32 v5, v20, v29
	s_waitcnt lgkmcnt(2)
	v_mul_f32_e32 v20, v35, v31
	v_fma_f32 v20, v34, v30, -v20
	v_add_f32_e32 v16, v16, v20
	v_mul_f32_e32 v20, v35, v33
	v_add_f32_e32 v4, v22, v4
	v_mul_f32_e32 v22, v34, v31
	v_fma_f32 v20, v34, v32, -v20
	v_fmac_f32_e32 v22, v35, v30
	v_add_f32_e32 v8, v8, v20
	s_waitcnt lgkmcnt(0)
	v_mul_f32_e32 v20, v7, v43
	v_add_f32_e32 v18, v18, v22
	v_mul_f32_e32 v22, v34, v33
	v_fma_f32 v20, v6, v42, -v20
	v_fmac_f32_e32 v22, v35, v32
	v_add_f32_e32 v20, v24, v20
	v_mul_f32_e32 v24, v7, v45
	v_add_f32_e32 v14, v14, v22
	v_mul_f32_e32 v22, v6, v43
	v_fma_f32 v24, v6, v44, -v24
	v_mul_f32_e32 v6, v6, v45
	v_fmac_f32_e32 v22, v7, v42
	v_fmac_f32_e32 v6, v7, v44
	v_add_f32_e32 v22, v26, v22
	v_add_f32_e32 v26, v4, v6
	v_mul_f32_e32 v4, v37, v43
	v_add_f32_e32 v24, v5, v24
	v_fma_f32 v4, v36, v42, -v4
	v_mul_f32_e32 v5, v36, v43
	v_fmac_f32_e32 v5, v37, v42
	v_add_f32_e32 v16, v16, v4
	v_mul_f32_e32 v4, v37, v45
	v_add_f32_e32 v18, v18, v5
	v_fma_f32 v29, v36, v44, -v4
	ds_read2_b64 v[4:7], v27 offset0:192 offset1:208
	v_mul_f32_e32 v30, v36, v45
	v_fmac_f32_e32 v30, v37, v44
	v_add_f32_e32 v8, v8, v29
	v_add_f32_e32 v14, v14, v30
	s_waitcnt lgkmcnt(0)
	v_mul_f32_e32 v29, v1, v5
	v_fma_f32 v29, v0, v4, -v29
	v_mul_f32_e32 v30, v0, v5
	v_fmac_f32_e32 v30, v1, v4
	v_add_f32_e32 v20, v20, v29
	v_mul_f32_e32 v29, v1, v7
	v_add_f32_e32 v22, v22, v30
	v_fma_f32 v29, v0, v6, -v29
	v_mul_f32_e32 v0, v0, v7
	ds_read2_b64 v[30:33], v27 offset0:224 offset1:240
	v_fmac_f32_e32 v0, v1, v6
	v_add_f32_e32 v1, v24, v29
	v_mul_f32_e32 v24, v39, v5
	v_fma_f32 v24, v38, v4, -v24
	v_mul_f32_e32 v5, v38, v5
	v_fmac_f32_e32 v5, v39, v4
	v_add_f32_e32 v4, v16, v24
	v_mul_f32_e32 v16, v39, v7
	v_fma_f32 v16, v38, v6, -v16
	v_mul_f32_e32 v7, v38, v7
	v_fmac_f32_e32 v7, v39, v6
	v_add_f32_e32 v6, v8, v16
	s_waitcnt lgkmcnt(0)
	v_mul_f32_e32 v8, v3, v31
	v_fma_f32 v8, v2, v30, -v8
	v_add_f32_e32 v24, v20, v8
	v_mul_f32_e32 v8, v3, v33
	v_add_f32_e32 v7, v14, v7
	v_mul_f32_e32 v14, v2, v31
	v_fma_f32 v8, v2, v32, -v8
	v_mul_f32_e32 v2, v2, v33
	v_add_f32_e32 v0, v26, v0
	v_fmac_f32_e32 v14, v3, v30
	v_fmac_f32_e32 v2, v3, v32
	v_add_f32_e32 v26, v22, v14
	v_add_f32_e32 v20, v1, v8
	;; [unrolled: 1-line block ×3, first 2 shown]
	v_mul_f32_e32 v0, v41, v31
	v_mul_f32_e32 v1, v40, v31
	v_add_f32_e32 v5, v18, v5
	v_fma_f32 v0, v40, v30, -v0
	v_fmac_f32_e32 v1, v41, v30
	v_add_f32_e32 v16, v4, v0
	v_add_f32_e32 v18, v5, v1
	v_mul_f32_e32 v0, v41, v33
	v_mul_f32_e32 v1, v40, v33
	v_fma_f32 v0, v40, v32, -v0
	v_fmac_f32_e32 v1, v41, v32
	s_add_i32 s5, s5, 8
	v_add_f32_e32 v8, v6, v0
	v_add_f32_e32 v14, v7, v1
	v_lshl_add_u64 v[10:11], v[10:11], 0, 64
	s_cmp_lt_i32 s5, s19
	v_lshl_add_u64 v[12:13], v[12:13], 0, s[8:9]
	s_barrier
	s_cbranch_scc0 .LBB367_14
.LBB367_8:                              ; =>This Inner Loop Header: Depth=1
	v_add_u32_e32 v0, s5, v21
	v_cmp_le_i32_e64 s[2:3], s19, v0
	s_or_b64 s[2:3], s[14:15], s[2:3]
	s_and_saveexec_b64 s[20:21], s[2:3]
	s_xor_b64 s[2:3], exec, s[20:21]
; %bb.9:                                ;   in Loop: Header=BB367_8 Depth=1
	ds_write_b32 v23, v9
; %bb.10:                               ;   in Loop: Header=BB367_8 Depth=1
	s_or_saveexec_b64 s[2:3], s[2:3]
	v_mov_b32_e32 v2, 0
	v_mov_b32_e32 v0, 0
	s_xor_b64 exec, exec, s[2:3]
	s_cbranch_execz .LBB367_12
; %bb.11:                               ;   in Loop: Header=BB367_8 Depth=1
	flat_load_dwordx2 v[4:5], v[10:11]
	s_waitcnt vmcnt(0) lgkmcnt(0)
	v_xor_b32_e32 v0, 0x80000000, v5
	ds_write_b32 v23, v4
.LBB367_12:                             ;   in Loop: Header=BB367_8 Depth=1
	s_or_b64 exec, exec, s[2:3]
	ds_write_b32 v23, v0 offset:4
	v_add_u32_e32 v0, s5, v19
	v_cmp_gt_i32_e64 s[2:3], s19, v0
	s_and_b64 s[20:21], s[2:3], vcc
	v_mov_b32_e32 v3, 0
	s_and_saveexec_b64 s[2:3], s[20:21]
	s_cbranch_execz .LBB367_7
; %bb.13:                               ;   in Loop: Header=BB367_8 Depth=1
	flat_load_dwordx2 v[2:3], v[12:13]
	s_branch .LBB367_7
.LBB367_14:
	s_load_dwordx2 s[2:3], s[0:1], 0x58
	s_load_dword s14, s[0:1], 0x50
	v_add_u32_e32 v0, s4, v15
	v_add_u32_e32 v9, s22, v17
	v_cmp_neq_f32_e64 s[0:1], s6, 0
	s_waitcnt lgkmcnt(0)
	s_lshl_b64 s[2:3], s[2:3], 3
	s_add_u32 s4, s12, s2
	s_addc_u32 s5, s13, s3
	s_xor_b64 s[8:9], s[10:11], -1
	v_mad_i64_i32 v[2:3], s[10:11], v9, s14, 0
	s_or_b64 s[0:1], s[0:1], s[8:9]
	v_cmp_gt_i32_e64 s[2:3], s18, v9
	v_lshl_add_u64 v[4:5], v[2:3], 3, s[4:5]
	v_cmp_le_i32_e32 vcc, v0, v9
	v_cndmask_b32_e64 v2, 0, 1, s[0:1]
	s_and_b64 s[10:11], s[2:3], vcc
	v_ashrrev_i32_e32 v1, 31, v0
	v_cmp_ne_u32_e64 s[0:1], 1, v2
	s_and_saveexec_b64 s[8:9], s[10:11]
	s_cbranch_execz .LBB367_18
; %bb.15:
	v_pk_mul_f32 v[6:7], v[26:27], s[16:17] op_sel:[0,1] op_sel_hi:[0,0]
	v_pk_fma_f32 v[2:3], v[24:25], s[16:17], v[6:7] op_sel_hi:[0,1,1] neg_lo:[0,0,1] neg_hi:[0,0,1]
	v_pk_fma_f32 v[10:11], v[24:25], s[16:17], v[6:7] op_sel_hi:[0,1,1]
	s_and_b64 vcc, exec, s[0:1]
	v_lshl_add_u64 v[6:7], v[0:1], 3, v[4:5]
	s_cbranch_vccnz .LBB367_17
; %bb.16:
	flat_load_dwordx2 v[12:13], v[6:7]
	s_mov_b32 s10, s7
	v_mov_b32_e32 v3, v11
	s_waitcnt vmcnt(0) lgkmcnt(0)
	v_pk_mul_f32 v[10:11], v[12:13], s[10:11] op_sel:[1,0] op_sel_hi:[0,0]
	v_pk_fma_f32 v[24:25], v[12:13], s[6:7], v[10:11] neg_lo:[0,0,1] neg_hi:[0,0,1]
	v_pk_fma_f32 v[10:11], v[12:13], s[6:7], v[10:11] op_sel_hi:[1,0,1]
	s_nop 0
	v_mov_b32_e32 v25, v11
	v_pk_add_f32 v[2:3], v[2:3], v[24:25]
	s_nop 0
	v_mov_b32_e32 v11, v3
.LBB367_17:
	v_mov_b32_e32 v3, v11
	flat_store_dwordx2 v[6:7], v[2:3]
.LBB367_18:
	s_or_b64 exec, exec, s[8:9]
	v_add_u32_e32 v2, 16, v0
	v_cmp_le_i32_e32 vcc, v2, v9
	s_and_b64 s[8:9], s[2:3], vcc
	v_ashrrev_i32_e32 v3, 31, v2
	s_and_saveexec_b64 s[2:3], s[8:9]
	s_cbranch_execz .LBB367_22
; %bb.19:
	v_pk_mul_f32 v[10:11], v[22:23], s[16:17] op_sel:[0,1] op_sel_hi:[0,0]
	v_pk_fma_f32 v[6:7], v[20:21], s[16:17], v[10:11] op_sel_hi:[0,1,1] neg_lo:[0,0,1] neg_hi:[0,0,1]
	v_pk_fma_f32 v[10:11], v[20:21], s[16:17], v[10:11] op_sel_hi:[0,1,1]
	s_and_b64 vcc, exec, s[0:1]
	v_lshl_add_u64 v[4:5], v[2:3], 3, v[4:5]
	s_cbranch_vccnz .LBB367_21
; %bb.20:
	flat_load_dwordx2 v[12:13], v[4:5]
	s_mov_b32 s8, s7
	v_mov_b32_e32 v7, v11
	s_waitcnt vmcnt(0) lgkmcnt(0)
	v_pk_mul_f32 v[10:11], v[12:13], s[8:9] op_sel:[1,0] op_sel_hi:[0,0]
	v_pk_fma_f32 v[20:21], v[12:13], s[6:7], v[10:11] neg_lo:[0,0,1] neg_hi:[0,0,1]
	v_pk_fma_f32 v[10:11], v[12:13], s[6:7], v[10:11] op_sel_hi:[1,0,1]
	s_nop 0
	v_mov_b32_e32 v21, v11
	v_pk_add_f32 v[6:7], v[6:7], v[20:21]
	s_nop 0
	v_mov_b32_e32 v11, v7
.LBB367_21:
	v_mov_b32_e32 v7, v11
	flat_store_dwordx2 v[4:5], v[6:7]
.LBB367_22:
	s_or_b64 exec, exec, s[2:3]
	v_add_u32_e32 v9, 16, v9
	v_cmp_gt_i32_e64 s[2:3], s18, v9
	v_mad_i64_i32 v[4:5], s[8:9], v9, s14, 0
	v_cmp_le_i32_e32 vcc, v0, v9
	v_lshl_add_u64 v[4:5], v[4:5], 3, s[4:5]
	s_and_b64 s[8:9], s[2:3], vcc
	s_and_saveexec_b64 s[4:5], s[8:9]
	s_cbranch_execz .LBB367_26
; %bb.23:
	v_pk_mul_f32 v[10:11], v[18:19], s[16:17] op_sel:[0,1] op_sel_hi:[0,0]
	v_pk_fma_f32 v[6:7], v[16:17], s[16:17], v[10:11] op_sel_hi:[0,1,1] neg_lo:[0,0,1] neg_hi:[0,0,1]
	v_pk_fma_f32 v[10:11], v[16:17], s[16:17], v[10:11] op_sel_hi:[0,1,1]
	s_and_b64 vcc, exec, s[0:1]
	v_lshl_add_u64 v[0:1], v[0:1], 3, v[4:5]
	s_cbranch_vccnz .LBB367_25
; %bb.24:
	flat_load_dwordx2 v[12:13], v[0:1]
	s_mov_b32 s8, s7
	v_mov_b32_e32 v7, v11
	s_waitcnt vmcnt(0) lgkmcnt(0)
	v_pk_mul_f32 v[10:11], v[12:13], s[8:9] op_sel:[1,0] op_sel_hi:[0,0]
	v_pk_fma_f32 v[16:17], v[12:13], s[6:7], v[10:11] neg_lo:[0,0,1] neg_hi:[0,0,1]
	v_pk_fma_f32 v[10:11], v[12:13], s[6:7], v[10:11] op_sel_hi:[1,0,1]
	s_nop 0
	v_mov_b32_e32 v17, v11
	v_pk_add_f32 v[6:7], v[6:7], v[16:17]
	s_nop 0
	v_mov_b32_e32 v11, v7
.LBB367_25:
	v_mov_b32_e32 v7, v11
	flat_store_dwordx2 v[0:1], v[6:7]
.LBB367_26:
	s_or_b64 exec, exec, s[4:5]
	v_cmp_le_i32_e32 vcc, v2, v9
	s_and_b64 s[2:3], s[2:3], vcc
	s_and_saveexec_b64 s[4:5], s[2:3]
	s_cbranch_execz .LBB367_30
; %bb.27:
	v_pk_mul_f32 v[6:7], v[14:15], s[16:17] op_sel:[0,1] op_sel_hi:[0,0]
	v_pk_fma_f32 v[0:1], v[8:9], s[16:17], v[6:7] op_sel_hi:[0,1,1] neg_lo:[0,0,1] neg_hi:[0,0,1]
	v_pk_fma_f32 v[6:7], v[8:9], s[16:17], v[6:7] op_sel_hi:[0,1,1]
	s_and_b64 vcc, exec, s[0:1]
	v_lshl_add_u64 v[2:3], v[2:3], 3, v[4:5]
	s_cbranch_vccnz .LBB367_29
; %bb.28:
	flat_load_dwordx2 v[4:5], v[2:3]
	s_mov_b32 s0, s7
	v_mov_b32_e32 v1, v7
	s_waitcnt vmcnt(0) lgkmcnt(0)
	v_pk_mul_f32 v[6:7], v[4:5], s[0:1] op_sel:[1,0] op_sel_hi:[0,0]
	v_pk_fma_f32 v[8:9], v[4:5], s[6:7], v[6:7] neg_lo:[0,0,1] neg_hi:[0,0,1]
	v_pk_fma_f32 v[4:5], v[4:5], s[6:7], v[6:7] op_sel_hi:[1,0,1]
	s_nop 0
	v_mov_b32_e32 v9, v5
	v_pk_add_f32 v[0:1], v[0:1], v[8:9]
	s_nop 0
	v_mov_b32_e32 v7, v1
.LBB367_29:
	v_mov_b32_e32 v1, v7
	flat_store_dwordx2 v[2:3], v[0:1]
.LBB367_30:
	s_endpgm
	.section	.rodata,"a",@progbits
	.p2align	6, 0x0
	.amdhsa_kernel _ZL29rocblas_internal_gemmt_kernelIiLi16ELi32ELi8ELc67ELc84ELc85ELb1ELb0E19rocblas_complex_numIfEPKS1_PKS3_PKPS1_EviT_T9_T10_S9_lSB_S9_lSA_T11_S9_li
		.amdhsa_group_segment_fixed_size 4096
		.amdhsa_private_segment_fixed_size 0
		.amdhsa_kernarg_size 100
		.amdhsa_user_sgpr_count 2
		.amdhsa_user_sgpr_dispatch_ptr 0
		.amdhsa_user_sgpr_queue_ptr 0
		.amdhsa_user_sgpr_kernarg_segment_ptr 1
		.amdhsa_user_sgpr_dispatch_id 0
		.amdhsa_user_sgpr_kernarg_preload_length 0
		.amdhsa_user_sgpr_kernarg_preload_offset 0
		.amdhsa_user_sgpr_private_segment_size 0
		.amdhsa_uses_dynamic_stack 0
		.amdhsa_enable_private_segment 0
		.amdhsa_system_sgpr_workgroup_id_x 1
		.amdhsa_system_sgpr_workgroup_id_y 1
		.amdhsa_system_sgpr_workgroup_id_z 1
		.amdhsa_system_sgpr_workgroup_info 0
		.amdhsa_system_vgpr_workitem_id 1
		.amdhsa_next_free_vgpr 54
		.amdhsa_next_free_sgpr 30
		.amdhsa_accum_offset 56
		.amdhsa_reserve_vcc 1
		.amdhsa_float_round_mode_32 0
		.amdhsa_float_round_mode_16_64 0
		.amdhsa_float_denorm_mode_32 3
		.amdhsa_float_denorm_mode_16_64 3
		.amdhsa_dx10_clamp 1
		.amdhsa_ieee_mode 1
		.amdhsa_fp16_overflow 0
		.amdhsa_tg_split 0
		.amdhsa_exception_fp_ieee_invalid_op 0
		.amdhsa_exception_fp_denorm_src 0
		.amdhsa_exception_fp_ieee_div_zero 0
		.amdhsa_exception_fp_ieee_overflow 0
		.amdhsa_exception_fp_ieee_underflow 0
		.amdhsa_exception_fp_ieee_inexact 0
		.amdhsa_exception_int_div_zero 0
	.end_amdhsa_kernel
	.section	.text._ZL29rocblas_internal_gemmt_kernelIiLi16ELi32ELi8ELc67ELc84ELc85ELb1ELb0E19rocblas_complex_numIfEPKS1_PKS3_PKPS1_EviT_T9_T10_S9_lSB_S9_lSA_T11_S9_li,"axG",@progbits,_ZL29rocblas_internal_gemmt_kernelIiLi16ELi32ELi8ELc67ELc84ELc85ELb1ELb0E19rocblas_complex_numIfEPKS1_PKS3_PKPS1_EviT_T9_T10_S9_lSB_S9_lSA_T11_S9_li,comdat
.Lfunc_end367:
	.size	_ZL29rocblas_internal_gemmt_kernelIiLi16ELi32ELi8ELc67ELc84ELc85ELb1ELb0E19rocblas_complex_numIfEPKS1_PKS3_PKPS1_EviT_T9_T10_S9_lSB_S9_lSA_T11_S9_li, .Lfunc_end367-_ZL29rocblas_internal_gemmt_kernelIiLi16ELi32ELi8ELc67ELc84ELc85ELb1ELb0E19rocblas_complex_numIfEPKS1_PKS3_PKPS1_EviT_T9_T10_S9_lSB_S9_lSA_T11_S9_li
                                        ; -- End function
	.set _ZL29rocblas_internal_gemmt_kernelIiLi16ELi32ELi8ELc67ELc84ELc85ELb1ELb0E19rocblas_complex_numIfEPKS1_PKS3_PKPS1_EviT_T9_T10_S9_lSB_S9_lSA_T11_S9_li.num_vgpr, 54
	.set _ZL29rocblas_internal_gemmt_kernelIiLi16ELi32ELi8ELc67ELc84ELc85ELb1ELb0E19rocblas_complex_numIfEPKS1_PKS3_PKPS1_EviT_T9_T10_S9_lSB_S9_lSA_T11_S9_li.num_agpr, 0
	.set _ZL29rocblas_internal_gemmt_kernelIiLi16ELi32ELi8ELc67ELc84ELc85ELb1ELb0E19rocblas_complex_numIfEPKS1_PKS3_PKPS1_EviT_T9_T10_S9_lSB_S9_lSA_T11_S9_li.numbered_sgpr, 30
	.set _ZL29rocblas_internal_gemmt_kernelIiLi16ELi32ELi8ELc67ELc84ELc85ELb1ELb0E19rocblas_complex_numIfEPKS1_PKS3_PKPS1_EviT_T9_T10_S9_lSB_S9_lSA_T11_S9_li.num_named_barrier, 0
	.set _ZL29rocblas_internal_gemmt_kernelIiLi16ELi32ELi8ELc67ELc84ELc85ELb1ELb0E19rocblas_complex_numIfEPKS1_PKS3_PKPS1_EviT_T9_T10_S9_lSB_S9_lSA_T11_S9_li.private_seg_size, 0
	.set _ZL29rocblas_internal_gemmt_kernelIiLi16ELi32ELi8ELc67ELc84ELc85ELb1ELb0E19rocblas_complex_numIfEPKS1_PKS3_PKPS1_EviT_T9_T10_S9_lSB_S9_lSA_T11_S9_li.uses_vcc, 1
	.set _ZL29rocblas_internal_gemmt_kernelIiLi16ELi32ELi8ELc67ELc84ELc85ELb1ELb0E19rocblas_complex_numIfEPKS1_PKS3_PKPS1_EviT_T9_T10_S9_lSB_S9_lSA_T11_S9_li.uses_flat_scratch, 0
	.set _ZL29rocblas_internal_gemmt_kernelIiLi16ELi32ELi8ELc67ELc84ELc85ELb1ELb0E19rocblas_complex_numIfEPKS1_PKS3_PKPS1_EviT_T9_T10_S9_lSB_S9_lSA_T11_S9_li.has_dyn_sized_stack, 0
	.set _ZL29rocblas_internal_gemmt_kernelIiLi16ELi32ELi8ELc67ELc84ELc85ELb1ELb0E19rocblas_complex_numIfEPKS1_PKS3_PKPS1_EviT_T9_T10_S9_lSB_S9_lSA_T11_S9_li.has_recursion, 0
	.set _ZL29rocblas_internal_gemmt_kernelIiLi16ELi32ELi8ELc67ELc84ELc85ELb1ELb0E19rocblas_complex_numIfEPKS1_PKS3_PKPS1_EviT_T9_T10_S9_lSB_S9_lSA_T11_S9_li.has_indirect_call, 0
	.section	.AMDGPU.csdata,"",@progbits
; Kernel info:
; codeLenInByte = 2516
; TotalNumSgprs: 36
; NumVgprs: 54
; NumAgprs: 0
; TotalNumVgprs: 54
; ScratchSize: 0
; MemoryBound: 0
; FloatMode: 240
; IeeeMode: 1
; LDSByteSize: 4096 bytes/workgroup (compile time only)
; SGPRBlocks: 4
; VGPRBlocks: 6
; NumSGPRsForWavesPerEU: 36
; NumVGPRsForWavesPerEU: 54
; AccumOffset: 56
; Occupancy: 8
; WaveLimiterHint : 1
; COMPUTE_PGM_RSRC2:SCRATCH_EN: 0
; COMPUTE_PGM_RSRC2:USER_SGPR: 2
; COMPUTE_PGM_RSRC2:TRAP_HANDLER: 0
; COMPUTE_PGM_RSRC2:TGID_X_EN: 1
; COMPUTE_PGM_RSRC2:TGID_Y_EN: 1
; COMPUTE_PGM_RSRC2:TGID_Z_EN: 1
; COMPUTE_PGM_RSRC2:TIDIG_COMP_CNT: 1
; COMPUTE_PGM_RSRC3_GFX90A:ACCUM_OFFSET: 13
; COMPUTE_PGM_RSRC3_GFX90A:TG_SPLIT: 0
	.section	.text._ZL29rocblas_internal_gemmt_kernelIiLi16ELi32ELi8ELc67ELc67ELc85ELb1ELb1E19rocblas_complex_numIfEPKS1_PKS3_PKPS1_EviT_T9_T10_S9_lSB_S9_lSA_T11_S9_li,"axG",@progbits,_ZL29rocblas_internal_gemmt_kernelIiLi16ELi32ELi8ELc67ELc67ELc85ELb1ELb1E19rocblas_complex_numIfEPKS1_PKS3_PKPS1_EviT_T9_T10_S9_lSB_S9_lSA_T11_S9_li,comdat
	.globl	_ZL29rocblas_internal_gemmt_kernelIiLi16ELi32ELi8ELc67ELc67ELc85ELb1ELb1E19rocblas_complex_numIfEPKS1_PKS3_PKPS1_EviT_T9_T10_S9_lSB_S9_lSA_T11_S9_li ; -- Begin function _ZL29rocblas_internal_gemmt_kernelIiLi16ELi32ELi8ELc67ELc67ELc85ELb1ELb1E19rocblas_complex_numIfEPKS1_PKS3_PKPS1_EviT_T9_T10_S9_lSB_S9_lSA_T11_S9_li
	.p2align	8
	.type	_ZL29rocblas_internal_gemmt_kernelIiLi16ELi32ELi8ELc67ELc67ELc85ELb1ELb1E19rocblas_complex_numIfEPKS1_PKS3_PKPS1_EviT_T9_T10_S9_lSB_S9_lSA_T11_S9_li,@function
_ZL29rocblas_internal_gemmt_kernelIiLi16ELi32ELi8ELc67ELc67ELc85ELb1ELb1E19rocblas_complex_numIfEPKS1_PKS3_PKPS1_EviT_T9_T10_S9_lSB_S9_lSA_T11_S9_li: ; @_ZL29rocblas_internal_gemmt_kernelIiLi16ELi32ELi8ELc67ELc67ELc85ELb1ELb1E19rocblas_complex_numIfEPKS1_PKS3_PKPS1_EviT_T9_T10_S9_lSB_S9_lSA_T11_S9_li
; %bb.0:
	s_load_dwordx4 s[8:11], s[0:1], 0x38
	s_load_dwordx4 s[12:15], s[0:1], 0x8
	s_waitcnt lgkmcnt(0)
	s_load_dwordx2 s[6:7], s[10:11], 0x0
	s_load_dwordx2 s[18:19], s[0:1], 0x0
	;; [unrolled: 1-line block ×3, first 2 shown]
	s_waitcnt lgkmcnt(0)
	s_and_b32 s5, s7, 0x7fffffff
	s_cmp_eq_u32 s5, 0
	v_cmp_eq_f32_e64 s[12:13], s6, 1.0
	s_cselect_b64 s[10:11], -1, 0
	s_and_b64 s[12:13], s[12:13], s[10:11]
	s_and_b64 vcc, exec, s[12:13]
	s_cbranch_vccnz .LBB368_2
; %bb.1:
	s_mov_b64 s[12:13], -1
	s_cbranch_execz .LBB368_3
	s_branch .LBB368_4
.LBB368_2:
	s_mov_b64 s[12:13], 0
.LBB368_3:
	s_cmp_lg_u32 s19, 0
	v_cmp_neq_f32_e64 s[20:21], s16, 0
	v_cmp_neq_f32_e64 s[22:23], s17, 0
	s_cselect_b64 s[12:13], -1, 0
	s_or_b64 s[20:21], s[20:21], s[22:23]
	s_and_b64 s[12:13], s[12:13], s[20:21]
.LBB368_4:
	s_andn2_b64 vcc, exec, s[12:13]
	s_cbranch_vccnz .LBB368_32
; %bb.5:
	s_load_dwordx2 s[12:13], s[0:1], 0x48
	s_mov_b32 s5, 0
	s_lshl_b64 s[20:21], s[4:5], 3
	v_cmp_eq_f32_e64 s[24:25], s17, 0
	v_and_b32_e32 v15, 0x3ff, v0
	s_waitcnt lgkmcnt(0)
	s_add_u32 s12, s12, s20
	s_addc_u32 s13, s13, s21
	s_lshl_b32 s4, s2, 5
	s_lshl_b32 s22, s3, 5
	v_cmp_eq_f32_e64 s[2:3], s16, 0
	s_load_dwordx2 s[12:13], s[12:13], 0x0
	s_and_b64 s[2:3], s[2:3], s[24:25]
	s_cmp_lt_i32 s19, 1
	s_cselect_b64 s[24:25], -1, 0
	s_or_b64 s[2:3], s[2:3], s[24:25]
	v_bfe_u32 v17, v0, 10, 10
	v_mov_b32_e32 v24, 0
	s_and_b64 vcc, exec, s[2:3]
	v_mov_b32_e32 v26, 0
	v_mov_b32_e32 v20, 0
	;; [unrolled: 1-line block ×7, first 2 shown]
	s_cbranch_vccnz .LBB368_16
; %bb.6:
	s_load_dword s23, s[0:1], 0x18
	s_load_dword s28, s[0:1], 0x30
	s_load_dwordx4 s[24:27], s[0:1], 0x20
	v_lshl_add_u32 v1, v17, 4, v15
	v_and_b32_e32 v3, 31, v1
	v_lshrrev_b32_e32 v21, 5, v1
	s_waitcnt lgkmcnt(0)
	s_ashr_i32 s29, s28, 31
	v_lshrrev_b32_e32 v2, 3, v1
	v_or_b32_e32 v1, s4, v3
	s_add_u32 s2, s26, s20
	v_and_b32_e32 v19, 7, v15
	s_addc_u32 s3, s27, s21
	v_cmp_gt_i32_e32 vcc, s18, v1
	v_lshlrev_b32_e32 v1, 3, v3
	s_load_dwordx2 s[26:27], s[2:3], 0x0
	s_add_u32 s2, s14, s20
	v_lshl_or_b32 v23, v21, 8, v1
	v_lshlrev_b32_e32 v1, 3, v19
	v_add_u32_e32 v0, s22, v2
	s_addc_u32 s3, s15, s21
	v_lshl_or_b32 v1, v2, 6, v1
	v_mov_b32_e32 v2, 0x800
	s_load_dwordx2 s[14:15], s[2:3], 0x0
	v_lshl_add_u32 v28, v17, 6, v2
	v_add_u32_e32 v2, s4, v3
	v_mad_i64_i32 v[2:3], s[20:21], s23, v2, 0
	s_lshl_b64 s[20:21], s[24:25], 3
	s_nop 0
	v_lshl_add_u64 v[2:3], v[2:3], 3, s[20:21]
	v_lshlrev_b32_e32 v8, 3, v21
	v_mov_b32_e32 v9, 0
	v_lshl_add_u64 v[2:3], v[2:3], 0, v[8:9]
	s_waitcnt lgkmcnt(0)
	v_lshl_add_u64 v[10:11], s[14:15], 0, v[2:3]
	v_mad_i64_i32 v[2:3], s[14:15], s28, v19, 0
	s_lshl_b64 s[8:9], s[8:9], 3
	v_add_u32_e32 v25, 0x800, v1
	v_ashrrev_i32_e32 v1, 31, v0
	v_lshl_add_u64 v[2:3], v[2:3], 3, s[8:9]
	v_cmp_gt_i32_e64 s[2:3], s18, v0
	v_lshl_add_u64 v[0:1], v[0:1], 3, v[2:3]
	v_lshlrev_b32_e32 v27, 3, v15
	v_lshl_add_u64 v[12:13], s[26:27], 0, v[0:1]
	s_lshl_b64 s[8:9], s[28:29], 6
	s_xor_b64 s[14:15], vcc, -1
	s_xor_b64 s[2:3], s[2:3], -1
	v_mov_b32_e32 v14, 0
	v_mov_b32_e32 v8, 0
	;; [unrolled: 1-line block ×8, first 2 shown]
	s_branch .LBB368_8
.LBB368_7:                              ;   in Loop: Header=BB368_8 Depth=1
	s_or_b64 exec, exec, s[20:21]
	ds_write_b32 v25, v0 offset:4
	s_waitcnt lgkmcnt(0)
	s_barrier
	ds_read2_b64 v[30:33], v27 offset1:16
	ds_read_b128 v[34:37], v28
	ds_read_b128 v[38:41], v28 offset:16
	ds_read_b128 v[4:7], v28 offset:32
	ds_read_b128 v[0:3], v28 offset:48
	ds_read2_b64 v[50:53], v27 offset0:32 offset1:48
	s_waitcnt lgkmcnt(4)
	v_mul_f32_e32 v42, v34, v31
	v_fmac_f32_e32 v42, v35, v30
	v_add_f32_e32 v26, v26, v42
	ds_read_b128 v[42:45], v28 offset:1024
	ds_read_b128 v[46:49], v28 offset:1040
	v_mul_f32_e32 v29, v35, v31
	v_fma_f32 v29, v34, v30, -v29
	v_add_f32_e32 v24, v24, v29
	v_mul_f32_e32 v29, v35, v33
	v_fma_f32 v29, v34, v32, -v29
	v_add_f32_e32 v20, v20, v29
	s_waitcnt lgkmcnt(1)
	v_mul_f32_e32 v29, v43, v31
	v_mul_f32_e32 v31, v42, v31
	v_fma_f32 v29, v42, v30, -v29
	v_fmac_f32_e32 v31, v43, v30
	v_mul_f32_e32 v30, v42, v33
	v_fmac_f32_e32 v30, v43, v32
	v_add_f32_e32 v14, v14, v30
	v_mul_f32_e32 v30, v36, v51
	v_mul_f32_e32 v34, v34, v33
	v_fmac_f32_e32 v30, v37, v50
	v_fmac_f32_e32 v34, v35, v32
	v_add_f32_e32 v26, v26, v30
	v_mul_f32_e32 v30, v36, v53
	v_add_f32_e32 v22, v22, v34
	v_add_f32_e32 v16, v16, v29
	v_mul_f32_e32 v29, v43, v33
	v_fmac_f32_e32 v30, v37, v52
	v_fma_f32 v29, v42, v32, -v29
	v_add_f32_e32 v22, v22, v30
	v_mul_f32_e32 v30, v44, v51
	v_add_f32_e32 v18, v18, v31
	v_add_f32_e32 v8, v8, v29
	v_mul_f32_e32 v29, v37, v51
	v_fmac_f32_e32 v30, v45, v50
	v_fma_f32 v29, v36, v50, -v29
	v_add_f32_e32 v18, v18, v30
	ds_read2_b64 v[30:33], v27 offset0:64 offset1:80
	v_add_f32_e32 v24, v24, v29
	v_mul_f32_e32 v29, v37, v53
	v_fma_f32 v29, v36, v52, -v29
	v_add_f32_e32 v20, v20, v29
	v_mul_f32_e32 v29, v45, v51
	v_mul_f32_e32 v34, v44, v53
	v_fma_f32 v29, v44, v50, -v29
	v_fmac_f32_e32 v34, v45, v52
	v_add_f32_e32 v16, v16, v29
	v_mul_f32_e32 v29, v45, v53
	v_add_f32_e32 v14, v14, v34
	s_waitcnt lgkmcnt(0)
	v_mul_f32_e32 v34, v38, v31
	v_fma_f32 v29, v44, v52, -v29
	v_fmac_f32_e32 v34, v39, v30
	v_add_f32_e32 v8, v8, v29
	v_mul_f32_e32 v29, v39, v31
	v_add_f32_e32 v26, v26, v34
	v_mul_f32_e32 v34, v38, v33
	v_fma_f32 v29, v38, v30, -v29
	v_fmac_f32_e32 v34, v39, v32
	v_add_f32_e32 v24, v24, v29
	v_mul_f32_e32 v29, v39, v33
	v_add_f32_e32 v22, v22, v34
	ds_read2_b64 v[34:37], v27 offset0:96 offset1:112
	v_fma_f32 v29, v38, v32, -v29
	v_add_f32_e32 v20, v20, v29
	v_mul_f32_e32 v29, v47, v31
	v_mul_f32_e32 v31, v46, v31
	v_fma_f32 v29, v46, v30, -v29
	v_fmac_f32_e32 v31, v47, v30
	v_mul_f32_e32 v30, v46, v33
	v_fmac_f32_e32 v30, v47, v32
	v_add_f32_e32 v14, v14, v30
	s_waitcnt lgkmcnt(0)
	v_mul_f32_e32 v30, v40, v35
	v_fmac_f32_e32 v30, v41, v34
	v_add_f32_e32 v16, v16, v29
	v_mul_f32_e32 v29, v47, v33
	v_add_f32_e32 v26, v26, v30
	v_mul_f32_e32 v30, v40, v37
	v_fma_f32 v29, v46, v32, -v29
	v_fmac_f32_e32 v30, v41, v36
	v_add_f32_e32 v8, v8, v29
	v_mul_f32_e32 v29, v41, v35
	v_add_f32_e32 v22, v22, v30
	v_mul_f32_e32 v30, v48, v35
	v_add_f32_e32 v18, v18, v31
	v_fma_f32 v29, v40, v34, -v29
	v_fmac_f32_e32 v30, v49, v34
	v_add_f32_e32 v24, v24, v29
	v_mul_f32_e32 v29, v41, v37
	v_add_f32_e32 v18, v18, v30
	ds_read2_b64 v[30:33], v27 offset0:128 offset1:144
	v_fma_f32 v29, v40, v36, -v29
	v_add_f32_e32 v20, v20, v29
	v_mul_f32_e32 v29, v49, v35
	v_fma_f32 v29, v48, v34, -v29
	v_mul_f32_e32 v34, v48, v37
	v_fmac_f32_e32 v34, v49, v36
	v_add_f32_e32 v14, v14, v34
	s_waitcnt lgkmcnt(0)
	v_mul_f32_e32 v34, v4, v31
	v_add_f32_e32 v16, v16, v29
	v_mul_f32_e32 v29, v49, v37
	v_fmac_f32_e32 v34, v5, v30
	v_fma_f32 v29, v48, v36, -v29
	v_add_f32_e32 v26, v26, v34
	ds_read_b128 v[34:37], v28 offset:1056
	ds_read_b128 v[38:41], v28 offset:1072
	v_add_f32_e32 v8, v8, v29
	v_mul_f32_e32 v29, v5, v31
	v_fma_f32 v29, v4, v30, -v29
	v_add_f32_e32 v24, v24, v29
	v_mul_f32_e32 v29, v5, v33
	v_fma_f32 v29, v4, v32, -v29
	v_mul_f32_e32 v4, v4, v33
	ds_read2_b64 v[42:45], v27 offset0:160 offset1:176
	v_fmac_f32_e32 v4, v5, v32
	v_add_f32_e32 v5, v20, v29
	s_waitcnt lgkmcnt(2)
	v_mul_f32_e32 v20, v35, v31
	v_fma_f32 v20, v34, v30, -v20
	v_add_f32_e32 v16, v16, v20
	v_mul_f32_e32 v20, v35, v33
	v_add_f32_e32 v4, v22, v4
	v_mul_f32_e32 v22, v34, v31
	v_fma_f32 v20, v34, v32, -v20
	v_fmac_f32_e32 v22, v35, v30
	v_add_f32_e32 v8, v8, v20
	s_waitcnt lgkmcnt(0)
	v_mul_f32_e32 v20, v7, v43
	v_add_f32_e32 v18, v18, v22
	v_mul_f32_e32 v22, v34, v33
	v_fma_f32 v20, v6, v42, -v20
	v_fmac_f32_e32 v22, v35, v32
	v_add_f32_e32 v20, v24, v20
	v_mul_f32_e32 v24, v7, v45
	v_add_f32_e32 v14, v14, v22
	v_mul_f32_e32 v22, v6, v43
	v_fma_f32 v24, v6, v44, -v24
	v_mul_f32_e32 v6, v6, v45
	v_fmac_f32_e32 v22, v7, v42
	v_fmac_f32_e32 v6, v7, v44
	v_add_f32_e32 v22, v26, v22
	v_add_f32_e32 v26, v4, v6
	v_mul_f32_e32 v4, v37, v43
	v_add_f32_e32 v24, v5, v24
	v_fma_f32 v4, v36, v42, -v4
	v_mul_f32_e32 v5, v36, v43
	v_fmac_f32_e32 v5, v37, v42
	v_add_f32_e32 v16, v16, v4
	v_mul_f32_e32 v4, v37, v45
	v_add_f32_e32 v18, v18, v5
	v_fma_f32 v29, v36, v44, -v4
	ds_read2_b64 v[4:7], v27 offset0:192 offset1:208
	v_mul_f32_e32 v30, v36, v45
	v_fmac_f32_e32 v30, v37, v44
	v_add_f32_e32 v8, v8, v29
	v_add_f32_e32 v14, v14, v30
	s_waitcnt lgkmcnt(0)
	v_mul_f32_e32 v29, v1, v5
	v_fma_f32 v29, v0, v4, -v29
	v_mul_f32_e32 v30, v0, v5
	v_fmac_f32_e32 v30, v1, v4
	v_add_f32_e32 v20, v20, v29
	v_mul_f32_e32 v29, v1, v7
	v_add_f32_e32 v22, v22, v30
	v_fma_f32 v29, v0, v6, -v29
	v_mul_f32_e32 v0, v0, v7
	ds_read2_b64 v[30:33], v27 offset0:224 offset1:240
	v_fmac_f32_e32 v0, v1, v6
	v_add_f32_e32 v1, v24, v29
	v_mul_f32_e32 v24, v39, v5
	v_fma_f32 v24, v38, v4, -v24
	v_mul_f32_e32 v5, v38, v5
	v_fmac_f32_e32 v5, v39, v4
	v_add_f32_e32 v4, v16, v24
	v_mul_f32_e32 v16, v39, v7
	v_fma_f32 v16, v38, v6, -v16
	v_mul_f32_e32 v7, v38, v7
	v_fmac_f32_e32 v7, v39, v6
	v_add_f32_e32 v6, v8, v16
	s_waitcnt lgkmcnt(0)
	v_mul_f32_e32 v8, v3, v31
	v_fma_f32 v8, v2, v30, -v8
	v_add_f32_e32 v24, v20, v8
	v_mul_f32_e32 v8, v3, v33
	v_add_f32_e32 v7, v14, v7
	v_mul_f32_e32 v14, v2, v31
	v_fma_f32 v8, v2, v32, -v8
	v_mul_f32_e32 v2, v2, v33
	v_add_f32_e32 v0, v26, v0
	v_fmac_f32_e32 v14, v3, v30
	v_fmac_f32_e32 v2, v3, v32
	v_add_f32_e32 v26, v22, v14
	v_add_f32_e32 v20, v1, v8
	v_add_f32_e32 v22, v0, v2
	v_mul_f32_e32 v0, v41, v31
	v_mul_f32_e32 v1, v40, v31
	v_add_f32_e32 v5, v18, v5
	v_fma_f32 v0, v40, v30, -v0
	v_fmac_f32_e32 v1, v41, v30
	v_add_f32_e32 v16, v4, v0
	v_add_f32_e32 v18, v5, v1
	v_mul_f32_e32 v0, v41, v33
	v_mul_f32_e32 v1, v40, v33
	v_fma_f32 v0, v40, v32, -v0
	v_fmac_f32_e32 v1, v41, v32
	s_add_i32 s5, s5, 8
	v_add_f32_e32 v8, v6, v0
	v_add_f32_e32 v14, v7, v1
	v_lshl_add_u64 v[10:11], v[10:11], 0, 64
	s_cmp_lt_i32 s5, s19
	v_lshl_add_u64 v[12:13], v[12:13], 0, s[8:9]
	s_barrier
	s_cbranch_scc0 .LBB368_16
.LBB368_8:                              ; =>This Inner Loop Header: Depth=1
	v_add_u32_e32 v0, s5, v21
	v_cmp_le_i32_e32 vcc, s19, v0
	s_or_b64 s[20:21], s[14:15], vcc
	s_and_saveexec_b64 s[24:25], s[20:21]
	s_xor_b64 s[20:21], exec, s[24:25]
; %bb.9:                                ;   in Loop: Header=BB368_8 Depth=1
	ds_write_b32 v23, v9
; %bb.10:                               ;   in Loop: Header=BB368_8 Depth=1
	s_or_saveexec_b64 s[20:21], s[20:21]
	v_mov_b32_e32 v0, 0
	s_xor_b64 exec, exec, s[20:21]
	s_cbranch_execz .LBB368_12
; %bb.11:                               ;   in Loop: Header=BB368_8 Depth=1
	flat_load_dwordx2 v[2:3], v[10:11]
	s_waitcnt vmcnt(0) lgkmcnt(0)
	v_xor_b32_e32 v0, 0x80000000, v3
	ds_write_b32 v23, v2
.LBB368_12:                             ;   in Loop: Header=BB368_8 Depth=1
	s_or_b64 exec, exec, s[20:21]
	ds_write_b32 v23, v0 offset:4
	v_add_u32_e32 v0, s5, v19
	v_cmp_le_i32_e32 vcc, s19, v0
	s_or_b64 s[20:21], vcc, s[2:3]
	s_and_saveexec_b64 s[24:25], s[20:21]
	s_xor_b64 s[20:21], exec, s[24:25]
; %bb.13:                               ;   in Loop: Header=BB368_8 Depth=1
	ds_write_b32 v25, v9
; %bb.14:                               ;   in Loop: Header=BB368_8 Depth=1
	s_or_saveexec_b64 s[20:21], s[20:21]
	v_mov_b32_e32 v0, 0
	s_xor_b64 exec, exec, s[20:21]
	s_cbranch_execz .LBB368_7
; %bb.15:                               ;   in Loop: Header=BB368_8 Depth=1
	flat_load_dwordx2 v[2:3], v[12:13]
	s_waitcnt vmcnt(0) lgkmcnt(0)
	v_xor_b32_e32 v0, 0x80000000, v3
	ds_write_b32 v25, v2
	s_branch .LBB368_7
.LBB368_16:
	s_load_dwordx2 s[2:3], s[0:1], 0x58
	s_load_dword s14, s[0:1], 0x50
	v_add_u32_e32 v0, s4, v15
	v_add_u32_e32 v9, s22, v17
	v_cmp_neq_f32_e64 s[0:1], s6, 0
	s_waitcnt lgkmcnt(0)
	s_lshl_b64 s[2:3], s[2:3], 3
	s_add_u32 s4, s12, s2
	s_addc_u32 s5, s13, s3
	s_xor_b64 s[8:9], s[10:11], -1
	v_mad_i64_i32 v[2:3], s[10:11], v9, s14, 0
	s_or_b64 s[0:1], s[0:1], s[8:9]
	v_cmp_gt_i32_e64 s[2:3], s18, v9
	v_lshl_add_u64 v[4:5], v[2:3], 3, s[4:5]
	v_cmp_le_i32_e32 vcc, v0, v9
	v_cndmask_b32_e64 v2, 0, 1, s[0:1]
	s_and_b64 s[10:11], s[2:3], vcc
	v_ashrrev_i32_e32 v1, 31, v0
	v_cmp_ne_u32_e64 s[0:1], 1, v2
	s_and_saveexec_b64 s[8:9], s[10:11]
	s_cbranch_execz .LBB368_20
; %bb.17:
	v_pk_mul_f32 v[6:7], v[26:27], s[16:17] op_sel:[0,1] op_sel_hi:[0,0]
	v_pk_fma_f32 v[2:3], v[24:25], s[16:17], v[6:7] op_sel_hi:[0,1,1] neg_lo:[0,0,1] neg_hi:[0,0,1]
	v_pk_fma_f32 v[10:11], v[24:25], s[16:17], v[6:7] op_sel_hi:[0,1,1]
	s_and_b64 vcc, exec, s[0:1]
	v_lshl_add_u64 v[6:7], v[0:1], 3, v[4:5]
	s_cbranch_vccnz .LBB368_19
; %bb.18:
	flat_load_dwordx2 v[12:13], v[6:7]
	s_mov_b32 s10, s7
	v_mov_b32_e32 v3, v11
	s_waitcnt vmcnt(0) lgkmcnt(0)
	v_pk_mul_f32 v[10:11], v[12:13], s[10:11] op_sel:[1,0] op_sel_hi:[0,0]
	v_pk_fma_f32 v[24:25], v[12:13], s[6:7], v[10:11] neg_lo:[0,0,1] neg_hi:[0,0,1]
	v_pk_fma_f32 v[10:11], v[12:13], s[6:7], v[10:11] op_sel_hi:[1,0,1]
	s_nop 0
	v_mov_b32_e32 v25, v11
	v_pk_add_f32 v[2:3], v[2:3], v[24:25]
	s_nop 0
	v_mov_b32_e32 v11, v3
.LBB368_19:
	v_mov_b32_e32 v3, v11
	flat_store_dwordx2 v[6:7], v[2:3]
.LBB368_20:
	s_or_b64 exec, exec, s[8:9]
	v_add_u32_e32 v2, 16, v0
	v_cmp_le_i32_e32 vcc, v2, v9
	s_and_b64 s[8:9], s[2:3], vcc
	v_ashrrev_i32_e32 v3, 31, v2
	s_and_saveexec_b64 s[2:3], s[8:9]
	s_cbranch_execz .LBB368_24
; %bb.21:
	v_pk_mul_f32 v[10:11], v[22:23], s[16:17] op_sel:[0,1] op_sel_hi:[0,0]
	v_pk_fma_f32 v[6:7], v[20:21], s[16:17], v[10:11] op_sel_hi:[0,1,1] neg_lo:[0,0,1] neg_hi:[0,0,1]
	v_pk_fma_f32 v[10:11], v[20:21], s[16:17], v[10:11] op_sel_hi:[0,1,1]
	s_and_b64 vcc, exec, s[0:1]
	v_lshl_add_u64 v[4:5], v[2:3], 3, v[4:5]
	s_cbranch_vccnz .LBB368_23
; %bb.22:
	flat_load_dwordx2 v[12:13], v[4:5]
	s_mov_b32 s8, s7
	v_mov_b32_e32 v7, v11
	s_waitcnt vmcnt(0) lgkmcnt(0)
	v_pk_mul_f32 v[10:11], v[12:13], s[8:9] op_sel:[1,0] op_sel_hi:[0,0]
	v_pk_fma_f32 v[20:21], v[12:13], s[6:7], v[10:11] neg_lo:[0,0,1] neg_hi:[0,0,1]
	v_pk_fma_f32 v[10:11], v[12:13], s[6:7], v[10:11] op_sel_hi:[1,0,1]
	s_nop 0
	v_mov_b32_e32 v21, v11
	v_pk_add_f32 v[6:7], v[6:7], v[20:21]
	s_nop 0
	v_mov_b32_e32 v11, v7
.LBB368_23:
	v_mov_b32_e32 v7, v11
	flat_store_dwordx2 v[4:5], v[6:7]
.LBB368_24:
	s_or_b64 exec, exec, s[2:3]
	v_add_u32_e32 v9, 16, v9
	v_cmp_gt_i32_e64 s[2:3], s18, v9
	v_mad_i64_i32 v[4:5], s[8:9], v9, s14, 0
	v_cmp_le_i32_e32 vcc, v0, v9
	v_lshl_add_u64 v[4:5], v[4:5], 3, s[4:5]
	s_and_b64 s[8:9], s[2:3], vcc
	s_and_saveexec_b64 s[4:5], s[8:9]
	s_cbranch_execz .LBB368_28
; %bb.25:
	v_pk_mul_f32 v[10:11], v[18:19], s[16:17] op_sel:[0,1] op_sel_hi:[0,0]
	v_pk_fma_f32 v[6:7], v[16:17], s[16:17], v[10:11] op_sel_hi:[0,1,1] neg_lo:[0,0,1] neg_hi:[0,0,1]
	v_pk_fma_f32 v[10:11], v[16:17], s[16:17], v[10:11] op_sel_hi:[0,1,1]
	s_and_b64 vcc, exec, s[0:1]
	v_lshl_add_u64 v[0:1], v[0:1], 3, v[4:5]
	s_cbranch_vccnz .LBB368_27
; %bb.26:
	flat_load_dwordx2 v[12:13], v[0:1]
	s_mov_b32 s8, s7
	v_mov_b32_e32 v7, v11
	s_waitcnt vmcnt(0) lgkmcnt(0)
	v_pk_mul_f32 v[10:11], v[12:13], s[8:9] op_sel:[1,0] op_sel_hi:[0,0]
	v_pk_fma_f32 v[16:17], v[12:13], s[6:7], v[10:11] neg_lo:[0,0,1] neg_hi:[0,0,1]
	v_pk_fma_f32 v[10:11], v[12:13], s[6:7], v[10:11] op_sel_hi:[1,0,1]
	s_nop 0
	v_mov_b32_e32 v17, v11
	v_pk_add_f32 v[6:7], v[6:7], v[16:17]
	s_nop 0
	v_mov_b32_e32 v11, v7
.LBB368_27:
	v_mov_b32_e32 v7, v11
	flat_store_dwordx2 v[0:1], v[6:7]
.LBB368_28:
	s_or_b64 exec, exec, s[4:5]
	v_cmp_le_i32_e32 vcc, v2, v9
	s_and_b64 s[2:3], s[2:3], vcc
	s_and_saveexec_b64 s[4:5], s[2:3]
	s_cbranch_execz .LBB368_32
; %bb.29:
	v_pk_mul_f32 v[6:7], v[14:15], s[16:17] op_sel:[0,1] op_sel_hi:[0,0]
	v_pk_fma_f32 v[0:1], v[8:9], s[16:17], v[6:7] op_sel_hi:[0,1,1] neg_lo:[0,0,1] neg_hi:[0,0,1]
	v_pk_fma_f32 v[6:7], v[8:9], s[16:17], v[6:7] op_sel_hi:[0,1,1]
	s_and_b64 vcc, exec, s[0:1]
	v_lshl_add_u64 v[2:3], v[2:3], 3, v[4:5]
	s_cbranch_vccnz .LBB368_31
; %bb.30:
	flat_load_dwordx2 v[4:5], v[2:3]
	s_mov_b32 s0, s7
	v_mov_b32_e32 v1, v7
	s_waitcnt vmcnt(0) lgkmcnt(0)
	v_pk_mul_f32 v[6:7], v[4:5], s[0:1] op_sel:[1,0] op_sel_hi:[0,0]
	v_pk_fma_f32 v[8:9], v[4:5], s[6:7], v[6:7] neg_lo:[0,0,1] neg_hi:[0,0,1]
	v_pk_fma_f32 v[4:5], v[4:5], s[6:7], v[6:7] op_sel_hi:[1,0,1]
	s_nop 0
	v_mov_b32_e32 v9, v5
	v_pk_add_f32 v[0:1], v[0:1], v[8:9]
	s_nop 0
	v_mov_b32_e32 v7, v1
.LBB368_31:
	v_mov_b32_e32 v1, v7
	flat_store_dwordx2 v[2:3], v[0:1]
.LBB368_32:
	s_endpgm
	.section	.rodata,"a",@progbits
	.p2align	6, 0x0
	.amdhsa_kernel _ZL29rocblas_internal_gemmt_kernelIiLi16ELi32ELi8ELc67ELc67ELc85ELb1ELb1E19rocblas_complex_numIfEPKS1_PKS3_PKPS1_EviT_T9_T10_S9_lSB_S9_lSA_T11_S9_li
		.amdhsa_group_segment_fixed_size 4096
		.amdhsa_private_segment_fixed_size 0
		.amdhsa_kernarg_size 100
		.amdhsa_user_sgpr_count 2
		.amdhsa_user_sgpr_dispatch_ptr 0
		.amdhsa_user_sgpr_queue_ptr 0
		.amdhsa_user_sgpr_kernarg_segment_ptr 1
		.amdhsa_user_sgpr_dispatch_id 0
		.amdhsa_user_sgpr_kernarg_preload_length 0
		.amdhsa_user_sgpr_kernarg_preload_offset 0
		.amdhsa_user_sgpr_private_segment_size 0
		.amdhsa_uses_dynamic_stack 0
		.amdhsa_enable_private_segment 0
		.amdhsa_system_sgpr_workgroup_id_x 1
		.amdhsa_system_sgpr_workgroup_id_y 1
		.amdhsa_system_sgpr_workgroup_id_z 1
		.amdhsa_system_sgpr_workgroup_info 0
		.amdhsa_system_vgpr_workitem_id 1
		.amdhsa_next_free_vgpr 54
		.amdhsa_next_free_sgpr 30
		.amdhsa_accum_offset 56
		.amdhsa_reserve_vcc 1
		.amdhsa_float_round_mode_32 0
		.amdhsa_float_round_mode_16_64 0
		.amdhsa_float_denorm_mode_32 3
		.amdhsa_float_denorm_mode_16_64 3
		.amdhsa_dx10_clamp 1
		.amdhsa_ieee_mode 1
		.amdhsa_fp16_overflow 0
		.amdhsa_tg_split 0
		.amdhsa_exception_fp_ieee_invalid_op 0
		.amdhsa_exception_fp_denorm_src 0
		.amdhsa_exception_fp_ieee_div_zero 0
		.amdhsa_exception_fp_ieee_overflow 0
		.amdhsa_exception_fp_ieee_underflow 0
		.amdhsa_exception_fp_ieee_inexact 0
		.amdhsa_exception_int_div_zero 0
	.end_amdhsa_kernel
	.section	.text._ZL29rocblas_internal_gemmt_kernelIiLi16ELi32ELi8ELc67ELc67ELc85ELb1ELb1E19rocblas_complex_numIfEPKS1_PKS3_PKPS1_EviT_T9_T10_S9_lSB_S9_lSA_T11_S9_li,"axG",@progbits,_ZL29rocblas_internal_gemmt_kernelIiLi16ELi32ELi8ELc67ELc67ELc85ELb1ELb1E19rocblas_complex_numIfEPKS1_PKS3_PKPS1_EviT_T9_T10_S9_lSB_S9_lSA_T11_S9_li,comdat
.Lfunc_end368:
	.size	_ZL29rocblas_internal_gemmt_kernelIiLi16ELi32ELi8ELc67ELc67ELc85ELb1ELb1E19rocblas_complex_numIfEPKS1_PKS3_PKPS1_EviT_T9_T10_S9_lSB_S9_lSA_T11_S9_li, .Lfunc_end368-_ZL29rocblas_internal_gemmt_kernelIiLi16ELi32ELi8ELc67ELc67ELc85ELb1ELb1E19rocblas_complex_numIfEPKS1_PKS3_PKPS1_EviT_T9_T10_S9_lSB_S9_lSA_T11_S9_li
                                        ; -- End function
	.set _ZL29rocblas_internal_gemmt_kernelIiLi16ELi32ELi8ELc67ELc67ELc85ELb1ELb1E19rocblas_complex_numIfEPKS1_PKS3_PKPS1_EviT_T9_T10_S9_lSB_S9_lSA_T11_S9_li.num_vgpr, 54
	.set _ZL29rocblas_internal_gemmt_kernelIiLi16ELi32ELi8ELc67ELc67ELc85ELb1ELb1E19rocblas_complex_numIfEPKS1_PKS3_PKPS1_EviT_T9_T10_S9_lSB_S9_lSA_T11_S9_li.num_agpr, 0
	.set _ZL29rocblas_internal_gemmt_kernelIiLi16ELi32ELi8ELc67ELc67ELc85ELb1ELb1E19rocblas_complex_numIfEPKS1_PKS3_PKPS1_EviT_T9_T10_S9_lSB_S9_lSA_T11_S9_li.numbered_sgpr, 30
	.set _ZL29rocblas_internal_gemmt_kernelIiLi16ELi32ELi8ELc67ELc67ELc85ELb1ELb1E19rocblas_complex_numIfEPKS1_PKS3_PKPS1_EviT_T9_T10_S9_lSB_S9_lSA_T11_S9_li.num_named_barrier, 0
	.set _ZL29rocblas_internal_gemmt_kernelIiLi16ELi32ELi8ELc67ELc67ELc85ELb1ELb1E19rocblas_complex_numIfEPKS1_PKS3_PKPS1_EviT_T9_T10_S9_lSB_S9_lSA_T11_S9_li.private_seg_size, 0
	.set _ZL29rocblas_internal_gemmt_kernelIiLi16ELi32ELi8ELc67ELc67ELc85ELb1ELb1E19rocblas_complex_numIfEPKS1_PKS3_PKPS1_EviT_T9_T10_S9_lSB_S9_lSA_T11_S9_li.uses_vcc, 1
	.set _ZL29rocblas_internal_gemmt_kernelIiLi16ELi32ELi8ELc67ELc67ELc85ELb1ELb1E19rocblas_complex_numIfEPKS1_PKS3_PKPS1_EviT_T9_T10_S9_lSB_S9_lSA_T11_S9_li.uses_flat_scratch, 0
	.set _ZL29rocblas_internal_gemmt_kernelIiLi16ELi32ELi8ELc67ELc67ELc85ELb1ELb1E19rocblas_complex_numIfEPKS1_PKS3_PKPS1_EviT_T9_T10_S9_lSB_S9_lSA_T11_S9_li.has_dyn_sized_stack, 0
	.set _ZL29rocblas_internal_gemmt_kernelIiLi16ELi32ELi8ELc67ELc67ELc85ELb1ELb1E19rocblas_complex_numIfEPKS1_PKS3_PKPS1_EviT_T9_T10_S9_lSB_S9_lSA_T11_S9_li.has_recursion, 0
	.set _ZL29rocblas_internal_gemmt_kernelIiLi16ELi32ELi8ELc67ELc67ELc85ELb1ELb1E19rocblas_complex_numIfEPKS1_PKS3_PKPS1_EviT_T9_T10_S9_lSB_S9_lSA_T11_S9_li.has_indirect_call, 0
	.section	.AMDGPU.csdata,"",@progbits
; Kernel info:
; codeLenInByte = 2544
; TotalNumSgprs: 36
; NumVgprs: 54
; NumAgprs: 0
; TotalNumVgprs: 54
; ScratchSize: 0
; MemoryBound: 0
; FloatMode: 240
; IeeeMode: 1
; LDSByteSize: 4096 bytes/workgroup (compile time only)
; SGPRBlocks: 4
; VGPRBlocks: 6
; NumSGPRsForWavesPerEU: 36
; NumVGPRsForWavesPerEU: 54
; AccumOffset: 56
; Occupancy: 8
; WaveLimiterHint : 1
; COMPUTE_PGM_RSRC2:SCRATCH_EN: 0
; COMPUTE_PGM_RSRC2:USER_SGPR: 2
; COMPUTE_PGM_RSRC2:TRAP_HANDLER: 0
; COMPUTE_PGM_RSRC2:TGID_X_EN: 1
; COMPUTE_PGM_RSRC2:TGID_Y_EN: 1
; COMPUTE_PGM_RSRC2:TGID_Z_EN: 1
; COMPUTE_PGM_RSRC2:TIDIG_COMP_CNT: 1
; COMPUTE_PGM_RSRC3_GFX90A:ACCUM_OFFSET: 13
; COMPUTE_PGM_RSRC3_GFX90A:TG_SPLIT: 0
	.section	.text._ZL29rocblas_internal_gemmt_kernelIiLi16ELi32ELi8ELc78ELc78ELc76ELb0ELb0E19rocblas_complex_numIfEPKS1_PKS3_PKPS1_EviT_T9_T10_S9_lSB_S9_lSA_T11_S9_li,"axG",@progbits,_ZL29rocblas_internal_gemmt_kernelIiLi16ELi32ELi8ELc78ELc78ELc76ELb0ELb0E19rocblas_complex_numIfEPKS1_PKS3_PKPS1_EviT_T9_T10_S9_lSB_S9_lSA_T11_S9_li,comdat
	.globl	_ZL29rocblas_internal_gemmt_kernelIiLi16ELi32ELi8ELc78ELc78ELc76ELb0ELb0E19rocblas_complex_numIfEPKS1_PKS3_PKPS1_EviT_T9_T10_S9_lSB_S9_lSA_T11_S9_li ; -- Begin function _ZL29rocblas_internal_gemmt_kernelIiLi16ELi32ELi8ELc78ELc78ELc76ELb0ELb0E19rocblas_complex_numIfEPKS1_PKS3_PKPS1_EviT_T9_T10_S9_lSB_S9_lSA_T11_S9_li
	.p2align	8
	.type	_ZL29rocblas_internal_gemmt_kernelIiLi16ELi32ELi8ELc78ELc78ELc76ELb0ELb0E19rocblas_complex_numIfEPKS1_PKS3_PKPS1_EviT_T9_T10_S9_lSB_S9_lSA_T11_S9_li,@function
_ZL29rocblas_internal_gemmt_kernelIiLi16ELi32ELi8ELc78ELc78ELc76ELb0ELb0E19rocblas_complex_numIfEPKS1_PKS3_PKPS1_EviT_T9_T10_S9_lSB_S9_lSA_T11_S9_li: ; @_ZL29rocblas_internal_gemmt_kernelIiLi16ELi32ELi8ELc78ELc78ELc76ELb0ELb0E19rocblas_complex_numIfEPKS1_PKS3_PKPS1_EviT_T9_T10_S9_lSB_S9_lSA_T11_S9_li
; %bb.0:
	s_load_dwordx4 s[8:11], s[0:1], 0x38
	s_load_dwordx4 s[12:15], s[0:1], 0x8
	s_waitcnt lgkmcnt(0)
	s_load_dwordx2 s[16:17], s[10:11], 0x0
	s_load_dwordx2 s[20:21], s[0:1], 0x0
	;; [unrolled: 1-line block ×3, first 2 shown]
	s_waitcnt lgkmcnt(0)
	s_and_b32 s5, s17, 0x7fffffff
	s_cmp_eq_u32 s5, 0
	v_cmp_eq_f32_e64 s[6:7], s16, 1.0
	s_cselect_b64 s[10:11], -1, 0
	s_and_b64 s[6:7], s[6:7], s[10:11]
	s_and_b64 vcc, exec, s[6:7]
	s_cbranch_vccnz .LBB369_2
; %bb.1:
	s_mov_b64 s[6:7], -1
	s_cbranch_execz .LBB369_3
	s_branch .LBB369_4
.LBB369_2:
	s_mov_b64 s[6:7], 0
.LBB369_3:
	s_cmp_lg_u32 s21, 0
	v_cmp_neq_f32_e64 s[12:13], s18, 0
	v_cmp_neq_f32_e64 s[22:23], s19, 0
	s_cselect_b64 s[6:7], -1, 0
	s_or_b64 s[12:13], s[12:13], s[22:23]
	s_and_b64 s[6:7], s[6:7], s[12:13]
.LBB369_4:
	s_andn2_b64 vcc, exec, s[6:7]
	s_cbranch_vccnz .LBB369_28
; %bb.5:
	s_load_dwordx2 s[12:13], s[0:1], 0x48
	s_mov_b32 s5, 0
	s_lshl_b64 s[6:7], s[4:5], 3
	v_cmp_eq_f32_e64 s[24:25], s19, 0
	v_and_b32_e32 v13, 0x3ff, v0
	s_waitcnt lgkmcnt(0)
	s_add_u32 s12, s12, s6
	s_addc_u32 s13, s13, s7
	s_lshl_b32 s4, s2, 5
	s_lshl_b32 s22, s3, 5
	v_cmp_eq_f32_e64 s[2:3], s18, 0
	s_load_dwordx2 s[12:13], s[12:13], 0x0
	s_and_b64 s[2:3], s[2:3], s[24:25]
	s_cmp_lt_i32 s21, 1
	s_cselect_b64 s[24:25], -1, 0
	s_or_b64 s[2:3], s[2:3], s[24:25]
	v_bfe_u32 v15, v0, 10, 10
	v_mov_b32_e32 v24, 0
	s_and_b64 vcc, exec, s[2:3]
	v_mov_b32_e32 v26, 0
	v_mov_b32_e32 v20, 0
	;; [unrolled: 1-line block ×7, first 2 shown]
	s_cbranch_vccnz .LBB369_12
; %bb.6:
	s_load_dword s28, s[0:1], 0x18
	s_load_dwordx4 s[24:27], s[0:1], 0x20
	s_load_dword s23, s[0:1], 0x30
	v_lshl_add_u32 v0, v15, 4, v13
	v_lshrrev_b32_e32 v19, 5, v0
	v_and_b32_e32 v4, 31, v0
	s_waitcnt lgkmcnt(0)
	s_ashr_i32 s29, s28, 31
	s_add_u32 s2, s26, s6
	s_addc_u32 s3, s27, s7
	s_load_dwordx2 s[26:27], s[2:3], 0x0
	s_add_u32 s2, s14, s6
	s_addc_u32 s3, s15, s7
	s_load_dwordx2 s[6:7], s[2:3], 0x0
	v_lshrrev_b32_e32 v1, 3, v0
	v_or_b32_e32 v0, s4, v4
	v_mad_i64_i32 v[2:3], s[14:15], v19, s28, 0
	v_cmp_gt_i32_e32 vcc, s20, v0
	v_lshlrev_b32_e32 v0, 3, v4
	s_lshl_b64 s[14:15], s[24:25], 3
	v_add_u32_e32 v4, s4, v4
	v_and_b32_e32 v17, 7, v13
	v_lshl_add_u64 v[2:3], v[2:3], 3, s[14:15]
	v_ashrrev_i32_e32 v5, 31, v4
	v_add_u32_e32 v6, s22, v1
	v_lshl_or_b32 v21, v19, 8, v0
	v_lshlrev_b32_e32 v0, 3, v17
	v_lshl_add_u64 v[2:3], v[4:5], 3, v[2:3]
	v_lshl_or_b32 v1, v1, 6, v0
	s_waitcnt lgkmcnt(0)
	v_lshl_add_u64 v[8:9], s[6:7], 0, v[2:3]
	v_mad_i64_i32 v[2:3], s[6:7], s23, v6, 0
	v_add_u32_e32 v23, 0x800, v1
	v_mov_b32_e32 v1, 0x800
	s_lshl_b64 s[6:7], s[8:9], 3
	v_lshl_add_u32 v27, v15, 6, v1
	v_lshl_add_u64 v[2:3], v[2:3], 3, s[6:7]
	v_mov_b32_e32 v1, 0
	v_lshl_add_u64 v[2:3], v[2:3], 0, v[0:1]
	v_cmp_gt_i32_e64 s[2:3], s20, v6
	v_lshlrev_b32_e32 v25, 3, v13
	s_lshl_b64 s[14:15], s[28:29], 6
	v_lshl_add_u64 v[10:11], s[26:27], 0, v[2:3]
	v_mov_b32_e32 v14, v1
	v_mov_b32_e32 v12, v1
	;; [unrolled: 1-line block ×8, first 2 shown]
	s_branch .LBB369_8
.LBB369_7:                              ;   in Loop: Header=BB369_8 Depth=1
	s_or_b64 exec, exec, s[6:7]
	s_waitcnt vmcnt(0) lgkmcnt(0)
	ds_write_b64 v23, v[0:1]
	s_waitcnt lgkmcnt(0)
	s_barrier
	ds_read2_b64 v[28:31], v25 offset1:16
	ds_read_b128 v[32:35], v27
	ds_read_b128 v[36:39], v27 offset:16
	ds_read_b128 v[4:7], v27 offset:32
	;; [unrolled: 1-line block ×3, first 2 shown]
	ds_read2_b64 v[48:51], v25 offset0:32 offset1:48
	s_waitcnt lgkmcnt(4)
	v_mul_f32_e32 v40, v33, v29
	v_fma_f32 v40, v32, v28, -v40
	v_mul_f32_e32 v41, v32, v29
	v_fmac_f32_e32 v41, v33, v28
	v_add_f32_e32 v24, v24, v40
	v_mul_f32_e32 v40, v33, v31
	v_add_f32_e32 v26, v26, v41
	v_fma_f32 v44, v32, v30, -v40
	ds_read_b128 v[40:43], v27 offset:1024
	v_mul_f32_e32 v32, v32, v31
	v_fmac_f32_e32 v32, v33, v30
	v_add_f32_e32 v20, v20, v44
	v_add_f32_e32 v22, v22, v32
	ds_read_b128 v[44:47], v27 offset:1040
	s_waitcnt lgkmcnt(1)
	v_mul_f32_e32 v32, v41, v29
	v_mul_f32_e32 v29, v40, v29
	v_fma_f32 v32, v40, v28, -v32
	v_fmac_f32_e32 v29, v41, v28
	v_mul_f32_e32 v28, v41, v31
	v_add_f32_e32 v18, v18, v29
	v_fma_f32 v28, v40, v30, -v28
	v_mul_f32_e32 v29, v40, v31
	v_fmac_f32_e32 v29, v41, v30
	v_add_f32_e32 v12, v12, v28
	v_mul_f32_e32 v28, v35, v49
	v_add_f32_e32 v14, v14, v29
	v_fma_f32 v28, v34, v48, -v28
	v_mul_f32_e32 v29, v34, v49
	v_fmac_f32_e32 v29, v35, v48
	v_add_f32_e32 v24, v24, v28
	;; [unrolled: 6-line block ×3, first 2 shown]
	v_mul_f32_e32 v28, v43, v49
	v_add_f32_e32 v16, v16, v32
	v_add_f32_e32 v22, v22, v29
	v_fma_f32 v28, v42, v48, -v28
	v_mul_f32_e32 v29, v42, v49
	v_fmac_f32_e32 v29, v43, v48
	v_add_f32_e32 v16, v16, v28
	v_mul_f32_e32 v28, v43, v51
	v_add_f32_e32 v18, v18, v29
	v_fma_f32 v32, v42, v50, -v28
	ds_read2_b64 v[28:31], v25 offset0:64 offset1:80
	v_mul_f32_e32 v33, v42, v51
	v_add_f32_e32 v12, v12, v32
	v_fmac_f32_e32 v33, v43, v50
	v_add_f32_e32 v14, v14, v33
	s_waitcnt lgkmcnt(0)
	v_mul_f32_e32 v32, v37, v29
	v_fma_f32 v32, v36, v28, -v32
	v_mul_f32_e32 v33, v36, v29
	v_add_f32_e32 v24, v24, v32
	v_mul_f32_e32 v32, v37, v31
	v_fmac_f32_e32 v33, v37, v28
	v_fma_f32 v32, v36, v30, -v32
	v_add_f32_e32 v26, v26, v33
	v_mul_f32_e32 v33, v36, v31
	v_add_f32_e32 v20, v20, v32
	v_mul_f32_e32 v32, v45, v29
	v_fmac_f32_e32 v33, v37, v30
	v_fma_f32 v32, v44, v28, -v32
	v_add_f32_e32 v22, v22, v33
	v_add_f32_e32 v16, v16, v32
	ds_read2_b64 v[32:35], v25 offset0:96 offset1:112
	v_mul_f32_e32 v29, v44, v29
	v_fmac_f32_e32 v29, v45, v28
	v_mul_f32_e32 v28, v45, v31
	v_add_f32_e32 v18, v18, v29
	v_fma_f32 v28, v44, v30, -v28
	v_mul_f32_e32 v29, v44, v31
	v_fmac_f32_e32 v29, v45, v30
	v_add_f32_e32 v12, v12, v28
	s_waitcnt lgkmcnt(0)
	v_mul_f32_e32 v28, v39, v33
	v_add_f32_e32 v14, v14, v29
	v_fma_f32 v28, v38, v32, -v28
	v_mul_f32_e32 v29, v38, v33
	v_fmac_f32_e32 v29, v39, v32
	v_add_f32_e32 v24, v24, v28
	v_mul_f32_e32 v28, v39, v35
	v_add_f32_e32 v26, v26, v29
	v_fma_f32 v28, v38, v34, -v28
	v_mul_f32_e32 v29, v38, v35
	v_fmac_f32_e32 v29, v39, v34
	v_add_f32_e32 v20, v20, v28
	;; [unrolled: 6-line block ×3, first 2 shown]
	v_mul_f32_e32 v28, v47, v35
	v_add_f32_e32 v18, v18, v29
	v_fma_f32 v32, v46, v34, -v28
	ds_read2_b64 v[28:31], v25 offset0:128 offset1:144
	v_mul_f32_e32 v33, v46, v35
	v_fmac_f32_e32 v33, v47, v34
	v_add_f32_e32 v12, v12, v32
	v_add_f32_e32 v14, v14, v33
	s_waitcnt lgkmcnt(0)
	v_mul_f32_e32 v32, v5, v29
	v_fma_f32 v32, v4, v28, -v32
	v_mul_f32_e32 v33, v4, v29
	v_fmac_f32_e32 v33, v5, v28
	v_add_f32_e32 v24, v24, v32
	v_mul_f32_e32 v32, v5, v31
	v_add_f32_e32 v26, v26, v33
	v_fma_f32 v36, v4, v30, -v32
	ds_read_b128 v[32:35], v27 offset:1056
	v_mul_f32_e32 v4, v4, v31
	ds_read2_b64 v[40:43], v25 offset0:160 offset1:176
	v_fmac_f32_e32 v4, v5, v30
	v_add_f32_e32 v5, v20, v36
	ds_read_b128 v[36:39], v27 offset:1072
	s_waitcnt lgkmcnt(2)
	v_mul_f32_e32 v20, v33, v29
	v_fma_f32 v20, v32, v28, -v20
	v_add_f32_e32 v16, v16, v20
	v_mul_f32_e32 v20, v33, v31
	v_add_f32_e32 v4, v22, v4
	v_mul_f32_e32 v22, v32, v29
	v_fma_f32 v20, v32, v30, -v20
	v_fmac_f32_e32 v22, v33, v28
	v_add_f32_e32 v12, v12, v20
	s_waitcnt lgkmcnt(1)
	v_mul_f32_e32 v20, v7, v41
	v_add_f32_e32 v18, v18, v22
	v_mul_f32_e32 v22, v32, v31
	v_fma_f32 v20, v6, v40, -v20
	v_fmac_f32_e32 v22, v33, v30
	v_add_f32_e32 v20, v24, v20
	v_mul_f32_e32 v24, v7, v43
	v_add_f32_e32 v14, v14, v22
	v_mul_f32_e32 v22, v6, v41
	v_fma_f32 v24, v6, v42, -v24
	v_mul_f32_e32 v6, v6, v43
	v_fmac_f32_e32 v22, v7, v40
	v_fmac_f32_e32 v6, v7, v42
	v_add_f32_e32 v22, v26, v22
	v_add_f32_e32 v26, v4, v6
	v_mul_f32_e32 v4, v35, v41
	v_add_f32_e32 v24, v5, v24
	v_fma_f32 v4, v34, v40, -v4
	v_mul_f32_e32 v5, v34, v41
	v_fmac_f32_e32 v5, v35, v40
	v_add_f32_e32 v16, v16, v4
	v_mul_f32_e32 v4, v35, v43
	v_add_f32_e32 v18, v18, v5
	v_fma_f32 v28, v34, v42, -v4
	ds_read2_b64 v[4:7], v25 offset0:192 offset1:208
	v_mul_f32_e32 v29, v34, v43
	v_add_f32_e32 v12, v12, v28
	v_fmac_f32_e32 v29, v35, v42
	v_add_f32_e32 v14, v14, v29
	s_waitcnt lgkmcnt(0)
	v_mul_f32_e32 v28, v1, v5
	v_fma_f32 v28, v0, v4, -v28
	v_mul_f32_e32 v29, v0, v5
	v_add_f32_e32 v20, v20, v28
	v_mul_f32_e32 v28, v1, v7
	v_fmac_f32_e32 v29, v1, v4
	v_fma_f32 v28, v0, v6, -v28
	v_mul_f32_e32 v0, v0, v7
	v_add_f32_e32 v22, v22, v29
	v_fmac_f32_e32 v0, v1, v6
	v_add_f32_e32 v1, v24, v28
	ds_read2_b64 v[28:31], v25 offset0:224 offset1:240
	v_mul_f32_e32 v24, v37, v5
	v_fma_f32 v24, v36, v4, -v24
	v_mul_f32_e32 v5, v36, v5
	v_fmac_f32_e32 v5, v37, v4
	v_add_f32_e32 v4, v16, v24
	v_mul_f32_e32 v16, v37, v7
	v_fma_f32 v16, v36, v6, -v16
	v_mul_f32_e32 v7, v36, v7
	v_fmac_f32_e32 v7, v37, v6
	v_add_f32_e32 v6, v12, v16
	s_waitcnt lgkmcnt(0)
	v_mul_f32_e32 v12, v3, v29
	v_fma_f32 v12, v2, v28, -v12
	v_add_f32_e32 v24, v20, v12
	v_mul_f32_e32 v12, v3, v31
	v_add_f32_e32 v7, v14, v7
	v_mul_f32_e32 v14, v2, v29
	v_fma_f32 v12, v2, v30, -v12
	v_mul_f32_e32 v2, v2, v31
	v_add_f32_e32 v0, v26, v0
	v_fmac_f32_e32 v14, v3, v28
	v_fmac_f32_e32 v2, v3, v30
	v_add_f32_e32 v26, v22, v14
	v_add_f32_e32 v20, v1, v12
	;; [unrolled: 1-line block ×3, first 2 shown]
	v_mul_f32_e32 v0, v39, v29
	v_mul_f32_e32 v1, v38, v29
	v_add_f32_e32 v5, v18, v5
	v_fma_f32 v0, v38, v28, -v0
	v_fmac_f32_e32 v1, v39, v28
	v_add_f32_e32 v16, v4, v0
	v_add_f32_e32 v18, v5, v1
	v_mul_f32_e32 v0, v39, v31
	v_mul_f32_e32 v1, v38, v31
	v_fma_f32 v0, v38, v30, -v0
	v_fmac_f32_e32 v1, v39, v30
	s_add_i32 s5, s5, 8
	v_add_f32_e32 v12, v6, v0
	v_add_f32_e32 v14, v7, v1
	v_lshl_add_u64 v[8:9], v[8:9], 0, s[14:15]
	s_cmp_lt_i32 s5, s21
	v_lshl_add_u64 v[10:11], v[10:11], 0, 64
	s_barrier
	s_cbranch_scc0 .LBB369_12
.LBB369_8:                              ; =>This Inner Loop Header: Depth=1
	v_add_u32_e32 v0, s5, v19
	v_cmp_gt_i32_e64 s[6:7], s21, v0
	s_and_b64 s[8:9], vcc, s[6:7]
	v_mov_b32_e32 v0, 0
	v_mov_b32_e32 v1, 0
	s_and_saveexec_b64 s[6:7], s[8:9]
	s_cbranch_execz .LBB369_10
; %bb.9:                                ;   in Loop: Header=BB369_8 Depth=1
	flat_load_dwordx2 v[0:1], v[8:9]
.LBB369_10:                             ;   in Loop: Header=BB369_8 Depth=1
	s_or_b64 exec, exec, s[6:7]
	s_waitcnt vmcnt(0) lgkmcnt(0)
	ds_write_b64 v21, v[0:1]
	v_add_u32_e32 v0, s5, v17
	v_cmp_gt_i32_e64 s[6:7], s21, v0
	s_and_b64 s[8:9], s[6:7], s[2:3]
	v_mov_b32_e32 v0, 0
	v_mov_b32_e32 v1, 0
	s_and_saveexec_b64 s[6:7], s[8:9]
	s_cbranch_execz .LBB369_7
; %bb.11:                               ;   in Loop: Header=BB369_8 Depth=1
	flat_load_dwordx2 v[0:1], v[10:11]
	s_branch .LBB369_7
.LBB369_12:
	s_load_dwordx2 s[2:3], s[0:1], 0x58
	s_load_dword s14, s[0:1], 0x50
	v_add_u32_e32 v0, s4, v13
	v_add_u32_e32 v10, s22, v15
	v_cmp_neq_f32_e64 s[0:1], s16, 0
	s_waitcnt lgkmcnt(0)
	s_lshl_b64 s[2:3], s[2:3], 3
	s_add_u32 s6, s12, s2
	s_addc_u32 s7, s13, s3
	s_xor_b64 s[4:5], s[10:11], -1
	v_mad_i64_i32 v[2:3], s[2:3], v10, s14, 0
	s_or_b64 s[0:1], s[0:1], s[4:5]
	v_lshl_add_u64 v[4:5], v[2:3], 3, s[6:7]
	v_cmp_le_i32_e32 vcc, v10, v0
	v_cmp_gt_i32_e64 s[2:3], s20, v0
	v_cndmask_b32_e64 v2, 0, 1, s[0:1]
	s_and_b64 s[8:9], vcc, s[2:3]
	v_ashrrev_i32_e32 v1, 31, v0
	v_cmp_ne_u32_e64 s[0:1], 1, v2
	s_and_saveexec_b64 s[4:5], s[8:9]
	s_cbranch_execz .LBB369_16
; %bb.13:
	v_pk_mul_f32 v[6:7], v[26:27], s[18:19] op_sel:[0,1] op_sel_hi:[0,0]
	v_pk_fma_f32 v[2:3], v[24:25], s[18:19], v[6:7] op_sel_hi:[0,1,1] neg_lo:[0,0,1] neg_hi:[0,0,1]
	v_pk_fma_f32 v[8:9], v[24:25], s[18:19], v[6:7] op_sel_hi:[0,1,1]
	s_and_b64 vcc, exec, s[0:1]
	v_lshl_add_u64 v[6:7], v[0:1], 3, v[4:5]
	s_cbranch_vccnz .LBB369_15
; %bb.14:
	flat_load_dwordx2 v[24:25], v[6:7]
	s_mov_b32 s8, s17
	v_mov_b32_e32 v3, v9
	s_waitcnt vmcnt(0) lgkmcnt(0)
	v_pk_mul_f32 v[8:9], v[24:25], s[8:9] op_sel:[1,0] op_sel_hi:[0,0]
	v_pk_fma_f32 v[26:27], v[24:25], s[16:17], v[8:9] neg_lo:[0,0,1] neg_hi:[0,0,1]
	v_pk_fma_f32 v[8:9], v[24:25], s[16:17], v[8:9] op_sel_hi:[1,0,1]
	s_nop 0
	v_mov_b32_e32 v27, v9
	v_pk_add_f32 v[2:3], v[2:3], v[26:27]
	s_nop 0
	v_mov_b32_e32 v9, v3
.LBB369_15:
	v_mov_b32_e32 v3, v9
	flat_store_dwordx2 v[6:7], v[2:3]
.LBB369_16:
	s_or_b64 exec, exec, s[4:5]
	v_add_u32_e32 v2, 16, v0
	v_cmp_le_i32_e32 vcc, v10, v2
	v_cmp_gt_i32_e64 s[4:5], s20, v2
	s_and_b64 s[10:11], vcc, s[4:5]
	v_ashrrev_i32_e32 v3, 31, v2
	s_and_saveexec_b64 s[8:9], s[10:11]
	s_cbranch_execz .LBB369_20
; %bb.17:
	v_pk_mul_f32 v[8:9], v[22:23], s[18:19] op_sel:[0,1] op_sel_hi:[0,0]
	v_pk_fma_f32 v[6:7], v[20:21], s[18:19], v[8:9] op_sel_hi:[0,1,1] neg_lo:[0,0,1] neg_hi:[0,0,1]
	v_pk_fma_f32 v[8:9], v[20:21], s[18:19], v[8:9] op_sel_hi:[0,1,1]
	s_and_b64 vcc, exec, s[0:1]
	v_lshl_add_u64 v[4:5], v[2:3], 3, v[4:5]
	s_cbranch_vccnz .LBB369_19
; %bb.18:
	flat_load_dwordx2 v[20:21], v[4:5]
	s_mov_b32 s10, s17
	v_mov_b32_e32 v7, v9
	s_waitcnt vmcnt(0) lgkmcnt(0)
	v_pk_mul_f32 v[8:9], v[20:21], s[10:11] op_sel:[1,0] op_sel_hi:[0,0]
	v_pk_fma_f32 v[22:23], v[20:21], s[16:17], v[8:9] neg_lo:[0,0,1] neg_hi:[0,0,1]
	v_pk_fma_f32 v[8:9], v[20:21], s[16:17], v[8:9] op_sel_hi:[1,0,1]
	s_nop 0
	v_mov_b32_e32 v23, v9
	v_pk_add_f32 v[6:7], v[6:7], v[22:23]
	s_nop 0
	v_mov_b32_e32 v9, v7
.LBB369_19:
	v_mov_b32_e32 v7, v9
	flat_store_dwordx2 v[4:5], v[6:7]
.LBB369_20:
	s_or_b64 exec, exec, s[8:9]
	v_add_u32_e32 v10, 16, v10
	v_mad_i64_i32 v[4:5], s[8:9], v10, s14, 0
	v_cmp_le_i32_e32 vcc, v10, v0
	v_lshl_add_u64 v[4:5], v[4:5], 3, s[6:7]
	s_and_b64 s[6:7], vcc, s[2:3]
	s_and_saveexec_b64 s[2:3], s[6:7]
	s_cbranch_execz .LBB369_24
; %bb.21:
	v_pk_mul_f32 v[8:9], v[18:19], s[18:19] op_sel:[0,1] op_sel_hi:[0,0]
	v_pk_fma_f32 v[6:7], v[16:17], s[18:19], v[8:9] op_sel_hi:[0,1,1] neg_lo:[0,0,1] neg_hi:[0,0,1]
	v_pk_fma_f32 v[8:9], v[16:17], s[18:19], v[8:9] op_sel_hi:[0,1,1]
	s_and_b64 vcc, exec, s[0:1]
	v_lshl_add_u64 v[0:1], v[0:1], 3, v[4:5]
	s_cbranch_vccnz .LBB369_23
; %bb.22:
	flat_load_dwordx2 v[16:17], v[0:1]
	s_mov_b32 s6, s17
	v_mov_b32_e32 v7, v9
	s_waitcnt vmcnt(0) lgkmcnt(0)
	v_pk_mul_f32 v[8:9], v[16:17], s[6:7] op_sel:[1,0] op_sel_hi:[0,0]
	v_pk_fma_f32 v[18:19], v[16:17], s[16:17], v[8:9] neg_lo:[0,0,1] neg_hi:[0,0,1]
	v_pk_fma_f32 v[8:9], v[16:17], s[16:17], v[8:9] op_sel_hi:[1,0,1]
	s_nop 0
	v_mov_b32_e32 v19, v9
	v_pk_add_f32 v[6:7], v[6:7], v[18:19]
	s_nop 0
	v_mov_b32_e32 v9, v7
.LBB369_23:
	v_mov_b32_e32 v7, v9
	flat_store_dwordx2 v[0:1], v[6:7]
.LBB369_24:
	s_or_b64 exec, exec, s[2:3]
	v_cmp_le_i32_e32 vcc, v10, v2
	s_and_b64 s[2:3], vcc, s[4:5]
	s_and_saveexec_b64 s[4:5], s[2:3]
	s_cbranch_execz .LBB369_28
; %bb.25:
	v_pk_mul_f32 v[6:7], v[14:15], s[18:19] op_sel:[0,1] op_sel_hi:[0,0]
	v_pk_fma_f32 v[0:1], v[12:13], s[18:19], v[6:7] op_sel_hi:[0,1,1] neg_lo:[0,0,1] neg_hi:[0,0,1]
	v_pk_fma_f32 v[6:7], v[12:13], s[18:19], v[6:7] op_sel_hi:[0,1,1]
	s_and_b64 vcc, exec, s[0:1]
	v_lshl_add_u64 v[2:3], v[2:3], 3, v[4:5]
	s_cbranch_vccnz .LBB369_27
; %bb.26:
	flat_load_dwordx2 v[4:5], v[2:3]
	s_mov_b32 s0, s17
	v_mov_b32_e32 v1, v7
	s_waitcnt vmcnt(0) lgkmcnt(0)
	v_pk_mul_f32 v[6:7], v[4:5], s[0:1] op_sel:[1,0] op_sel_hi:[0,0]
	v_pk_fma_f32 v[8:9], v[4:5], s[16:17], v[6:7] neg_lo:[0,0,1] neg_hi:[0,0,1]
	v_pk_fma_f32 v[4:5], v[4:5], s[16:17], v[6:7] op_sel_hi:[1,0,1]
	s_nop 0
	v_mov_b32_e32 v9, v5
	v_pk_add_f32 v[0:1], v[0:1], v[8:9]
	s_nop 0
	v_mov_b32_e32 v7, v1
.LBB369_27:
	v_mov_b32_e32 v1, v7
	flat_store_dwordx2 v[2:3], v[0:1]
.LBB369_28:
	s_endpgm
	.section	.rodata,"a",@progbits
	.p2align	6, 0x0
	.amdhsa_kernel _ZL29rocblas_internal_gemmt_kernelIiLi16ELi32ELi8ELc78ELc78ELc76ELb0ELb0E19rocblas_complex_numIfEPKS1_PKS3_PKPS1_EviT_T9_T10_S9_lSB_S9_lSA_T11_S9_li
		.amdhsa_group_segment_fixed_size 4096
		.amdhsa_private_segment_fixed_size 0
		.amdhsa_kernarg_size 100
		.amdhsa_user_sgpr_count 2
		.amdhsa_user_sgpr_dispatch_ptr 0
		.amdhsa_user_sgpr_queue_ptr 0
		.amdhsa_user_sgpr_kernarg_segment_ptr 1
		.amdhsa_user_sgpr_dispatch_id 0
		.amdhsa_user_sgpr_kernarg_preload_length 0
		.amdhsa_user_sgpr_kernarg_preload_offset 0
		.amdhsa_user_sgpr_private_segment_size 0
		.amdhsa_uses_dynamic_stack 0
		.amdhsa_enable_private_segment 0
		.amdhsa_system_sgpr_workgroup_id_x 1
		.amdhsa_system_sgpr_workgroup_id_y 1
		.amdhsa_system_sgpr_workgroup_id_z 1
		.amdhsa_system_sgpr_workgroup_info 0
		.amdhsa_system_vgpr_workitem_id 1
		.amdhsa_next_free_vgpr 52
		.amdhsa_next_free_sgpr 30
		.amdhsa_accum_offset 52
		.amdhsa_reserve_vcc 1
		.amdhsa_float_round_mode_32 0
		.amdhsa_float_round_mode_16_64 0
		.amdhsa_float_denorm_mode_32 3
		.amdhsa_float_denorm_mode_16_64 3
		.amdhsa_dx10_clamp 1
		.amdhsa_ieee_mode 1
		.amdhsa_fp16_overflow 0
		.amdhsa_tg_split 0
		.amdhsa_exception_fp_ieee_invalid_op 0
		.amdhsa_exception_fp_denorm_src 0
		.amdhsa_exception_fp_ieee_div_zero 0
		.amdhsa_exception_fp_ieee_overflow 0
		.amdhsa_exception_fp_ieee_underflow 0
		.amdhsa_exception_fp_ieee_inexact 0
		.amdhsa_exception_int_div_zero 0
	.end_amdhsa_kernel
	.section	.text._ZL29rocblas_internal_gemmt_kernelIiLi16ELi32ELi8ELc78ELc78ELc76ELb0ELb0E19rocblas_complex_numIfEPKS1_PKS3_PKPS1_EviT_T9_T10_S9_lSB_S9_lSA_T11_S9_li,"axG",@progbits,_ZL29rocblas_internal_gemmt_kernelIiLi16ELi32ELi8ELc78ELc78ELc76ELb0ELb0E19rocblas_complex_numIfEPKS1_PKS3_PKPS1_EviT_T9_T10_S9_lSB_S9_lSA_T11_S9_li,comdat
.Lfunc_end369:
	.size	_ZL29rocblas_internal_gemmt_kernelIiLi16ELi32ELi8ELc78ELc78ELc76ELb0ELb0E19rocblas_complex_numIfEPKS1_PKS3_PKPS1_EviT_T9_T10_S9_lSB_S9_lSA_T11_S9_li, .Lfunc_end369-_ZL29rocblas_internal_gemmt_kernelIiLi16ELi32ELi8ELc78ELc78ELc76ELb0ELb0E19rocblas_complex_numIfEPKS1_PKS3_PKPS1_EviT_T9_T10_S9_lSB_S9_lSA_T11_S9_li
                                        ; -- End function
	.set _ZL29rocblas_internal_gemmt_kernelIiLi16ELi32ELi8ELc78ELc78ELc76ELb0ELb0E19rocblas_complex_numIfEPKS1_PKS3_PKPS1_EviT_T9_T10_S9_lSB_S9_lSA_T11_S9_li.num_vgpr, 52
	.set _ZL29rocblas_internal_gemmt_kernelIiLi16ELi32ELi8ELc78ELc78ELc76ELb0ELb0E19rocblas_complex_numIfEPKS1_PKS3_PKPS1_EviT_T9_T10_S9_lSB_S9_lSA_T11_S9_li.num_agpr, 0
	.set _ZL29rocblas_internal_gemmt_kernelIiLi16ELi32ELi8ELc78ELc78ELc76ELb0ELb0E19rocblas_complex_numIfEPKS1_PKS3_PKPS1_EviT_T9_T10_S9_lSB_S9_lSA_T11_S9_li.numbered_sgpr, 30
	.set _ZL29rocblas_internal_gemmt_kernelIiLi16ELi32ELi8ELc78ELc78ELc76ELb0ELb0E19rocblas_complex_numIfEPKS1_PKS3_PKPS1_EviT_T9_T10_S9_lSB_S9_lSA_T11_S9_li.num_named_barrier, 0
	.set _ZL29rocblas_internal_gemmt_kernelIiLi16ELi32ELi8ELc78ELc78ELc76ELb0ELb0E19rocblas_complex_numIfEPKS1_PKS3_PKPS1_EviT_T9_T10_S9_lSB_S9_lSA_T11_S9_li.private_seg_size, 0
	.set _ZL29rocblas_internal_gemmt_kernelIiLi16ELi32ELi8ELc78ELc78ELc76ELb0ELb0E19rocblas_complex_numIfEPKS1_PKS3_PKPS1_EviT_T9_T10_S9_lSB_S9_lSA_T11_S9_li.uses_vcc, 1
	.set _ZL29rocblas_internal_gemmt_kernelIiLi16ELi32ELi8ELc78ELc78ELc76ELb0ELb0E19rocblas_complex_numIfEPKS1_PKS3_PKPS1_EviT_T9_T10_S9_lSB_S9_lSA_T11_S9_li.uses_flat_scratch, 0
	.set _ZL29rocblas_internal_gemmt_kernelIiLi16ELi32ELi8ELc78ELc78ELc76ELb0ELb0E19rocblas_complex_numIfEPKS1_PKS3_PKPS1_EviT_T9_T10_S9_lSB_S9_lSA_T11_S9_li.has_dyn_sized_stack, 0
	.set _ZL29rocblas_internal_gemmt_kernelIiLi16ELi32ELi8ELc78ELc78ELc76ELb0ELb0E19rocblas_complex_numIfEPKS1_PKS3_PKPS1_EviT_T9_T10_S9_lSB_S9_lSA_T11_S9_li.has_recursion, 0
	.set _ZL29rocblas_internal_gemmt_kernelIiLi16ELi32ELi8ELc78ELc78ELc76ELb0ELb0E19rocblas_complex_numIfEPKS1_PKS3_PKPS1_EviT_T9_T10_S9_lSB_S9_lSA_T11_S9_li.has_indirect_call, 0
	.section	.AMDGPU.csdata,"",@progbits
; Kernel info:
; codeLenInByte = 2472
; TotalNumSgprs: 36
; NumVgprs: 52
; NumAgprs: 0
; TotalNumVgprs: 52
; ScratchSize: 0
; MemoryBound: 0
; FloatMode: 240
; IeeeMode: 1
; LDSByteSize: 4096 bytes/workgroup (compile time only)
; SGPRBlocks: 4
; VGPRBlocks: 6
; NumSGPRsForWavesPerEU: 36
; NumVGPRsForWavesPerEU: 52
; AccumOffset: 52
; Occupancy: 8
; WaveLimiterHint : 1
; COMPUTE_PGM_RSRC2:SCRATCH_EN: 0
; COMPUTE_PGM_RSRC2:USER_SGPR: 2
; COMPUTE_PGM_RSRC2:TRAP_HANDLER: 0
; COMPUTE_PGM_RSRC2:TGID_X_EN: 1
; COMPUTE_PGM_RSRC2:TGID_Y_EN: 1
; COMPUTE_PGM_RSRC2:TGID_Z_EN: 1
; COMPUTE_PGM_RSRC2:TIDIG_COMP_CNT: 1
; COMPUTE_PGM_RSRC3_GFX90A:ACCUM_OFFSET: 12
; COMPUTE_PGM_RSRC3_GFX90A:TG_SPLIT: 0
	.section	.text._ZL29rocblas_internal_gemmt_kernelIiLi16ELi32ELi8ELc78ELc84ELc76ELb0ELb0E19rocblas_complex_numIfEPKS1_PKS3_PKPS1_EviT_T9_T10_S9_lSB_S9_lSA_T11_S9_li,"axG",@progbits,_ZL29rocblas_internal_gemmt_kernelIiLi16ELi32ELi8ELc78ELc84ELc76ELb0ELb0E19rocblas_complex_numIfEPKS1_PKS3_PKPS1_EviT_T9_T10_S9_lSB_S9_lSA_T11_S9_li,comdat
	.globl	_ZL29rocblas_internal_gemmt_kernelIiLi16ELi32ELi8ELc78ELc84ELc76ELb0ELb0E19rocblas_complex_numIfEPKS1_PKS3_PKPS1_EviT_T9_T10_S9_lSB_S9_lSA_T11_S9_li ; -- Begin function _ZL29rocblas_internal_gemmt_kernelIiLi16ELi32ELi8ELc78ELc84ELc76ELb0ELb0E19rocblas_complex_numIfEPKS1_PKS3_PKPS1_EviT_T9_T10_S9_lSB_S9_lSA_T11_S9_li
	.p2align	8
	.type	_ZL29rocblas_internal_gemmt_kernelIiLi16ELi32ELi8ELc78ELc84ELc76ELb0ELb0E19rocblas_complex_numIfEPKS1_PKS3_PKPS1_EviT_T9_T10_S9_lSB_S9_lSA_T11_S9_li,@function
_ZL29rocblas_internal_gemmt_kernelIiLi16ELi32ELi8ELc78ELc84ELc76ELb0ELb0E19rocblas_complex_numIfEPKS1_PKS3_PKPS1_EviT_T9_T10_S9_lSB_S9_lSA_T11_S9_li: ; @_ZL29rocblas_internal_gemmt_kernelIiLi16ELi32ELi8ELc78ELc84ELc76ELb0ELb0E19rocblas_complex_numIfEPKS1_PKS3_PKPS1_EviT_T9_T10_S9_lSB_S9_lSA_T11_S9_li
; %bb.0:
	s_load_dwordx4 s[8:11], s[0:1], 0x38
	s_load_dwordx4 s[12:15], s[0:1], 0x8
	s_waitcnt lgkmcnt(0)
	s_load_dwordx2 s[16:17], s[10:11], 0x0
	s_load_dwordx2 s[20:21], s[0:1], 0x0
	;; [unrolled: 1-line block ×3, first 2 shown]
	s_waitcnt lgkmcnt(0)
	s_and_b32 s5, s17, 0x7fffffff
	s_cmp_eq_u32 s5, 0
	v_cmp_eq_f32_e64 s[6:7], s16, 1.0
	s_cselect_b64 s[10:11], -1, 0
	s_and_b64 s[6:7], s[6:7], s[10:11]
	s_and_b64 vcc, exec, s[6:7]
	s_cbranch_vccnz .LBB370_2
; %bb.1:
	s_mov_b64 s[6:7], -1
	s_cbranch_execz .LBB370_3
	s_branch .LBB370_4
.LBB370_2:
	s_mov_b64 s[6:7], 0
.LBB370_3:
	s_cmp_lg_u32 s21, 0
	v_cmp_neq_f32_e64 s[12:13], s18, 0
	v_cmp_neq_f32_e64 s[22:23], s19, 0
	s_cselect_b64 s[6:7], -1, 0
	s_or_b64 s[12:13], s[12:13], s[22:23]
	s_and_b64 s[6:7], s[6:7], s[12:13]
.LBB370_4:
	s_andn2_b64 vcc, exec, s[6:7]
	s_cbranch_vccnz .LBB370_28
; %bb.5:
	s_load_dwordx2 s[12:13], s[0:1], 0x48
	s_mov_b32 s5, 0
	s_lshl_b64 s[6:7], s[4:5], 3
	v_cmp_eq_f32_e64 s[24:25], s19, 0
	v_and_b32_e32 v13, 0x3ff, v0
	s_waitcnt lgkmcnt(0)
	s_add_u32 s12, s12, s6
	s_addc_u32 s13, s13, s7
	s_lshl_b32 s4, s2, 5
	s_lshl_b32 s22, s3, 5
	v_cmp_eq_f32_e64 s[2:3], s18, 0
	s_load_dwordx2 s[12:13], s[12:13], 0x0
	s_and_b64 s[2:3], s[2:3], s[24:25]
	s_cmp_lt_i32 s21, 1
	s_cselect_b64 s[24:25], -1, 0
	s_or_b64 s[2:3], s[2:3], s[24:25]
	v_bfe_u32 v15, v0, 10, 10
	v_mov_b32_e32 v24, 0
	s_and_b64 vcc, exec, s[2:3]
	v_mov_b32_e32 v26, 0
	v_mov_b32_e32 v20, 0
	;; [unrolled: 1-line block ×7, first 2 shown]
	s_cbranch_vccnz .LBB370_12
; %bb.6:
	s_load_dword s28, s[0:1], 0x18
	s_load_dwordx4 s[24:27], s[0:1], 0x20
	s_load_dword s30, s[0:1], 0x30
	v_lshl_add_u32 v1, v15, 4, v13
	v_and_b32_e32 v4, 31, v1
	s_waitcnt lgkmcnt(0)
	s_ashr_i32 s29, s28, 31
	v_lshrrev_b32_e32 v19, 5, v1
	s_ashr_i32 s31, s30, 31
	s_add_u32 s2, s26, s6
	v_lshrrev_b32_e32 v2, 3, v1
	v_or_b32_e32 v1, s4, v4
	s_addc_u32 s3, s27, s7
	v_and_b32_e32 v17, 7, v13
	s_load_dwordx2 s[26:27], s[2:3], 0x0
	s_add_u32 s2, s14, s6
	v_cmp_gt_i32_e32 vcc, s20, v1
	v_lshlrev_b32_e32 v1, 3, v4
	s_addc_u32 s3, s15, s7
	v_lshl_or_b32 v21, v19, 8, v1
	v_lshlrev_b32_e32 v1, 3, v17
	v_add_u32_e32 v0, s22, v2
	s_load_dwordx2 s[6:7], s[2:3], 0x0
	v_lshl_or_b32 v1, v2, 6, v1
	v_mov_b32_e32 v2, 0x800
	v_lshl_add_u32 v27, v15, 6, v2
	v_mad_i64_i32 v[2:3], s[14:15], v19, s28, 0
	s_lshl_b64 s[14:15], s[24:25], 3
	v_add_u32_e32 v4, s4, v4
	v_lshl_add_u64 v[2:3], v[2:3], 3, s[14:15]
	v_ashrrev_i32_e32 v5, 31, v4
	v_lshl_add_u64 v[2:3], v[4:5], 3, v[2:3]
	s_waitcnt lgkmcnt(0)
	v_lshl_add_u64 v[8:9], s[6:7], 0, v[2:3]
	v_mad_i64_i32 v[2:3], s[6:7], s30, v17, 0
	s_lshl_b64 s[6:7], s[8:9], 3
	v_add_u32_e32 v23, 0x800, v1
	v_ashrrev_i32_e32 v1, 31, v0
	v_lshl_add_u64 v[2:3], v[2:3], 3, s[6:7]
	v_cmp_gt_i32_e64 s[2:3], s20, v0
	v_lshl_add_u64 v[0:1], v[0:1], 3, v[2:3]
	v_lshlrev_b32_e32 v25, 3, v13
	s_lshl_b64 s[14:15], s[28:29], 6
	v_lshl_add_u64 v[10:11], s[26:27], 0, v[0:1]
	s_lshl_b64 s[8:9], s[30:31], 6
	v_mov_b32_e32 v12, 0
	v_mov_b32_e32 v14, 0
	v_mov_b32_e32 v18, 0
	v_mov_b32_e32 v16, 0
	v_mov_b32_e32 v22, 0
	v_mov_b32_e32 v20, 0
	v_mov_b32_e32 v26, 0
	v_mov_b32_e32 v24, 0
	s_branch .LBB370_8
.LBB370_7:                              ;   in Loop: Header=BB370_8 Depth=1
	s_or_b64 exec, exec, s[6:7]
	s_waitcnt vmcnt(0) lgkmcnt(0)
	ds_write_b64 v23, v[0:1]
	s_waitcnt lgkmcnt(0)
	s_barrier
	ds_read2_b64 v[28:31], v25 offset1:16
	ds_read_b128 v[32:35], v27
	ds_read_b128 v[36:39], v27 offset:16
	ds_read_b128 v[4:7], v27 offset:32
	;; [unrolled: 1-line block ×3, first 2 shown]
	ds_read2_b64 v[48:51], v25 offset0:32 offset1:48
	s_waitcnt lgkmcnt(4)
	v_mul_f32_e32 v40, v33, v29
	v_fma_f32 v40, v32, v28, -v40
	v_mul_f32_e32 v41, v32, v29
	v_fmac_f32_e32 v41, v33, v28
	v_add_f32_e32 v24, v24, v40
	v_mul_f32_e32 v40, v33, v31
	v_add_f32_e32 v26, v26, v41
	v_fma_f32 v44, v32, v30, -v40
	ds_read_b128 v[40:43], v27 offset:1024
	v_mul_f32_e32 v32, v32, v31
	v_fmac_f32_e32 v32, v33, v30
	v_add_f32_e32 v20, v20, v44
	v_add_f32_e32 v22, v22, v32
	ds_read_b128 v[44:47], v27 offset:1040
	s_waitcnt lgkmcnt(1)
	v_mul_f32_e32 v32, v41, v29
	v_mul_f32_e32 v29, v40, v29
	v_fma_f32 v32, v40, v28, -v32
	v_fmac_f32_e32 v29, v41, v28
	v_mul_f32_e32 v28, v41, v31
	v_add_f32_e32 v18, v18, v29
	v_fma_f32 v28, v40, v30, -v28
	v_mul_f32_e32 v29, v40, v31
	v_fmac_f32_e32 v29, v41, v30
	v_add_f32_e32 v14, v14, v28
	v_mul_f32_e32 v28, v35, v49
	v_add_f32_e32 v12, v12, v29
	v_fma_f32 v28, v34, v48, -v28
	v_mul_f32_e32 v29, v34, v49
	v_fmac_f32_e32 v29, v35, v48
	v_add_f32_e32 v24, v24, v28
	;; [unrolled: 6-line block ×3, first 2 shown]
	v_mul_f32_e32 v28, v43, v49
	v_add_f32_e32 v16, v16, v32
	v_add_f32_e32 v22, v22, v29
	v_fma_f32 v28, v42, v48, -v28
	v_mul_f32_e32 v29, v42, v49
	v_fmac_f32_e32 v29, v43, v48
	v_add_f32_e32 v16, v16, v28
	v_mul_f32_e32 v28, v43, v51
	v_add_f32_e32 v18, v18, v29
	v_fma_f32 v32, v42, v50, -v28
	ds_read2_b64 v[28:31], v25 offset0:64 offset1:80
	v_mul_f32_e32 v33, v42, v51
	v_add_f32_e32 v14, v14, v32
	v_fmac_f32_e32 v33, v43, v50
	v_add_f32_e32 v12, v12, v33
	s_waitcnt lgkmcnt(0)
	v_mul_f32_e32 v32, v37, v29
	v_fma_f32 v32, v36, v28, -v32
	v_mul_f32_e32 v33, v36, v29
	v_add_f32_e32 v24, v24, v32
	v_mul_f32_e32 v32, v37, v31
	v_fmac_f32_e32 v33, v37, v28
	v_fma_f32 v32, v36, v30, -v32
	v_add_f32_e32 v26, v26, v33
	v_mul_f32_e32 v33, v36, v31
	v_add_f32_e32 v20, v20, v32
	v_mul_f32_e32 v32, v45, v29
	v_fmac_f32_e32 v33, v37, v30
	v_fma_f32 v32, v44, v28, -v32
	v_add_f32_e32 v22, v22, v33
	v_add_f32_e32 v16, v16, v32
	ds_read2_b64 v[32:35], v25 offset0:96 offset1:112
	v_mul_f32_e32 v29, v44, v29
	v_fmac_f32_e32 v29, v45, v28
	v_mul_f32_e32 v28, v45, v31
	v_add_f32_e32 v18, v18, v29
	v_fma_f32 v28, v44, v30, -v28
	v_mul_f32_e32 v29, v44, v31
	v_fmac_f32_e32 v29, v45, v30
	v_add_f32_e32 v14, v14, v28
	s_waitcnt lgkmcnt(0)
	v_mul_f32_e32 v28, v39, v33
	v_add_f32_e32 v12, v12, v29
	v_fma_f32 v28, v38, v32, -v28
	v_mul_f32_e32 v29, v38, v33
	v_fmac_f32_e32 v29, v39, v32
	v_add_f32_e32 v24, v24, v28
	v_mul_f32_e32 v28, v39, v35
	v_add_f32_e32 v26, v26, v29
	v_fma_f32 v28, v38, v34, -v28
	v_mul_f32_e32 v29, v38, v35
	v_fmac_f32_e32 v29, v39, v34
	v_add_f32_e32 v20, v20, v28
	;; [unrolled: 6-line block ×3, first 2 shown]
	v_mul_f32_e32 v28, v47, v35
	v_add_f32_e32 v18, v18, v29
	v_fma_f32 v32, v46, v34, -v28
	ds_read2_b64 v[28:31], v25 offset0:128 offset1:144
	v_mul_f32_e32 v33, v46, v35
	v_fmac_f32_e32 v33, v47, v34
	v_add_f32_e32 v14, v14, v32
	v_add_f32_e32 v12, v12, v33
	s_waitcnt lgkmcnt(0)
	v_mul_f32_e32 v32, v5, v29
	v_fma_f32 v32, v4, v28, -v32
	v_mul_f32_e32 v33, v4, v29
	v_fmac_f32_e32 v33, v5, v28
	v_add_f32_e32 v24, v24, v32
	v_mul_f32_e32 v32, v5, v31
	v_add_f32_e32 v26, v26, v33
	v_fma_f32 v36, v4, v30, -v32
	ds_read_b128 v[32:35], v27 offset:1056
	v_mul_f32_e32 v4, v4, v31
	ds_read2_b64 v[40:43], v25 offset0:160 offset1:176
	v_fmac_f32_e32 v4, v5, v30
	v_add_f32_e32 v5, v20, v36
	ds_read_b128 v[36:39], v27 offset:1072
	s_waitcnt lgkmcnt(2)
	v_mul_f32_e32 v20, v33, v29
	v_fma_f32 v20, v32, v28, -v20
	v_add_f32_e32 v16, v16, v20
	v_mul_f32_e32 v20, v33, v31
	v_add_f32_e32 v4, v22, v4
	v_mul_f32_e32 v22, v32, v29
	v_fma_f32 v20, v32, v30, -v20
	v_fmac_f32_e32 v22, v33, v28
	v_add_f32_e32 v14, v14, v20
	s_waitcnt lgkmcnt(1)
	v_mul_f32_e32 v20, v7, v41
	v_add_f32_e32 v18, v18, v22
	v_mul_f32_e32 v22, v32, v31
	v_fma_f32 v20, v6, v40, -v20
	v_fmac_f32_e32 v22, v33, v30
	v_add_f32_e32 v20, v24, v20
	v_mul_f32_e32 v24, v7, v43
	v_add_f32_e32 v12, v12, v22
	v_mul_f32_e32 v22, v6, v41
	v_fma_f32 v24, v6, v42, -v24
	v_mul_f32_e32 v6, v6, v43
	v_fmac_f32_e32 v22, v7, v40
	v_fmac_f32_e32 v6, v7, v42
	v_add_f32_e32 v22, v26, v22
	v_add_f32_e32 v26, v4, v6
	v_mul_f32_e32 v4, v35, v41
	v_add_f32_e32 v24, v5, v24
	v_fma_f32 v4, v34, v40, -v4
	v_mul_f32_e32 v5, v34, v41
	v_fmac_f32_e32 v5, v35, v40
	v_add_f32_e32 v16, v16, v4
	v_mul_f32_e32 v4, v35, v43
	v_add_f32_e32 v18, v18, v5
	v_fma_f32 v28, v34, v42, -v4
	ds_read2_b64 v[4:7], v25 offset0:192 offset1:208
	v_mul_f32_e32 v29, v34, v43
	v_add_f32_e32 v14, v14, v28
	v_fmac_f32_e32 v29, v35, v42
	v_add_f32_e32 v12, v12, v29
	s_waitcnt lgkmcnt(0)
	v_mul_f32_e32 v28, v1, v5
	v_fma_f32 v28, v0, v4, -v28
	v_mul_f32_e32 v29, v0, v5
	v_add_f32_e32 v20, v20, v28
	v_mul_f32_e32 v28, v1, v7
	v_fmac_f32_e32 v29, v1, v4
	v_fma_f32 v28, v0, v6, -v28
	v_mul_f32_e32 v0, v0, v7
	v_add_f32_e32 v22, v22, v29
	v_fmac_f32_e32 v0, v1, v6
	v_add_f32_e32 v1, v24, v28
	ds_read2_b64 v[28:31], v25 offset0:224 offset1:240
	v_mul_f32_e32 v24, v37, v5
	v_fma_f32 v24, v36, v4, -v24
	v_mul_f32_e32 v5, v36, v5
	v_fmac_f32_e32 v5, v37, v4
	v_add_f32_e32 v4, v16, v24
	v_mul_f32_e32 v16, v37, v7
	v_mul_f32_e32 v7, v36, v7
	v_fmac_f32_e32 v7, v37, v6
	v_add_f32_e32 v7, v12, v7
	s_waitcnt lgkmcnt(0)
	v_mul_f32_e32 v12, v3, v29
	v_fma_f32 v12, v2, v28, -v12
	v_fma_f32 v16, v36, v6, -v16
	v_add_f32_e32 v24, v20, v12
	v_mul_f32_e32 v12, v3, v31
	v_add_f32_e32 v6, v14, v16
	v_mul_f32_e32 v14, v2, v29
	v_fma_f32 v12, v2, v30, -v12
	v_mul_f32_e32 v2, v2, v31
	v_add_f32_e32 v0, v26, v0
	v_fmac_f32_e32 v14, v3, v28
	v_fmac_f32_e32 v2, v3, v30
	v_add_f32_e32 v26, v22, v14
	v_add_f32_e32 v20, v1, v12
	;; [unrolled: 1-line block ×3, first 2 shown]
	v_mul_f32_e32 v0, v39, v29
	v_mul_f32_e32 v1, v38, v29
	v_add_f32_e32 v5, v18, v5
	v_fma_f32 v0, v38, v28, -v0
	v_fmac_f32_e32 v1, v39, v28
	v_add_f32_e32 v16, v4, v0
	v_add_f32_e32 v18, v5, v1
	v_mul_f32_e32 v0, v39, v31
	v_mul_f32_e32 v1, v38, v31
	v_fma_f32 v0, v38, v30, -v0
	v_fmac_f32_e32 v1, v39, v30
	s_add_i32 s5, s5, 8
	v_add_f32_e32 v14, v6, v0
	v_add_f32_e32 v12, v7, v1
	v_lshl_add_u64 v[8:9], v[8:9], 0, s[14:15]
	s_cmp_lt_i32 s5, s21
	v_lshl_add_u64 v[10:11], v[10:11], 0, s[8:9]
	s_barrier
	s_cbranch_scc0 .LBB370_12
.LBB370_8:                              ; =>This Inner Loop Header: Depth=1
	v_add_u32_e32 v0, s5, v19
	v_cmp_gt_i32_e64 s[6:7], s21, v0
	s_and_b64 s[24:25], vcc, s[6:7]
	v_mov_b32_e32 v0, 0
	v_mov_b32_e32 v1, 0
	s_and_saveexec_b64 s[6:7], s[24:25]
	s_cbranch_execz .LBB370_10
; %bb.9:                                ;   in Loop: Header=BB370_8 Depth=1
	flat_load_dwordx2 v[0:1], v[8:9]
.LBB370_10:                             ;   in Loop: Header=BB370_8 Depth=1
	s_or_b64 exec, exec, s[6:7]
	s_waitcnt vmcnt(0) lgkmcnt(0)
	ds_write_b64 v21, v[0:1]
	v_add_u32_e32 v0, s5, v17
	v_cmp_gt_i32_e64 s[6:7], s21, v0
	s_and_b64 s[24:25], s[6:7], s[2:3]
	v_mov_b32_e32 v0, 0
	v_mov_b32_e32 v1, 0
	s_and_saveexec_b64 s[6:7], s[24:25]
	s_cbranch_execz .LBB370_7
; %bb.11:                               ;   in Loop: Header=BB370_8 Depth=1
	flat_load_dwordx2 v[0:1], v[10:11]
	s_branch .LBB370_7
.LBB370_12:
	s_load_dwordx2 s[2:3], s[0:1], 0x58
	s_load_dword s14, s[0:1], 0x50
	v_add_u32_e32 v0, s4, v13
	v_add_u32_e32 v10, s22, v15
	v_cmp_neq_f32_e64 s[0:1], s16, 0
	s_waitcnt lgkmcnt(0)
	s_lshl_b64 s[2:3], s[2:3], 3
	s_add_u32 s6, s12, s2
	s_addc_u32 s7, s13, s3
	s_xor_b64 s[4:5], s[10:11], -1
	v_mad_i64_i32 v[2:3], s[2:3], v10, s14, 0
	s_or_b64 s[0:1], s[0:1], s[4:5]
	v_lshl_add_u64 v[4:5], v[2:3], 3, s[6:7]
	v_cmp_le_i32_e32 vcc, v10, v0
	v_cmp_gt_i32_e64 s[2:3], s20, v0
	v_cndmask_b32_e64 v2, 0, 1, s[0:1]
	s_and_b64 s[8:9], vcc, s[2:3]
	v_ashrrev_i32_e32 v1, 31, v0
	v_cmp_ne_u32_e64 s[0:1], 1, v2
	s_and_saveexec_b64 s[4:5], s[8:9]
	s_cbranch_execz .LBB370_16
; %bb.13:
	v_pk_mul_f32 v[6:7], v[26:27], s[18:19] op_sel:[0,1] op_sel_hi:[0,0]
	v_pk_fma_f32 v[2:3], v[24:25], s[18:19], v[6:7] op_sel_hi:[0,1,1] neg_lo:[0,0,1] neg_hi:[0,0,1]
	v_pk_fma_f32 v[8:9], v[24:25], s[18:19], v[6:7] op_sel_hi:[0,1,1]
	s_and_b64 vcc, exec, s[0:1]
	v_lshl_add_u64 v[6:7], v[0:1], 3, v[4:5]
	s_cbranch_vccnz .LBB370_15
; %bb.14:
	flat_load_dwordx2 v[24:25], v[6:7]
	s_mov_b32 s8, s17
	v_mov_b32_e32 v3, v9
	s_waitcnt vmcnt(0) lgkmcnt(0)
	v_pk_mul_f32 v[8:9], v[24:25], s[8:9] op_sel:[1,0] op_sel_hi:[0,0]
	v_pk_fma_f32 v[26:27], v[24:25], s[16:17], v[8:9] neg_lo:[0,0,1] neg_hi:[0,0,1]
	v_pk_fma_f32 v[8:9], v[24:25], s[16:17], v[8:9] op_sel_hi:[1,0,1]
	s_nop 0
	v_mov_b32_e32 v27, v9
	v_pk_add_f32 v[2:3], v[2:3], v[26:27]
	s_nop 0
	v_mov_b32_e32 v9, v3
.LBB370_15:
	v_mov_b32_e32 v3, v9
	flat_store_dwordx2 v[6:7], v[2:3]
.LBB370_16:
	s_or_b64 exec, exec, s[4:5]
	v_add_u32_e32 v2, 16, v0
	v_cmp_le_i32_e32 vcc, v10, v2
	v_cmp_gt_i32_e64 s[4:5], s20, v2
	s_and_b64 s[10:11], vcc, s[4:5]
	v_ashrrev_i32_e32 v3, 31, v2
	s_and_saveexec_b64 s[8:9], s[10:11]
	s_cbranch_execz .LBB370_20
; %bb.17:
	v_pk_mul_f32 v[8:9], v[22:23], s[18:19] op_sel:[0,1] op_sel_hi:[0,0]
	v_pk_fma_f32 v[6:7], v[20:21], s[18:19], v[8:9] op_sel_hi:[0,1,1] neg_lo:[0,0,1] neg_hi:[0,0,1]
	v_pk_fma_f32 v[8:9], v[20:21], s[18:19], v[8:9] op_sel_hi:[0,1,1]
	s_and_b64 vcc, exec, s[0:1]
	v_lshl_add_u64 v[4:5], v[2:3], 3, v[4:5]
	s_cbranch_vccnz .LBB370_19
; %bb.18:
	flat_load_dwordx2 v[20:21], v[4:5]
	s_mov_b32 s10, s17
	v_mov_b32_e32 v7, v9
	s_waitcnt vmcnt(0) lgkmcnt(0)
	v_pk_mul_f32 v[8:9], v[20:21], s[10:11] op_sel:[1,0] op_sel_hi:[0,0]
	v_pk_fma_f32 v[22:23], v[20:21], s[16:17], v[8:9] neg_lo:[0,0,1] neg_hi:[0,0,1]
	v_pk_fma_f32 v[8:9], v[20:21], s[16:17], v[8:9] op_sel_hi:[1,0,1]
	s_nop 0
	v_mov_b32_e32 v23, v9
	v_pk_add_f32 v[6:7], v[6:7], v[22:23]
	s_nop 0
	v_mov_b32_e32 v9, v7
.LBB370_19:
	v_mov_b32_e32 v7, v9
	flat_store_dwordx2 v[4:5], v[6:7]
.LBB370_20:
	s_or_b64 exec, exec, s[8:9]
	v_add_u32_e32 v10, 16, v10
	v_mad_i64_i32 v[4:5], s[8:9], v10, s14, 0
	v_cmp_le_i32_e32 vcc, v10, v0
	v_lshl_add_u64 v[4:5], v[4:5], 3, s[6:7]
	s_and_b64 s[6:7], vcc, s[2:3]
	s_and_saveexec_b64 s[2:3], s[6:7]
	s_cbranch_execz .LBB370_24
; %bb.21:
	v_pk_mul_f32 v[8:9], v[18:19], s[18:19] op_sel:[0,1] op_sel_hi:[0,0]
	v_pk_fma_f32 v[6:7], v[16:17], s[18:19], v[8:9] op_sel_hi:[0,1,1] neg_lo:[0,0,1] neg_hi:[0,0,1]
	v_pk_fma_f32 v[8:9], v[16:17], s[18:19], v[8:9] op_sel_hi:[0,1,1]
	s_and_b64 vcc, exec, s[0:1]
	v_lshl_add_u64 v[0:1], v[0:1], 3, v[4:5]
	s_cbranch_vccnz .LBB370_23
; %bb.22:
	flat_load_dwordx2 v[16:17], v[0:1]
	s_mov_b32 s6, s17
	v_mov_b32_e32 v7, v9
	s_waitcnt vmcnt(0) lgkmcnt(0)
	v_pk_mul_f32 v[8:9], v[16:17], s[6:7] op_sel:[1,0] op_sel_hi:[0,0]
	v_pk_fma_f32 v[18:19], v[16:17], s[16:17], v[8:9] neg_lo:[0,0,1] neg_hi:[0,0,1]
	v_pk_fma_f32 v[8:9], v[16:17], s[16:17], v[8:9] op_sel_hi:[1,0,1]
	s_nop 0
	v_mov_b32_e32 v19, v9
	v_pk_add_f32 v[6:7], v[6:7], v[18:19]
	s_nop 0
	v_mov_b32_e32 v9, v7
.LBB370_23:
	v_mov_b32_e32 v7, v9
	flat_store_dwordx2 v[0:1], v[6:7]
.LBB370_24:
	s_or_b64 exec, exec, s[2:3]
	v_cmp_le_i32_e32 vcc, v10, v2
	s_and_b64 s[2:3], vcc, s[4:5]
	s_and_saveexec_b64 s[4:5], s[2:3]
	s_cbranch_execz .LBB370_28
; %bb.25:
	v_pk_mul_f32 v[6:7], v[12:13], s[18:19] op_sel:[0,1] op_sel_hi:[0,0]
	v_pk_fma_f32 v[0:1], v[14:15], s[18:19], v[6:7] op_sel_hi:[0,1,1] neg_lo:[0,0,1] neg_hi:[0,0,1]
	v_pk_fma_f32 v[6:7], v[14:15], s[18:19], v[6:7] op_sel_hi:[0,1,1]
	s_and_b64 vcc, exec, s[0:1]
	v_lshl_add_u64 v[2:3], v[2:3], 3, v[4:5]
	s_cbranch_vccnz .LBB370_27
; %bb.26:
	flat_load_dwordx2 v[4:5], v[2:3]
	s_mov_b32 s0, s17
	v_mov_b32_e32 v1, v7
	s_waitcnt vmcnt(0) lgkmcnt(0)
	v_pk_mul_f32 v[6:7], v[4:5], s[0:1] op_sel:[1,0] op_sel_hi:[0,0]
	v_pk_fma_f32 v[8:9], v[4:5], s[16:17], v[6:7] neg_lo:[0,0,1] neg_hi:[0,0,1]
	v_pk_fma_f32 v[4:5], v[4:5], s[16:17], v[6:7] op_sel_hi:[1,0,1]
	s_nop 0
	v_mov_b32_e32 v9, v5
	v_pk_add_f32 v[0:1], v[0:1], v[8:9]
	s_nop 0
	v_mov_b32_e32 v7, v1
.LBB370_27:
	v_mov_b32_e32 v1, v7
	flat_store_dwordx2 v[2:3], v[0:1]
.LBB370_28:
	s_endpgm
	.section	.rodata,"a",@progbits
	.p2align	6, 0x0
	.amdhsa_kernel _ZL29rocblas_internal_gemmt_kernelIiLi16ELi32ELi8ELc78ELc84ELc76ELb0ELb0E19rocblas_complex_numIfEPKS1_PKS3_PKPS1_EviT_T9_T10_S9_lSB_S9_lSA_T11_S9_li
		.amdhsa_group_segment_fixed_size 4096
		.amdhsa_private_segment_fixed_size 0
		.amdhsa_kernarg_size 100
		.amdhsa_user_sgpr_count 2
		.amdhsa_user_sgpr_dispatch_ptr 0
		.amdhsa_user_sgpr_queue_ptr 0
		.amdhsa_user_sgpr_kernarg_segment_ptr 1
		.amdhsa_user_sgpr_dispatch_id 0
		.amdhsa_user_sgpr_kernarg_preload_length 0
		.amdhsa_user_sgpr_kernarg_preload_offset 0
		.amdhsa_user_sgpr_private_segment_size 0
		.amdhsa_uses_dynamic_stack 0
		.amdhsa_enable_private_segment 0
		.amdhsa_system_sgpr_workgroup_id_x 1
		.amdhsa_system_sgpr_workgroup_id_y 1
		.amdhsa_system_sgpr_workgroup_id_z 1
		.amdhsa_system_sgpr_workgroup_info 0
		.amdhsa_system_vgpr_workitem_id 1
		.amdhsa_next_free_vgpr 52
		.amdhsa_next_free_sgpr 32
		.amdhsa_accum_offset 52
		.amdhsa_reserve_vcc 1
		.amdhsa_float_round_mode_32 0
		.amdhsa_float_round_mode_16_64 0
		.amdhsa_float_denorm_mode_32 3
		.amdhsa_float_denorm_mode_16_64 3
		.amdhsa_dx10_clamp 1
		.amdhsa_ieee_mode 1
		.amdhsa_fp16_overflow 0
		.amdhsa_tg_split 0
		.amdhsa_exception_fp_ieee_invalid_op 0
		.amdhsa_exception_fp_denorm_src 0
		.amdhsa_exception_fp_ieee_div_zero 0
		.amdhsa_exception_fp_ieee_overflow 0
		.amdhsa_exception_fp_ieee_underflow 0
		.amdhsa_exception_fp_ieee_inexact 0
		.amdhsa_exception_int_div_zero 0
	.end_amdhsa_kernel
	.section	.text._ZL29rocblas_internal_gemmt_kernelIiLi16ELi32ELi8ELc78ELc84ELc76ELb0ELb0E19rocblas_complex_numIfEPKS1_PKS3_PKPS1_EviT_T9_T10_S9_lSB_S9_lSA_T11_S9_li,"axG",@progbits,_ZL29rocblas_internal_gemmt_kernelIiLi16ELi32ELi8ELc78ELc84ELc76ELb0ELb0E19rocblas_complex_numIfEPKS1_PKS3_PKPS1_EviT_T9_T10_S9_lSB_S9_lSA_T11_S9_li,comdat
.Lfunc_end370:
	.size	_ZL29rocblas_internal_gemmt_kernelIiLi16ELi32ELi8ELc78ELc84ELc76ELb0ELb0E19rocblas_complex_numIfEPKS1_PKS3_PKPS1_EviT_T9_T10_S9_lSB_S9_lSA_T11_S9_li, .Lfunc_end370-_ZL29rocblas_internal_gemmt_kernelIiLi16ELi32ELi8ELc78ELc84ELc76ELb0ELb0E19rocblas_complex_numIfEPKS1_PKS3_PKPS1_EviT_T9_T10_S9_lSB_S9_lSA_T11_S9_li
                                        ; -- End function
	.set _ZL29rocblas_internal_gemmt_kernelIiLi16ELi32ELi8ELc78ELc84ELc76ELb0ELb0E19rocblas_complex_numIfEPKS1_PKS3_PKPS1_EviT_T9_T10_S9_lSB_S9_lSA_T11_S9_li.num_vgpr, 52
	.set _ZL29rocblas_internal_gemmt_kernelIiLi16ELi32ELi8ELc78ELc84ELc76ELb0ELb0E19rocblas_complex_numIfEPKS1_PKS3_PKPS1_EviT_T9_T10_S9_lSB_S9_lSA_T11_S9_li.num_agpr, 0
	.set _ZL29rocblas_internal_gemmt_kernelIiLi16ELi32ELi8ELc78ELc84ELc76ELb0ELb0E19rocblas_complex_numIfEPKS1_PKS3_PKPS1_EviT_T9_T10_S9_lSB_S9_lSA_T11_S9_li.numbered_sgpr, 32
	.set _ZL29rocblas_internal_gemmt_kernelIiLi16ELi32ELi8ELc78ELc84ELc76ELb0ELb0E19rocblas_complex_numIfEPKS1_PKS3_PKPS1_EviT_T9_T10_S9_lSB_S9_lSA_T11_S9_li.num_named_barrier, 0
	.set _ZL29rocblas_internal_gemmt_kernelIiLi16ELi32ELi8ELc78ELc84ELc76ELb0ELb0E19rocblas_complex_numIfEPKS1_PKS3_PKPS1_EviT_T9_T10_S9_lSB_S9_lSA_T11_S9_li.private_seg_size, 0
	.set _ZL29rocblas_internal_gemmt_kernelIiLi16ELi32ELi8ELc78ELc84ELc76ELb0ELb0E19rocblas_complex_numIfEPKS1_PKS3_PKPS1_EviT_T9_T10_S9_lSB_S9_lSA_T11_S9_li.uses_vcc, 1
	.set _ZL29rocblas_internal_gemmt_kernelIiLi16ELi32ELi8ELc78ELc84ELc76ELb0ELb0E19rocblas_complex_numIfEPKS1_PKS3_PKPS1_EviT_T9_T10_S9_lSB_S9_lSA_T11_S9_li.uses_flat_scratch, 0
	.set _ZL29rocblas_internal_gemmt_kernelIiLi16ELi32ELi8ELc78ELc84ELc76ELb0ELb0E19rocblas_complex_numIfEPKS1_PKS3_PKPS1_EviT_T9_T10_S9_lSB_S9_lSA_T11_S9_li.has_dyn_sized_stack, 0
	.set _ZL29rocblas_internal_gemmt_kernelIiLi16ELi32ELi8ELc78ELc84ELc76ELb0ELb0E19rocblas_complex_numIfEPKS1_PKS3_PKPS1_EviT_T9_T10_S9_lSB_S9_lSA_T11_S9_li.has_recursion, 0
	.set _ZL29rocblas_internal_gemmt_kernelIiLi16ELi32ELi8ELc78ELc84ELc76ELb0ELb0E19rocblas_complex_numIfEPKS1_PKS3_PKPS1_EviT_T9_T10_S9_lSB_S9_lSA_T11_S9_li.has_indirect_call, 0
	.section	.AMDGPU.csdata,"",@progbits
; Kernel info:
; codeLenInByte = 2480
; TotalNumSgprs: 38
; NumVgprs: 52
; NumAgprs: 0
; TotalNumVgprs: 52
; ScratchSize: 0
; MemoryBound: 0
; FloatMode: 240
; IeeeMode: 1
; LDSByteSize: 4096 bytes/workgroup (compile time only)
; SGPRBlocks: 4
; VGPRBlocks: 6
; NumSGPRsForWavesPerEU: 38
; NumVGPRsForWavesPerEU: 52
; AccumOffset: 52
; Occupancy: 8
; WaveLimiterHint : 1
; COMPUTE_PGM_RSRC2:SCRATCH_EN: 0
; COMPUTE_PGM_RSRC2:USER_SGPR: 2
; COMPUTE_PGM_RSRC2:TRAP_HANDLER: 0
; COMPUTE_PGM_RSRC2:TGID_X_EN: 1
; COMPUTE_PGM_RSRC2:TGID_Y_EN: 1
; COMPUTE_PGM_RSRC2:TGID_Z_EN: 1
; COMPUTE_PGM_RSRC2:TIDIG_COMP_CNT: 1
; COMPUTE_PGM_RSRC3_GFX90A:ACCUM_OFFSET: 12
; COMPUTE_PGM_RSRC3_GFX90A:TG_SPLIT: 0
	.section	.text._ZL29rocblas_internal_gemmt_kernelIiLi16ELi32ELi8ELc78ELc67ELc76ELb0ELb1E19rocblas_complex_numIfEPKS1_PKS3_PKPS1_EviT_T9_T10_S9_lSB_S9_lSA_T11_S9_li,"axG",@progbits,_ZL29rocblas_internal_gemmt_kernelIiLi16ELi32ELi8ELc78ELc67ELc76ELb0ELb1E19rocblas_complex_numIfEPKS1_PKS3_PKPS1_EviT_T9_T10_S9_lSB_S9_lSA_T11_S9_li,comdat
	.globl	_ZL29rocblas_internal_gemmt_kernelIiLi16ELi32ELi8ELc78ELc67ELc76ELb0ELb1E19rocblas_complex_numIfEPKS1_PKS3_PKPS1_EviT_T9_T10_S9_lSB_S9_lSA_T11_S9_li ; -- Begin function _ZL29rocblas_internal_gemmt_kernelIiLi16ELi32ELi8ELc78ELc67ELc76ELb0ELb1E19rocblas_complex_numIfEPKS1_PKS3_PKPS1_EviT_T9_T10_S9_lSB_S9_lSA_T11_S9_li
	.p2align	8
	.type	_ZL29rocblas_internal_gemmt_kernelIiLi16ELi32ELi8ELc78ELc67ELc76ELb0ELb1E19rocblas_complex_numIfEPKS1_PKS3_PKPS1_EviT_T9_T10_S9_lSB_S9_lSA_T11_S9_li,@function
_ZL29rocblas_internal_gemmt_kernelIiLi16ELi32ELi8ELc78ELc67ELc76ELb0ELb1E19rocblas_complex_numIfEPKS1_PKS3_PKPS1_EviT_T9_T10_S9_lSB_S9_lSA_T11_S9_li: ; @_ZL29rocblas_internal_gemmt_kernelIiLi16ELi32ELi8ELc78ELc67ELc76ELb0ELb1E19rocblas_complex_numIfEPKS1_PKS3_PKPS1_EviT_T9_T10_S9_lSB_S9_lSA_T11_S9_li
; %bb.0:
	s_load_dwordx4 s[8:11], s[0:1], 0x38
	s_load_dwordx4 s[12:15], s[0:1], 0x8
	s_waitcnt lgkmcnt(0)
	s_load_dwordx2 s[6:7], s[10:11], 0x0
	s_load_dwordx2 s[18:19], s[0:1], 0x0
	;; [unrolled: 1-line block ×3, first 2 shown]
	s_waitcnt lgkmcnt(0)
	s_and_b32 s5, s7, 0x7fffffff
	s_cmp_eq_u32 s5, 0
	v_cmp_eq_f32_e64 s[12:13], s6, 1.0
	s_cselect_b64 s[10:11], -1, 0
	s_and_b64 s[12:13], s[12:13], s[10:11]
	s_and_b64 vcc, exec, s[12:13]
	s_cbranch_vccnz .LBB371_2
; %bb.1:
	s_mov_b64 s[12:13], -1
	s_cbranch_execz .LBB371_3
	s_branch .LBB371_4
.LBB371_2:
	s_mov_b64 s[12:13], 0
.LBB371_3:
	s_cmp_lg_u32 s19, 0
	v_cmp_neq_f32_e64 s[20:21], s16, 0
	v_cmp_neq_f32_e64 s[22:23], s17, 0
	s_cselect_b64 s[12:13], -1, 0
	s_or_b64 s[20:21], s[20:21], s[22:23]
	s_and_b64 s[12:13], s[12:13], s[20:21]
.LBB371_4:
	s_andn2_b64 vcc, exec, s[12:13]
	s_cbranch_vccnz .LBB371_30
; %bb.5:
	s_load_dwordx2 s[12:13], s[0:1], 0x48
	s_mov_b32 s5, 0
	s_lshl_b64 s[20:21], s[4:5], 3
	v_cmp_eq_f32_e64 s[24:25], s17, 0
	v_and_b32_e32 v13, 0x3ff, v0
	s_waitcnt lgkmcnt(0)
	s_add_u32 s12, s12, s20
	s_addc_u32 s13, s13, s21
	s_lshl_b32 s4, s2, 5
	s_lshl_b32 s22, s3, 5
	v_cmp_eq_f32_e64 s[2:3], s16, 0
	s_load_dwordx2 s[12:13], s[12:13], 0x0
	s_and_b64 s[2:3], s[2:3], s[24:25]
	s_cmp_lt_i32 s19, 1
	s_cselect_b64 s[24:25], -1, 0
	s_or_b64 s[2:3], s[2:3], s[24:25]
	v_bfe_u32 v15, v0, 10, 10
	v_mov_b32_e32 v24, 0
	s_and_b64 vcc, exec, s[2:3]
	v_mov_b32_e32 v26, 0
	v_mov_b32_e32 v20, 0
	v_mov_b32_e32 v22, 0
	v_mov_b32_e32 v16, 0
	v_mov_b32_e32 v18, 0
	v_mov_b32_e32 v12, 0
	v_mov_b32_e32 v14, 0
	s_cbranch_vccnz .LBB371_14
; %bb.6:
	s_load_dword s28, s[0:1], 0x18
	s_load_dwordx4 s[24:27], s[0:1], 0x20
	s_load_dword s30, s[0:1], 0x30
	v_lshl_add_u32 v1, v15, 4, v13
	v_and_b32_e32 v4, 31, v1
	s_waitcnt lgkmcnt(0)
	s_ashr_i32 s29, s28, 31
	v_lshrrev_b32_e32 v19, 5, v1
	s_ashr_i32 s31, s30, 31
	s_add_u32 s2, s26, s20
	v_lshrrev_b32_e32 v2, 3, v1
	v_or_b32_e32 v1, s4, v4
	s_addc_u32 s3, s27, s21
	v_and_b32_e32 v17, 7, v13
	s_load_dwordx2 s[26:27], s[2:3], 0x0
	s_add_u32 s2, s14, s20
	v_cmp_gt_i32_e32 vcc, s18, v1
	v_lshlrev_b32_e32 v1, 3, v4
	s_addc_u32 s3, s15, s21
	v_lshl_or_b32 v21, v19, 8, v1
	v_lshlrev_b32_e32 v1, 3, v17
	v_add_u32_e32 v0, s22, v2
	s_load_dwordx2 s[14:15], s[2:3], 0x0
	v_lshl_or_b32 v1, v2, 6, v1
	v_mov_b32_e32 v2, 0x800
	v_lshl_add_u32 v27, v15, 6, v2
	v_mad_i64_i32 v[2:3], s[20:21], v19, s28, 0
	s_lshl_b64 s[20:21], s[24:25], 3
	v_add_u32_e32 v4, s4, v4
	v_lshl_add_u64 v[2:3], v[2:3], 3, s[20:21]
	v_ashrrev_i32_e32 v5, 31, v4
	v_lshl_add_u64 v[2:3], v[4:5], 3, v[2:3]
	s_waitcnt lgkmcnt(0)
	v_lshl_add_u64 v[8:9], s[14:15], 0, v[2:3]
	v_mad_i64_i32 v[2:3], s[20:21], s30, v17, 0
	s_lshl_b64 s[8:9], s[8:9], 3
	v_add_u32_e32 v23, 0x800, v1
	v_ashrrev_i32_e32 v1, 31, v0
	v_lshl_add_u64 v[2:3], v[2:3], 3, s[8:9]
	v_cmp_gt_i32_e64 s[2:3], s18, v0
	v_lshl_add_u64 v[0:1], v[0:1], 3, v[2:3]
	v_lshlrev_b32_e32 v25, 3, v13
	s_lshl_b64 s[14:15], s[28:29], 6
	v_lshl_add_u64 v[10:11], s[26:27], 0, v[0:1]
	s_lshl_b64 s[8:9], s[30:31], 6
	v_mov_b32_e32 v28, 0
	s_xor_b64 s[20:21], s[2:3], -1
	v_mov_b32_e32 v14, 0
	v_mov_b32_e32 v12, 0
	;; [unrolled: 1-line block ×8, first 2 shown]
	s_branch .LBB371_8
.LBB371_7:                              ;   in Loop: Header=BB371_8 Depth=1
	s_or_b64 exec, exec, s[2:3]
	ds_write_b32 v23, v0 offset:4
	s_waitcnt lgkmcnt(0)
	s_barrier
	ds_read2_b64 v[30:33], v25 offset1:16
	ds_read_b128 v[34:37], v27
	ds_read_b128 v[38:41], v27 offset:16
	ds_read_b128 v[4:7], v27 offset:32
	;; [unrolled: 1-line block ×3, first 2 shown]
	ds_read2_b64 v[50:53], v25 offset0:32 offset1:48
	s_waitcnt lgkmcnt(4)
	v_mul_f32_e32 v42, v34, v31
	v_fmac_f32_e32 v42, v35, v30
	v_add_f32_e32 v26, v26, v42
	ds_read_b128 v[42:45], v27 offset:1024
	ds_read_b128 v[46:49], v27 offset:1040
	v_mul_f32_e32 v29, v35, v31
	v_fma_f32 v29, v34, v30, -v29
	v_add_f32_e32 v24, v24, v29
	v_mul_f32_e32 v29, v35, v33
	v_fma_f32 v29, v34, v32, -v29
	v_add_f32_e32 v20, v20, v29
	s_waitcnt lgkmcnt(1)
	v_mul_f32_e32 v29, v43, v31
	v_mul_f32_e32 v31, v42, v31
	v_fma_f32 v29, v42, v30, -v29
	v_fmac_f32_e32 v31, v43, v30
	v_mul_f32_e32 v30, v42, v33
	v_fmac_f32_e32 v30, v43, v32
	v_add_f32_e32 v14, v14, v30
	v_mul_f32_e32 v30, v36, v51
	v_mul_f32_e32 v34, v34, v33
	v_fmac_f32_e32 v30, v37, v50
	v_fmac_f32_e32 v34, v35, v32
	v_add_f32_e32 v26, v26, v30
	v_mul_f32_e32 v30, v36, v53
	v_add_f32_e32 v22, v22, v34
	v_add_f32_e32 v16, v16, v29
	v_mul_f32_e32 v29, v43, v33
	v_fmac_f32_e32 v30, v37, v52
	v_fma_f32 v29, v42, v32, -v29
	v_add_f32_e32 v22, v22, v30
	v_mul_f32_e32 v30, v44, v51
	v_add_f32_e32 v18, v18, v31
	v_add_f32_e32 v12, v12, v29
	v_mul_f32_e32 v29, v37, v51
	v_fmac_f32_e32 v30, v45, v50
	v_fma_f32 v29, v36, v50, -v29
	v_add_f32_e32 v18, v18, v30
	ds_read2_b64 v[30:33], v25 offset0:64 offset1:80
	v_add_f32_e32 v24, v24, v29
	v_mul_f32_e32 v29, v37, v53
	v_fma_f32 v29, v36, v52, -v29
	v_add_f32_e32 v20, v20, v29
	v_mul_f32_e32 v29, v45, v51
	v_mul_f32_e32 v34, v44, v53
	v_fma_f32 v29, v44, v50, -v29
	v_fmac_f32_e32 v34, v45, v52
	v_add_f32_e32 v16, v16, v29
	v_mul_f32_e32 v29, v45, v53
	v_add_f32_e32 v14, v14, v34
	s_waitcnt lgkmcnt(0)
	v_mul_f32_e32 v34, v38, v31
	v_fma_f32 v29, v44, v52, -v29
	v_fmac_f32_e32 v34, v39, v30
	v_add_f32_e32 v12, v12, v29
	v_mul_f32_e32 v29, v39, v31
	v_add_f32_e32 v26, v26, v34
	v_mul_f32_e32 v34, v38, v33
	v_fma_f32 v29, v38, v30, -v29
	v_fmac_f32_e32 v34, v39, v32
	v_add_f32_e32 v24, v24, v29
	v_mul_f32_e32 v29, v39, v33
	v_add_f32_e32 v22, v22, v34
	ds_read2_b64 v[34:37], v25 offset0:96 offset1:112
	v_fma_f32 v29, v38, v32, -v29
	v_add_f32_e32 v20, v20, v29
	v_mul_f32_e32 v29, v47, v31
	v_mul_f32_e32 v31, v46, v31
	v_fma_f32 v29, v46, v30, -v29
	v_fmac_f32_e32 v31, v47, v30
	v_mul_f32_e32 v30, v46, v33
	v_fmac_f32_e32 v30, v47, v32
	v_add_f32_e32 v14, v14, v30
	s_waitcnt lgkmcnt(0)
	v_mul_f32_e32 v30, v40, v35
	v_fmac_f32_e32 v30, v41, v34
	v_add_f32_e32 v16, v16, v29
	v_mul_f32_e32 v29, v47, v33
	v_add_f32_e32 v26, v26, v30
	v_mul_f32_e32 v30, v40, v37
	v_fma_f32 v29, v46, v32, -v29
	v_fmac_f32_e32 v30, v41, v36
	v_add_f32_e32 v12, v12, v29
	v_mul_f32_e32 v29, v41, v35
	v_add_f32_e32 v22, v22, v30
	v_mul_f32_e32 v30, v48, v35
	v_add_f32_e32 v18, v18, v31
	v_fma_f32 v29, v40, v34, -v29
	v_fmac_f32_e32 v30, v49, v34
	v_add_f32_e32 v24, v24, v29
	v_mul_f32_e32 v29, v41, v37
	v_add_f32_e32 v18, v18, v30
	ds_read2_b64 v[30:33], v25 offset0:128 offset1:144
	v_fma_f32 v29, v40, v36, -v29
	v_add_f32_e32 v20, v20, v29
	v_mul_f32_e32 v29, v49, v35
	v_fma_f32 v29, v48, v34, -v29
	v_mul_f32_e32 v34, v48, v37
	v_fmac_f32_e32 v34, v49, v36
	v_add_f32_e32 v14, v14, v34
	s_waitcnt lgkmcnt(0)
	v_mul_f32_e32 v34, v4, v31
	v_add_f32_e32 v16, v16, v29
	v_mul_f32_e32 v29, v49, v37
	v_fmac_f32_e32 v34, v5, v30
	v_fma_f32 v29, v48, v36, -v29
	v_add_f32_e32 v26, v26, v34
	ds_read_b128 v[34:37], v27 offset:1056
	ds_read_b128 v[38:41], v27 offset:1072
	v_add_f32_e32 v12, v12, v29
	v_mul_f32_e32 v29, v5, v31
	v_fma_f32 v29, v4, v30, -v29
	v_add_f32_e32 v24, v24, v29
	v_mul_f32_e32 v29, v5, v33
	v_fma_f32 v29, v4, v32, -v29
	v_mul_f32_e32 v4, v4, v33
	ds_read2_b64 v[42:45], v25 offset0:160 offset1:176
	v_fmac_f32_e32 v4, v5, v32
	v_add_f32_e32 v5, v20, v29
	s_waitcnt lgkmcnt(2)
	v_mul_f32_e32 v20, v35, v31
	v_fma_f32 v20, v34, v30, -v20
	v_add_f32_e32 v16, v16, v20
	v_mul_f32_e32 v20, v35, v33
	v_add_f32_e32 v4, v22, v4
	v_mul_f32_e32 v22, v34, v31
	v_fma_f32 v20, v34, v32, -v20
	v_fmac_f32_e32 v22, v35, v30
	v_add_f32_e32 v12, v12, v20
	s_waitcnt lgkmcnt(0)
	v_mul_f32_e32 v20, v7, v43
	v_add_f32_e32 v18, v18, v22
	v_mul_f32_e32 v22, v34, v33
	v_fma_f32 v20, v6, v42, -v20
	v_fmac_f32_e32 v22, v35, v32
	v_add_f32_e32 v20, v24, v20
	v_mul_f32_e32 v24, v7, v45
	v_add_f32_e32 v14, v14, v22
	v_mul_f32_e32 v22, v6, v43
	v_fma_f32 v24, v6, v44, -v24
	v_mul_f32_e32 v6, v6, v45
	v_fmac_f32_e32 v22, v7, v42
	v_fmac_f32_e32 v6, v7, v44
	v_add_f32_e32 v22, v26, v22
	v_add_f32_e32 v26, v4, v6
	v_mul_f32_e32 v4, v37, v43
	v_add_f32_e32 v24, v5, v24
	v_fma_f32 v4, v36, v42, -v4
	v_mul_f32_e32 v5, v36, v43
	v_fmac_f32_e32 v5, v37, v42
	v_add_f32_e32 v16, v16, v4
	v_mul_f32_e32 v4, v37, v45
	v_add_f32_e32 v18, v18, v5
	v_fma_f32 v29, v36, v44, -v4
	ds_read2_b64 v[4:7], v25 offset0:192 offset1:208
	v_mul_f32_e32 v30, v36, v45
	v_fmac_f32_e32 v30, v37, v44
	v_add_f32_e32 v12, v12, v29
	v_add_f32_e32 v14, v14, v30
	s_waitcnt lgkmcnt(0)
	v_mul_f32_e32 v29, v1, v5
	v_fma_f32 v29, v0, v4, -v29
	v_mul_f32_e32 v30, v0, v5
	v_fmac_f32_e32 v30, v1, v4
	v_add_f32_e32 v20, v20, v29
	v_mul_f32_e32 v29, v1, v7
	v_add_f32_e32 v22, v22, v30
	v_fma_f32 v29, v0, v6, -v29
	v_mul_f32_e32 v0, v0, v7
	ds_read2_b64 v[30:33], v25 offset0:224 offset1:240
	v_fmac_f32_e32 v0, v1, v6
	v_add_f32_e32 v1, v24, v29
	v_mul_f32_e32 v24, v39, v5
	v_fma_f32 v24, v38, v4, -v24
	v_mul_f32_e32 v5, v38, v5
	v_fmac_f32_e32 v5, v39, v4
	v_add_f32_e32 v4, v16, v24
	v_mul_f32_e32 v16, v39, v7
	v_fma_f32 v16, v38, v6, -v16
	v_mul_f32_e32 v7, v38, v7
	v_fmac_f32_e32 v7, v39, v6
	v_add_f32_e32 v6, v12, v16
	s_waitcnt lgkmcnt(0)
	v_mul_f32_e32 v12, v3, v31
	v_fma_f32 v12, v2, v30, -v12
	v_add_f32_e32 v24, v20, v12
	v_mul_f32_e32 v12, v3, v33
	v_add_f32_e32 v7, v14, v7
	v_mul_f32_e32 v14, v2, v31
	v_fma_f32 v12, v2, v32, -v12
	v_mul_f32_e32 v2, v2, v33
	v_add_f32_e32 v0, v26, v0
	v_fmac_f32_e32 v14, v3, v30
	v_fmac_f32_e32 v2, v3, v32
	v_add_f32_e32 v26, v22, v14
	v_add_f32_e32 v20, v1, v12
	;; [unrolled: 1-line block ×3, first 2 shown]
	v_mul_f32_e32 v0, v41, v31
	v_mul_f32_e32 v1, v40, v31
	v_add_f32_e32 v5, v18, v5
	v_fma_f32 v0, v40, v30, -v0
	v_fmac_f32_e32 v1, v41, v30
	v_add_f32_e32 v16, v4, v0
	v_add_f32_e32 v18, v5, v1
	v_mul_f32_e32 v0, v41, v33
	v_mul_f32_e32 v1, v40, v33
	v_fma_f32 v0, v40, v32, -v0
	v_fmac_f32_e32 v1, v41, v32
	s_add_i32 s5, s5, 8
	v_add_f32_e32 v12, v6, v0
	v_add_f32_e32 v14, v7, v1
	v_lshl_add_u64 v[8:9], v[8:9], 0, s[14:15]
	s_cmp_lt_i32 s5, s19
	v_lshl_add_u64 v[10:11], v[10:11], 0, s[8:9]
	s_barrier
	s_cbranch_scc0 .LBB371_14
.LBB371_8:                              ; =>This Inner Loop Header: Depth=1
	v_add_u32_e32 v0, s5, v19
	v_cmp_gt_i32_e64 s[2:3], s19, v0
	s_and_b64 s[24:25], vcc, s[2:3]
	v_mov_b32_e32 v0, 0
	v_mov_b32_e32 v1, 0
	s_and_saveexec_b64 s[2:3], s[24:25]
	s_cbranch_execz .LBB371_10
; %bb.9:                                ;   in Loop: Header=BB371_8 Depth=1
	flat_load_dwordx2 v[0:1], v[8:9]
.LBB371_10:                             ;   in Loop: Header=BB371_8 Depth=1
	s_or_b64 exec, exec, s[2:3]
	s_waitcnt vmcnt(0) lgkmcnt(0)
	ds_write_b64 v21, v[0:1]
	v_add_u32_e32 v0, s5, v17
	v_cmp_le_i32_e64 s[2:3], s19, v0
	s_or_b64 s[2:3], s[2:3], s[20:21]
	s_and_saveexec_b64 s[24:25], s[2:3]
	s_xor_b64 s[2:3], exec, s[24:25]
; %bb.11:                               ;   in Loop: Header=BB371_8 Depth=1
	ds_write_b32 v23, v28
; %bb.12:                               ;   in Loop: Header=BB371_8 Depth=1
	s_or_saveexec_b64 s[2:3], s[2:3]
	v_mov_b32_e32 v0, 0
	s_xor_b64 exec, exec, s[2:3]
	s_cbranch_execz .LBB371_7
; %bb.13:                               ;   in Loop: Header=BB371_8 Depth=1
	flat_load_dwordx2 v[2:3], v[10:11]
	s_waitcnt vmcnt(0) lgkmcnt(0)
	v_xor_b32_e32 v0, 0x80000000, v3
	ds_write_b32 v23, v2
	s_branch .LBB371_7
.LBB371_14:
	s_load_dwordx2 s[2:3], s[0:1], 0x58
	s_load_dword s14, s[0:1], 0x50
	v_add_u32_e32 v0, s4, v13
	v_add_u32_e32 v10, s22, v15
	v_cmp_neq_f32_e64 s[0:1], s6, 0
	s_waitcnt lgkmcnt(0)
	s_lshl_b64 s[2:3], s[2:3], 3
	s_add_u32 s8, s12, s2
	s_addc_u32 s9, s13, s3
	s_xor_b64 s[4:5], s[10:11], -1
	v_mad_i64_i32 v[2:3], s[2:3], v10, s14, 0
	s_or_b64 s[0:1], s[0:1], s[4:5]
	v_lshl_add_u64 v[4:5], v[2:3], 3, s[8:9]
	v_cmp_le_i32_e32 vcc, v10, v0
	v_cmp_gt_i32_e64 s[2:3], s18, v0
	v_cndmask_b32_e64 v2, 0, 1, s[0:1]
	s_and_b64 s[10:11], vcc, s[2:3]
	v_ashrrev_i32_e32 v1, 31, v0
	v_cmp_ne_u32_e64 s[0:1], 1, v2
	s_and_saveexec_b64 s[4:5], s[10:11]
	s_cbranch_execz .LBB371_18
; %bb.15:
	v_pk_mul_f32 v[6:7], v[26:27], s[16:17] op_sel:[0,1] op_sel_hi:[0,0]
	v_pk_fma_f32 v[2:3], v[24:25], s[16:17], v[6:7] op_sel_hi:[0,1,1] neg_lo:[0,0,1] neg_hi:[0,0,1]
	v_pk_fma_f32 v[8:9], v[24:25], s[16:17], v[6:7] op_sel_hi:[0,1,1]
	s_and_b64 vcc, exec, s[0:1]
	v_lshl_add_u64 v[6:7], v[0:1], 3, v[4:5]
	s_cbranch_vccnz .LBB371_17
; %bb.16:
	flat_load_dwordx2 v[24:25], v[6:7]
	s_mov_b32 s10, s7
	v_mov_b32_e32 v3, v9
	s_waitcnt vmcnt(0) lgkmcnt(0)
	v_pk_mul_f32 v[8:9], v[24:25], s[10:11] op_sel:[1,0] op_sel_hi:[0,0]
	v_pk_fma_f32 v[26:27], v[24:25], s[6:7], v[8:9] neg_lo:[0,0,1] neg_hi:[0,0,1]
	v_pk_fma_f32 v[8:9], v[24:25], s[6:7], v[8:9] op_sel_hi:[1,0,1]
	s_nop 0
	v_mov_b32_e32 v27, v9
	v_pk_add_f32 v[2:3], v[2:3], v[26:27]
	s_nop 0
	v_mov_b32_e32 v9, v3
.LBB371_17:
	v_mov_b32_e32 v3, v9
	flat_store_dwordx2 v[6:7], v[2:3]
.LBB371_18:
	s_or_b64 exec, exec, s[4:5]
	v_add_u32_e32 v2, 16, v0
	v_cmp_le_i32_e32 vcc, v10, v2
	v_cmp_gt_i32_e64 s[4:5], s18, v2
	s_and_b64 s[12:13], vcc, s[4:5]
	v_ashrrev_i32_e32 v3, 31, v2
	s_and_saveexec_b64 s[10:11], s[12:13]
	s_cbranch_execz .LBB371_22
; %bb.19:
	v_pk_mul_f32 v[8:9], v[22:23], s[16:17] op_sel:[0,1] op_sel_hi:[0,0]
	v_pk_fma_f32 v[6:7], v[20:21], s[16:17], v[8:9] op_sel_hi:[0,1,1] neg_lo:[0,0,1] neg_hi:[0,0,1]
	v_pk_fma_f32 v[8:9], v[20:21], s[16:17], v[8:9] op_sel_hi:[0,1,1]
	s_and_b64 vcc, exec, s[0:1]
	v_lshl_add_u64 v[4:5], v[2:3], 3, v[4:5]
	s_cbranch_vccnz .LBB371_21
; %bb.20:
	flat_load_dwordx2 v[20:21], v[4:5]
	s_mov_b32 s12, s7
	v_mov_b32_e32 v7, v9
	s_waitcnt vmcnt(0) lgkmcnt(0)
	v_pk_mul_f32 v[8:9], v[20:21], s[12:13] op_sel:[1,0] op_sel_hi:[0,0]
	v_pk_fma_f32 v[22:23], v[20:21], s[6:7], v[8:9] neg_lo:[0,0,1] neg_hi:[0,0,1]
	v_pk_fma_f32 v[8:9], v[20:21], s[6:7], v[8:9] op_sel_hi:[1,0,1]
	s_nop 0
	v_mov_b32_e32 v23, v9
	v_pk_add_f32 v[6:7], v[6:7], v[22:23]
	s_nop 0
	v_mov_b32_e32 v9, v7
.LBB371_21:
	v_mov_b32_e32 v7, v9
	flat_store_dwordx2 v[4:5], v[6:7]
.LBB371_22:
	s_or_b64 exec, exec, s[10:11]
	v_add_u32_e32 v10, 16, v10
	v_mad_i64_i32 v[4:5], s[10:11], v10, s14, 0
	v_cmp_le_i32_e32 vcc, v10, v0
	v_lshl_add_u64 v[4:5], v[4:5], 3, s[8:9]
	s_and_b64 s[8:9], vcc, s[2:3]
	s_and_saveexec_b64 s[2:3], s[8:9]
	s_cbranch_execz .LBB371_26
; %bb.23:
	v_pk_mul_f32 v[8:9], v[18:19], s[16:17] op_sel:[0,1] op_sel_hi:[0,0]
	v_pk_fma_f32 v[6:7], v[16:17], s[16:17], v[8:9] op_sel_hi:[0,1,1] neg_lo:[0,0,1] neg_hi:[0,0,1]
	v_pk_fma_f32 v[8:9], v[16:17], s[16:17], v[8:9] op_sel_hi:[0,1,1]
	s_and_b64 vcc, exec, s[0:1]
	v_lshl_add_u64 v[0:1], v[0:1], 3, v[4:5]
	s_cbranch_vccnz .LBB371_25
; %bb.24:
	flat_load_dwordx2 v[16:17], v[0:1]
	s_mov_b32 s8, s7
	v_mov_b32_e32 v7, v9
	s_waitcnt vmcnt(0) lgkmcnt(0)
	v_pk_mul_f32 v[8:9], v[16:17], s[8:9] op_sel:[1,0] op_sel_hi:[0,0]
	v_pk_fma_f32 v[18:19], v[16:17], s[6:7], v[8:9] neg_lo:[0,0,1] neg_hi:[0,0,1]
	v_pk_fma_f32 v[8:9], v[16:17], s[6:7], v[8:9] op_sel_hi:[1,0,1]
	s_nop 0
	v_mov_b32_e32 v19, v9
	v_pk_add_f32 v[6:7], v[6:7], v[18:19]
	s_nop 0
	v_mov_b32_e32 v9, v7
.LBB371_25:
	v_mov_b32_e32 v7, v9
	flat_store_dwordx2 v[0:1], v[6:7]
.LBB371_26:
	s_or_b64 exec, exec, s[2:3]
	v_cmp_le_i32_e32 vcc, v10, v2
	s_and_b64 s[2:3], vcc, s[4:5]
	s_and_saveexec_b64 s[4:5], s[2:3]
	s_cbranch_execz .LBB371_30
; %bb.27:
	v_pk_mul_f32 v[6:7], v[14:15], s[16:17] op_sel:[0,1] op_sel_hi:[0,0]
	v_pk_fma_f32 v[0:1], v[12:13], s[16:17], v[6:7] op_sel_hi:[0,1,1] neg_lo:[0,0,1] neg_hi:[0,0,1]
	v_pk_fma_f32 v[6:7], v[12:13], s[16:17], v[6:7] op_sel_hi:[0,1,1]
	s_and_b64 vcc, exec, s[0:1]
	v_lshl_add_u64 v[2:3], v[2:3], 3, v[4:5]
	s_cbranch_vccnz .LBB371_29
; %bb.28:
	flat_load_dwordx2 v[4:5], v[2:3]
	s_mov_b32 s0, s7
	v_mov_b32_e32 v1, v7
	s_waitcnt vmcnt(0) lgkmcnt(0)
	v_pk_mul_f32 v[6:7], v[4:5], s[0:1] op_sel:[1,0] op_sel_hi:[0,0]
	v_pk_fma_f32 v[8:9], v[4:5], s[6:7], v[6:7] neg_lo:[0,0,1] neg_hi:[0,0,1]
	v_pk_fma_f32 v[4:5], v[4:5], s[6:7], v[6:7] op_sel_hi:[1,0,1]
	s_nop 0
	v_mov_b32_e32 v9, v5
	v_pk_add_f32 v[0:1], v[0:1], v[8:9]
	s_nop 0
	v_mov_b32_e32 v7, v1
.LBB371_29:
	v_mov_b32_e32 v1, v7
	flat_store_dwordx2 v[2:3], v[0:1]
.LBB371_30:
	s_endpgm
	.section	.rodata,"a",@progbits
	.p2align	6, 0x0
	.amdhsa_kernel _ZL29rocblas_internal_gemmt_kernelIiLi16ELi32ELi8ELc78ELc67ELc76ELb0ELb1E19rocblas_complex_numIfEPKS1_PKS3_PKPS1_EviT_T9_T10_S9_lSB_S9_lSA_T11_S9_li
		.amdhsa_group_segment_fixed_size 4096
		.amdhsa_private_segment_fixed_size 0
		.amdhsa_kernarg_size 100
		.amdhsa_user_sgpr_count 2
		.amdhsa_user_sgpr_dispatch_ptr 0
		.amdhsa_user_sgpr_queue_ptr 0
		.amdhsa_user_sgpr_kernarg_segment_ptr 1
		.amdhsa_user_sgpr_dispatch_id 0
		.amdhsa_user_sgpr_kernarg_preload_length 0
		.amdhsa_user_sgpr_kernarg_preload_offset 0
		.amdhsa_user_sgpr_private_segment_size 0
		.amdhsa_uses_dynamic_stack 0
		.amdhsa_enable_private_segment 0
		.amdhsa_system_sgpr_workgroup_id_x 1
		.amdhsa_system_sgpr_workgroup_id_y 1
		.amdhsa_system_sgpr_workgroup_id_z 1
		.amdhsa_system_sgpr_workgroup_info 0
		.amdhsa_system_vgpr_workitem_id 1
		.amdhsa_next_free_vgpr 54
		.amdhsa_next_free_sgpr 32
		.amdhsa_accum_offset 56
		.amdhsa_reserve_vcc 1
		.amdhsa_float_round_mode_32 0
		.amdhsa_float_round_mode_16_64 0
		.amdhsa_float_denorm_mode_32 3
		.amdhsa_float_denorm_mode_16_64 3
		.amdhsa_dx10_clamp 1
		.amdhsa_ieee_mode 1
		.amdhsa_fp16_overflow 0
		.amdhsa_tg_split 0
		.amdhsa_exception_fp_ieee_invalid_op 0
		.amdhsa_exception_fp_denorm_src 0
		.amdhsa_exception_fp_ieee_div_zero 0
		.amdhsa_exception_fp_ieee_overflow 0
		.amdhsa_exception_fp_ieee_underflow 0
		.amdhsa_exception_fp_ieee_inexact 0
		.amdhsa_exception_int_div_zero 0
	.end_amdhsa_kernel
	.section	.text._ZL29rocblas_internal_gemmt_kernelIiLi16ELi32ELi8ELc78ELc67ELc76ELb0ELb1E19rocblas_complex_numIfEPKS1_PKS3_PKPS1_EviT_T9_T10_S9_lSB_S9_lSA_T11_S9_li,"axG",@progbits,_ZL29rocblas_internal_gemmt_kernelIiLi16ELi32ELi8ELc78ELc67ELc76ELb0ELb1E19rocblas_complex_numIfEPKS1_PKS3_PKPS1_EviT_T9_T10_S9_lSB_S9_lSA_T11_S9_li,comdat
.Lfunc_end371:
	.size	_ZL29rocblas_internal_gemmt_kernelIiLi16ELi32ELi8ELc78ELc67ELc76ELb0ELb1E19rocblas_complex_numIfEPKS1_PKS3_PKPS1_EviT_T9_T10_S9_lSB_S9_lSA_T11_S9_li, .Lfunc_end371-_ZL29rocblas_internal_gemmt_kernelIiLi16ELi32ELi8ELc78ELc67ELc76ELb0ELb1E19rocblas_complex_numIfEPKS1_PKS3_PKPS1_EviT_T9_T10_S9_lSB_S9_lSA_T11_S9_li
                                        ; -- End function
	.set _ZL29rocblas_internal_gemmt_kernelIiLi16ELi32ELi8ELc78ELc67ELc76ELb0ELb1E19rocblas_complex_numIfEPKS1_PKS3_PKPS1_EviT_T9_T10_S9_lSB_S9_lSA_T11_S9_li.num_vgpr, 54
	.set _ZL29rocblas_internal_gemmt_kernelIiLi16ELi32ELi8ELc78ELc67ELc76ELb0ELb1E19rocblas_complex_numIfEPKS1_PKS3_PKPS1_EviT_T9_T10_S9_lSB_S9_lSA_T11_S9_li.num_agpr, 0
	.set _ZL29rocblas_internal_gemmt_kernelIiLi16ELi32ELi8ELc78ELc67ELc76ELb0ELb1E19rocblas_complex_numIfEPKS1_PKS3_PKPS1_EviT_T9_T10_S9_lSB_S9_lSA_T11_S9_li.numbered_sgpr, 32
	.set _ZL29rocblas_internal_gemmt_kernelIiLi16ELi32ELi8ELc78ELc67ELc76ELb0ELb1E19rocblas_complex_numIfEPKS1_PKS3_PKPS1_EviT_T9_T10_S9_lSB_S9_lSA_T11_S9_li.num_named_barrier, 0
	.set _ZL29rocblas_internal_gemmt_kernelIiLi16ELi32ELi8ELc78ELc67ELc76ELb0ELb1E19rocblas_complex_numIfEPKS1_PKS3_PKPS1_EviT_T9_T10_S9_lSB_S9_lSA_T11_S9_li.private_seg_size, 0
	.set _ZL29rocblas_internal_gemmt_kernelIiLi16ELi32ELi8ELc78ELc67ELc76ELb0ELb1E19rocblas_complex_numIfEPKS1_PKS3_PKPS1_EviT_T9_T10_S9_lSB_S9_lSA_T11_S9_li.uses_vcc, 1
	.set _ZL29rocblas_internal_gemmt_kernelIiLi16ELi32ELi8ELc78ELc67ELc76ELb0ELb1E19rocblas_complex_numIfEPKS1_PKS3_PKPS1_EviT_T9_T10_S9_lSB_S9_lSA_T11_S9_li.uses_flat_scratch, 0
	.set _ZL29rocblas_internal_gemmt_kernelIiLi16ELi32ELi8ELc78ELc67ELc76ELb0ELb1E19rocblas_complex_numIfEPKS1_PKS3_PKPS1_EviT_T9_T10_S9_lSB_S9_lSA_T11_S9_li.has_dyn_sized_stack, 0
	.set _ZL29rocblas_internal_gemmt_kernelIiLi16ELi32ELi8ELc78ELc67ELc76ELb0ELb1E19rocblas_complex_numIfEPKS1_PKS3_PKPS1_EviT_T9_T10_S9_lSB_S9_lSA_T11_S9_li.has_recursion, 0
	.set _ZL29rocblas_internal_gemmt_kernelIiLi16ELi32ELi8ELc78ELc67ELc76ELb0ELb1E19rocblas_complex_numIfEPKS1_PKS3_PKPS1_EviT_T9_T10_S9_lSB_S9_lSA_T11_S9_li.has_indirect_call, 0
	.section	.AMDGPU.csdata,"",@progbits
; Kernel info:
; codeLenInByte = 2520
; TotalNumSgprs: 38
; NumVgprs: 54
; NumAgprs: 0
; TotalNumVgprs: 54
; ScratchSize: 0
; MemoryBound: 0
; FloatMode: 240
; IeeeMode: 1
; LDSByteSize: 4096 bytes/workgroup (compile time only)
; SGPRBlocks: 4
; VGPRBlocks: 6
; NumSGPRsForWavesPerEU: 38
; NumVGPRsForWavesPerEU: 54
; AccumOffset: 56
; Occupancy: 8
; WaveLimiterHint : 1
; COMPUTE_PGM_RSRC2:SCRATCH_EN: 0
; COMPUTE_PGM_RSRC2:USER_SGPR: 2
; COMPUTE_PGM_RSRC2:TRAP_HANDLER: 0
; COMPUTE_PGM_RSRC2:TGID_X_EN: 1
; COMPUTE_PGM_RSRC2:TGID_Y_EN: 1
; COMPUTE_PGM_RSRC2:TGID_Z_EN: 1
; COMPUTE_PGM_RSRC2:TIDIG_COMP_CNT: 1
; COMPUTE_PGM_RSRC3_GFX90A:ACCUM_OFFSET: 13
; COMPUTE_PGM_RSRC3_GFX90A:TG_SPLIT: 0
	.section	.text._ZL29rocblas_internal_gemmt_kernelIiLi16ELi32ELi8ELc84ELc78ELc76ELb0ELb0E19rocblas_complex_numIfEPKS1_PKS3_PKPS1_EviT_T9_T10_S9_lSB_S9_lSA_T11_S9_li,"axG",@progbits,_ZL29rocblas_internal_gemmt_kernelIiLi16ELi32ELi8ELc84ELc78ELc76ELb0ELb0E19rocblas_complex_numIfEPKS1_PKS3_PKPS1_EviT_T9_T10_S9_lSB_S9_lSA_T11_S9_li,comdat
	.globl	_ZL29rocblas_internal_gemmt_kernelIiLi16ELi32ELi8ELc84ELc78ELc76ELb0ELb0E19rocblas_complex_numIfEPKS1_PKS3_PKPS1_EviT_T9_T10_S9_lSB_S9_lSA_T11_S9_li ; -- Begin function _ZL29rocblas_internal_gemmt_kernelIiLi16ELi32ELi8ELc84ELc78ELc76ELb0ELb0E19rocblas_complex_numIfEPKS1_PKS3_PKPS1_EviT_T9_T10_S9_lSB_S9_lSA_T11_S9_li
	.p2align	8
	.type	_ZL29rocblas_internal_gemmt_kernelIiLi16ELi32ELi8ELc84ELc78ELc76ELb0ELb0E19rocblas_complex_numIfEPKS1_PKS3_PKPS1_EviT_T9_T10_S9_lSB_S9_lSA_T11_S9_li,@function
_ZL29rocblas_internal_gemmt_kernelIiLi16ELi32ELi8ELc84ELc78ELc76ELb0ELb0E19rocblas_complex_numIfEPKS1_PKS3_PKPS1_EviT_T9_T10_S9_lSB_S9_lSA_T11_S9_li: ; @_ZL29rocblas_internal_gemmt_kernelIiLi16ELi32ELi8ELc84ELc78ELc76ELb0ELb0E19rocblas_complex_numIfEPKS1_PKS3_PKPS1_EviT_T9_T10_S9_lSB_S9_lSA_T11_S9_li
; %bb.0:
	s_load_dwordx4 s[8:11], s[0:1], 0x38
	s_load_dwordx4 s[12:15], s[0:1], 0x8
	s_waitcnt lgkmcnt(0)
	s_load_dwordx2 s[16:17], s[10:11], 0x0
	s_load_dwordx2 s[20:21], s[0:1], 0x0
	;; [unrolled: 1-line block ×3, first 2 shown]
	s_waitcnt lgkmcnt(0)
	s_and_b32 s5, s17, 0x7fffffff
	s_cmp_eq_u32 s5, 0
	v_cmp_eq_f32_e64 s[6:7], s16, 1.0
	s_cselect_b64 s[10:11], -1, 0
	s_and_b64 s[6:7], s[6:7], s[10:11]
	s_and_b64 vcc, exec, s[6:7]
	s_cbranch_vccnz .LBB372_2
; %bb.1:
	s_mov_b64 s[6:7], -1
	s_cbranch_execz .LBB372_3
	s_branch .LBB372_4
.LBB372_2:
	s_mov_b64 s[6:7], 0
.LBB372_3:
	s_cmp_lg_u32 s21, 0
	v_cmp_neq_f32_e64 s[12:13], s18, 0
	v_cmp_neq_f32_e64 s[22:23], s19, 0
	s_cselect_b64 s[6:7], -1, 0
	s_or_b64 s[12:13], s[12:13], s[22:23]
	s_and_b64 s[6:7], s[6:7], s[12:13]
.LBB372_4:
	s_andn2_b64 vcc, exec, s[6:7]
	s_cbranch_vccnz .LBB372_28
; %bb.5:
	s_load_dwordx2 s[12:13], s[0:1], 0x48
	s_mov_b32 s5, 0
	s_lshl_b64 s[6:7], s[4:5], 3
	v_cmp_eq_f32_e64 s[24:25], s19, 0
	v_and_b32_e32 v13, 0x3ff, v0
	s_waitcnt lgkmcnt(0)
	s_add_u32 s12, s12, s6
	s_addc_u32 s13, s13, s7
	s_lshl_b32 s4, s2, 5
	s_lshl_b32 s22, s3, 5
	v_cmp_eq_f32_e64 s[2:3], s18, 0
	s_load_dwordx2 s[12:13], s[12:13], 0x0
	s_and_b64 s[2:3], s[2:3], s[24:25]
	s_cmp_lt_i32 s21, 1
	s_cselect_b64 s[24:25], -1, 0
	s_or_b64 s[2:3], s[2:3], s[24:25]
	v_bfe_u32 v15, v0, 10, 10
	v_mov_b32_e32 v24, 0
	s_and_b64 vcc, exec, s[2:3]
	v_mov_b32_e32 v26, 0
	v_mov_b32_e32 v20, 0
	;; [unrolled: 1-line block ×7, first 2 shown]
	s_cbranch_vccnz .LBB372_12
; %bb.6:
	s_load_dword s23, s[0:1], 0x18
	s_load_dwordx4 s[24:27], s[0:1], 0x20
	s_load_dword s28, s[0:1], 0x30
	v_lshl_add_u32 v0, v15, 4, v13
	v_and_b32_e32 v2, 31, v0
	v_lshrrev_b32_e32 v19, 5, v0
	v_lshrrev_b32_e32 v1, 3, v0
	v_or_b32_e32 v0, s4, v2
	v_and_b32_e32 v17, 7, v13
	s_waitcnt lgkmcnt(0)
	s_add_u32 s2, s26, s6
	v_cmp_gt_i32_e32 vcc, s20, v0
	v_lshlrev_b32_e32 v0, 3, v2
	s_addc_u32 s3, s27, s7
	v_lshl_or_b32 v21, v19, 8, v0
	v_lshlrev_b32_e32 v0, 3, v17
	v_add_u32_e32 v6, s22, v1
	s_load_dwordx2 s[26:27], s[2:3], 0x0
	s_add_u32 s2, s14, s6
	v_lshl_or_b32 v1, v1, 6, v0
	s_addc_u32 s3, s15, s7
	v_add_u32_e32 v23, 0x800, v1
	v_mov_b32_e32 v1, 0x800
	s_load_dwordx2 s[6:7], s[2:3], 0x0
	v_lshl_add_u32 v27, v15, 6, v1
	v_add_u32_e32 v1, s4, v2
	v_mad_i64_i32 v[2:3], s[14:15], s23, v1, 0
	s_lshl_b64 s[14:15], s[24:25], 3
	s_nop 0
	v_lshl_add_u64 v[2:3], v[2:3], 3, s[14:15]
	v_lshlrev_b32_e32 v4, 3, v19
	v_mov_b32_e32 v5, 0
	v_lshl_add_u64 v[2:3], v[2:3], 0, v[4:5]
	s_waitcnt lgkmcnt(0)
	v_lshl_add_u64 v[8:9], s[6:7], 0, v[2:3]
	v_mad_i64_i32 v[2:3], s[6:7], s28, v6, 0
	s_lshl_b64 s[6:7], s[8:9], 3
	s_nop 0
	v_lshl_add_u64 v[2:3], v[2:3], 3, s[6:7]
	v_mov_b32_e32 v1, v5
	v_lshl_add_u64 v[0:1], v[2:3], 0, v[0:1]
	v_cmp_gt_i32_e64 s[2:3], s20, v6
	v_lshlrev_b32_e32 v25, 3, v13
	v_lshl_add_u64 v[10:11], s[26:27], 0, v[0:1]
	v_mov_b32_e32 v14, v5
	v_mov_b32_e32 v12, v5
	;; [unrolled: 1-line block ×8, first 2 shown]
	s_branch .LBB372_8
.LBB372_7:                              ;   in Loop: Header=BB372_8 Depth=1
	s_or_b64 exec, exec, s[6:7]
	s_waitcnt vmcnt(0) lgkmcnt(0)
	ds_write_b64 v23, v[0:1]
	s_waitcnt lgkmcnt(0)
	s_barrier
	ds_read2_b64 v[28:31], v25 offset1:16
	ds_read_b128 v[32:35], v27
	ds_read_b128 v[36:39], v27 offset:16
	ds_read_b128 v[4:7], v27 offset:32
	;; [unrolled: 1-line block ×3, first 2 shown]
	ds_read2_b64 v[48:51], v25 offset0:32 offset1:48
	s_waitcnt lgkmcnt(4)
	v_mul_f32_e32 v40, v33, v29
	v_fma_f32 v40, v32, v28, -v40
	v_mul_f32_e32 v41, v32, v29
	v_fmac_f32_e32 v41, v33, v28
	v_add_f32_e32 v24, v24, v40
	v_mul_f32_e32 v40, v33, v31
	v_add_f32_e32 v26, v26, v41
	v_fma_f32 v44, v32, v30, -v40
	ds_read_b128 v[40:43], v27 offset:1024
	v_mul_f32_e32 v32, v32, v31
	v_fmac_f32_e32 v32, v33, v30
	v_add_f32_e32 v20, v20, v44
	v_add_f32_e32 v22, v22, v32
	ds_read_b128 v[44:47], v27 offset:1040
	s_waitcnt lgkmcnt(1)
	v_mul_f32_e32 v32, v41, v29
	v_mul_f32_e32 v29, v40, v29
	v_fma_f32 v32, v40, v28, -v32
	v_fmac_f32_e32 v29, v41, v28
	v_mul_f32_e32 v28, v41, v31
	v_add_f32_e32 v18, v18, v29
	v_fma_f32 v28, v40, v30, -v28
	v_mul_f32_e32 v29, v40, v31
	v_fmac_f32_e32 v29, v41, v30
	v_add_f32_e32 v12, v12, v28
	v_mul_f32_e32 v28, v35, v49
	v_add_f32_e32 v14, v14, v29
	v_fma_f32 v28, v34, v48, -v28
	v_mul_f32_e32 v29, v34, v49
	v_fmac_f32_e32 v29, v35, v48
	v_add_f32_e32 v24, v24, v28
	;; [unrolled: 6-line block ×3, first 2 shown]
	v_mul_f32_e32 v28, v43, v49
	v_add_f32_e32 v16, v16, v32
	v_add_f32_e32 v22, v22, v29
	v_fma_f32 v28, v42, v48, -v28
	v_mul_f32_e32 v29, v42, v49
	v_fmac_f32_e32 v29, v43, v48
	v_add_f32_e32 v16, v16, v28
	v_mul_f32_e32 v28, v43, v51
	v_add_f32_e32 v18, v18, v29
	v_fma_f32 v32, v42, v50, -v28
	ds_read2_b64 v[28:31], v25 offset0:64 offset1:80
	v_mul_f32_e32 v33, v42, v51
	v_add_f32_e32 v12, v12, v32
	v_fmac_f32_e32 v33, v43, v50
	v_add_f32_e32 v14, v14, v33
	s_waitcnt lgkmcnt(0)
	v_mul_f32_e32 v32, v37, v29
	v_fma_f32 v32, v36, v28, -v32
	v_mul_f32_e32 v33, v36, v29
	v_add_f32_e32 v24, v24, v32
	v_mul_f32_e32 v32, v37, v31
	v_fmac_f32_e32 v33, v37, v28
	v_fma_f32 v32, v36, v30, -v32
	v_add_f32_e32 v26, v26, v33
	v_mul_f32_e32 v33, v36, v31
	v_add_f32_e32 v20, v20, v32
	v_mul_f32_e32 v32, v45, v29
	v_fmac_f32_e32 v33, v37, v30
	v_fma_f32 v32, v44, v28, -v32
	v_add_f32_e32 v22, v22, v33
	v_add_f32_e32 v16, v16, v32
	ds_read2_b64 v[32:35], v25 offset0:96 offset1:112
	v_mul_f32_e32 v29, v44, v29
	v_fmac_f32_e32 v29, v45, v28
	v_mul_f32_e32 v28, v45, v31
	v_add_f32_e32 v18, v18, v29
	v_fma_f32 v28, v44, v30, -v28
	v_mul_f32_e32 v29, v44, v31
	v_fmac_f32_e32 v29, v45, v30
	v_add_f32_e32 v12, v12, v28
	s_waitcnt lgkmcnt(0)
	v_mul_f32_e32 v28, v39, v33
	v_add_f32_e32 v14, v14, v29
	v_fma_f32 v28, v38, v32, -v28
	v_mul_f32_e32 v29, v38, v33
	v_fmac_f32_e32 v29, v39, v32
	v_add_f32_e32 v24, v24, v28
	v_mul_f32_e32 v28, v39, v35
	v_add_f32_e32 v26, v26, v29
	v_fma_f32 v28, v38, v34, -v28
	v_mul_f32_e32 v29, v38, v35
	v_fmac_f32_e32 v29, v39, v34
	v_add_f32_e32 v20, v20, v28
	;; [unrolled: 6-line block ×3, first 2 shown]
	v_mul_f32_e32 v28, v47, v35
	v_add_f32_e32 v18, v18, v29
	v_fma_f32 v32, v46, v34, -v28
	ds_read2_b64 v[28:31], v25 offset0:128 offset1:144
	v_mul_f32_e32 v33, v46, v35
	v_fmac_f32_e32 v33, v47, v34
	v_add_f32_e32 v12, v12, v32
	v_add_f32_e32 v14, v14, v33
	s_waitcnt lgkmcnt(0)
	v_mul_f32_e32 v32, v5, v29
	v_fma_f32 v32, v4, v28, -v32
	v_mul_f32_e32 v33, v4, v29
	v_fmac_f32_e32 v33, v5, v28
	v_add_f32_e32 v24, v24, v32
	v_mul_f32_e32 v32, v5, v31
	v_add_f32_e32 v26, v26, v33
	v_fma_f32 v36, v4, v30, -v32
	ds_read_b128 v[32:35], v27 offset:1056
	v_mul_f32_e32 v4, v4, v31
	ds_read2_b64 v[40:43], v25 offset0:160 offset1:176
	v_fmac_f32_e32 v4, v5, v30
	v_add_f32_e32 v5, v20, v36
	ds_read_b128 v[36:39], v27 offset:1072
	s_waitcnt lgkmcnt(2)
	v_mul_f32_e32 v20, v33, v29
	v_fma_f32 v20, v32, v28, -v20
	v_add_f32_e32 v16, v16, v20
	v_mul_f32_e32 v20, v33, v31
	v_add_f32_e32 v4, v22, v4
	v_mul_f32_e32 v22, v32, v29
	v_fma_f32 v20, v32, v30, -v20
	v_fmac_f32_e32 v22, v33, v28
	v_add_f32_e32 v12, v12, v20
	s_waitcnt lgkmcnt(1)
	v_mul_f32_e32 v20, v7, v41
	v_add_f32_e32 v18, v18, v22
	v_mul_f32_e32 v22, v32, v31
	v_fma_f32 v20, v6, v40, -v20
	v_fmac_f32_e32 v22, v33, v30
	v_add_f32_e32 v20, v24, v20
	v_mul_f32_e32 v24, v7, v43
	v_add_f32_e32 v14, v14, v22
	v_mul_f32_e32 v22, v6, v41
	v_fma_f32 v24, v6, v42, -v24
	v_mul_f32_e32 v6, v6, v43
	v_fmac_f32_e32 v22, v7, v40
	v_fmac_f32_e32 v6, v7, v42
	v_add_f32_e32 v22, v26, v22
	v_add_f32_e32 v26, v4, v6
	v_mul_f32_e32 v4, v35, v41
	v_add_f32_e32 v24, v5, v24
	v_fma_f32 v4, v34, v40, -v4
	v_mul_f32_e32 v5, v34, v41
	v_fmac_f32_e32 v5, v35, v40
	v_add_f32_e32 v16, v16, v4
	v_mul_f32_e32 v4, v35, v43
	v_add_f32_e32 v18, v18, v5
	v_fma_f32 v28, v34, v42, -v4
	ds_read2_b64 v[4:7], v25 offset0:192 offset1:208
	v_mul_f32_e32 v29, v34, v43
	v_add_f32_e32 v12, v12, v28
	v_fmac_f32_e32 v29, v35, v42
	v_add_f32_e32 v14, v14, v29
	s_waitcnt lgkmcnt(0)
	v_mul_f32_e32 v28, v1, v5
	v_fma_f32 v28, v0, v4, -v28
	v_mul_f32_e32 v29, v0, v5
	v_add_f32_e32 v20, v20, v28
	v_mul_f32_e32 v28, v1, v7
	v_fmac_f32_e32 v29, v1, v4
	v_fma_f32 v28, v0, v6, -v28
	v_mul_f32_e32 v0, v0, v7
	v_add_f32_e32 v22, v22, v29
	v_fmac_f32_e32 v0, v1, v6
	v_add_f32_e32 v1, v24, v28
	ds_read2_b64 v[28:31], v25 offset0:224 offset1:240
	v_mul_f32_e32 v24, v37, v5
	v_fma_f32 v24, v36, v4, -v24
	v_mul_f32_e32 v5, v36, v5
	v_fmac_f32_e32 v5, v37, v4
	v_add_f32_e32 v4, v16, v24
	v_mul_f32_e32 v16, v37, v7
	v_fma_f32 v16, v36, v6, -v16
	v_mul_f32_e32 v7, v36, v7
	v_fmac_f32_e32 v7, v37, v6
	v_add_f32_e32 v6, v12, v16
	s_waitcnt lgkmcnt(0)
	v_mul_f32_e32 v12, v3, v29
	v_fma_f32 v12, v2, v28, -v12
	v_add_f32_e32 v24, v20, v12
	v_mul_f32_e32 v12, v3, v31
	v_add_f32_e32 v7, v14, v7
	v_mul_f32_e32 v14, v2, v29
	v_fma_f32 v12, v2, v30, -v12
	v_mul_f32_e32 v2, v2, v31
	v_add_f32_e32 v0, v26, v0
	v_fmac_f32_e32 v14, v3, v28
	v_fmac_f32_e32 v2, v3, v30
	v_add_f32_e32 v26, v22, v14
	v_add_f32_e32 v20, v1, v12
	v_add_f32_e32 v22, v0, v2
	v_mul_f32_e32 v0, v39, v29
	v_mul_f32_e32 v1, v38, v29
	v_add_f32_e32 v5, v18, v5
	v_fma_f32 v0, v38, v28, -v0
	v_fmac_f32_e32 v1, v39, v28
	v_add_f32_e32 v16, v4, v0
	v_add_f32_e32 v18, v5, v1
	v_mul_f32_e32 v0, v39, v31
	v_mul_f32_e32 v1, v38, v31
	v_fma_f32 v0, v38, v30, -v0
	v_fmac_f32_e32 v1, v39, v30
	s_add_i32 s5, s5, 8
	v_add_f32_e32 v12, v6, v0
	v_add_f32_e32 v14, v7, v1
	v_lshl_add_u64 v[8:9], v[8:9], 0, 64
	s_cmp_lt_i32 s5, s21
	v_lshl_add_u64 v[10:11], v[10:11], 0, 64
	s_barrier
	s_cbranch_scc0 .LBB372_12
.LBB372_8:                              ; =>This Inner Loop Header: Depth=1
	v_add_u32_e32 v0, s5, v19
	v_cmp_gt_i32_e64 s[6:7], s21, v0
	s_and_b64 s[8:9], vcc, s[6:7]
	v_mov_b32_e32 v0, 0
	v_mov_b32_e32 v1, 0
	s_and_saveexec_b64 s[6:7], s[8:9]
	s_cbranch_execz .LBB372_10
; %bb.9:                                ;   in Loop: Header=BB372_8 Depth=1
	flat_load_dwordx2 v[0:1], v[8:9]
.LBB372_10:                             ;   in Loop: Header=BB372_8 Depth=1
	s_or_b64 exec, exec, s[6:7]
	s_waitcnt vmcnt(0) lgkmcnt(0)
	ds_write_b64 v21, v[0:1]
	v_add_u32_e32 v0, s5, v17
	v_cmp_gt_i32_e64 s[6:7], s21, v0
	s_and_b64 s[8:9], s[6:7], s[2:3]
	v_mov_b32_e32 v0, 0
	v_mov_b32_e32 v1, 0
	s_and_saveexec_b64 s[6:7], s[8:9]
	s_cbranch_execz .LBB372_7
; %bb.11:                               ;   in Loop: Header=BB372_8 Depth=1
	flat_load_dwordx2 v[0:1], v[10:11]
	s_branch .LBB372_7
.LBB372_12:
	s_load_dwordx2 s[2:3], s[0:1], 0x58
	s_load_dword s14, s[0:1], 0x50
	v_add_u32_e32 v0, s4, v13
	v_add_u32_e32 v10, s22, v15
	v_cmp_neq_f32_e64 s[0:1], s16, 0
	s_waitcnt lgkmcnt(0)
	s_lshl_b64 s[2:3], s[2:3], 3
	s_add_u32 s6, s12, s2
	s_addc_u32 s7, s13, s3
	s_xor_b64 s[4:5], s[10:11], -1
	v_mad_i64_i32 v[2:3], s[2:3], v10, s14, 0
	s_or_b64 s[0:1], s[0:1], s[4:5]
	v_lshl_add_u64 v[4:5], v[2:3], 3, s[6:7]
	v_cmp_le_i32_e32 vcc, v10, v0
	v_cmp_gt_i32_e64 s[2:3], s20, v0
	v_cndmask_b32_e64 v2, 0, 1, s[0:1]
	s_and_b64 s[8:9], vcc, s[2:3]
	v_ashrrev_i32_e32 v1, 31, v0
	v_cmp_ne_u32_e64 s[0:1], 1, v2
	s_and_saveexec_b64 s[4:5], s[8:9]
	s_cbranch_execz .LBB372_16
; %bb.13:
	v_pk_mul_f32 v[6:7], v[26:27], s[18:19] op_sel:[0,1] op_sel_hi:[0,0]
	v_pk_fma_f32 v[2:3], v[24:25], s[18:19], v[6:7] op_sel_hi:[0,1,1] neg_lo:[0,0,1] neg_hi:[0,0,1]
	v_pk_fma_f32 v[8:9], v[24:25], s[18:19], v[6:7] op_sel_hi:[0,1,1]
	s_and_b64 vcc, exec, s[0:1]
	v_lshl_add_u64 v[6:7], v[0:1], 3, v[4:5]
	s_cbranch_vccnz .LBB372_15
; %bb.14:
	flat_load_dwordx2 v[24:25], v[6:7]
	s_mov_b32 s8, s17
	v_mov_b32_e32 v3, v9
	s_waitcnt vmcnt(0) lgkmcnt(0)
	v_pk_mul_f32 v[8:9], v[24:25], s[8:9] op_sel:[1,0] op_sel_hi:[0,0]
	v_pk_fma_f32 v[26:27], v[24:25], s[16:17], v[8:9] neg_lo:[0,0,1] neg_hi:[0,0,1]
	v_pk_fma_f32 v[8:9], v[24:25], s[16:17], v[8:9] op_sel_hi:[1,0,1]
	s_nop 0
	v_mov_b32_e32 v27, v9
	v_pk_add_f32 v[2:3], v[2:3], v[26:27]
	s_nop 0
	v_mov_b32_e32 v9, v3
.LBB372_15:
	v_mov_b32_e32 v3, v9
	flat_store_dwordx2 v[6:7], v[2:3]
.LBB372_16:
	s_or_b64 exec, exec, s[4:5]
	v_add_u32_e32 v2, 16, v0
	v_cmp_le_i32_e32 vcc, v10, v2
	v_cmp_gt_i32_e64 s[4:5], s20, v2
	s_and_b64 s[10:11], vcc, s[4:5]
	v_ashrrev_i32_e32 v3, 31, v2
	s_and_saveexec_b64 s[8:9], s[10:11]
	s_cbranch_execz .LBB372_20
; %bb.17:
	v_pk_mul_f32 v[8:9], v[22:23], s[18:19] op_sel:[0,1] op_sel_hi:[0,0]
	v_pk_fma_f32 v[6:7], v[20:21], s[18:19], v[8:9] op_sel_hi:[0,1,1] neg_lo:[0,0,1] neg_hi:[0,0,1]
	v_pk_fma_f32 v[8:9], v[20:21], s[18:19], v[8:9] op_sel_hi:[0,1,1]
	s_and_b64 vcc, exec, s[0:1]
	v_lshl_add_u64 v[4:5], v[2:3], 3, v[4:5]
	s_cbranch_vccnz .LBB372_19
; %bb.18:
	flat_load_dwordx2 v[20:21], v[4:5]
	s_mov_b32 s10, s17
	v_mov_b32_e32 v7, v9
	s_waitcnt vmcnt(0) lgkmcnt(0)
	v_pk_mul_f32 v[8:9], v[20:21], s[10:11] op_sel:[1,0] op_sel_hi:[0,0]
	v_pk_fma_f32 v[22:23], v[20:21], s[16:17], v[8:9] neg_lo:[0,0,1] neg_hi:[0,0,1]
	v_pk_fma_f32 v[8:9], v[20:21], s[16:17], v[8:9] op_sel_hi:[1,0,1]
	s_nop 0
	v_mov_b32_e32 v23, v9
	v_pk_add_f32 v[6:7], v[6:7], v[22:23]
	s_nop 0
	v_mov_b32_e32 v9, v7
.LBB372_19:
	v_mov_b32_e32 v7, v9
	flat_store_dwordx2 v[4:5], v[6:7]
.LBB372_20:
	s_or_b64 exec, exec, s[8:9]
	v_add_u32_e32 v10, 16, v10
	v_mad_i64_i32 v[4:5], s[8:9], v10, s14, 0
	v_cmp_le_i32_e32 vcc, v10, v0
	v_lshl_add_u64 v[4:5], v[4:5], 3, s[6:7]
	s_and_b64 s[6:7], vcc, s[2:3]
	s_and_saveexec_b64 s[2:3], s[6:7]
	s_cbranch_execz .LBB372_24
; %bb.21:
	v_pk_mul_f32 v[8:9], v[18:19], s[18:19] op_sel:[0,1] op_sel_hi:[0,0]
	v_pk_fma_f32 v[6:7], v[16:17], s[18:19], v[8:9] op_sel_hi:[0,1,1] neg_lo:[0,0,1] neg_hi:[0,0,1]
	v_pk_fma_f32 v[8:9], v[16:17], s[18:19], v[8:9] op_sel_hi:[0,1,1]
	s_and_b64 vcc, exec, s[0:1]
	v_lshl_add_u64 v[0:1], v[0:1], 3, v[4:5]
	s_cbranch_vccnz .LBB372_23
; %bb.22:
	flat_load_dwordx2 v[16:17], v[0:1]
	s_mov_b32 s6, s17
	v_mov_b32_e32 v7, v9
	s_waitcnt vmcnt(0) lgkmcnt(0)
	v_pk_mul_f32 v[8:9], v[16:17], s[6:7] op_sel:[1,0] op_sel_hi:[0,0]
	v_pk_fma_f32 v[18:19], v[16:17], s[16:17], v[8:9] neg_lo:[0,0,1] neg_hi:[0,0,1]
	v_pk_fma_f32 v[8:9], v[16:17], s[16:17], v[8:9] op_sel_hi:[1,0,1]
	s_nop 0
	v_mov_b32_e32 v19, v9
	v_pk_add_f32 v[6:7], v[6:7], v[18:19]
	s_nop 0
	v_mov_b32_e32 v9, v7
.LBB372_23:
	v_mov_b32_e32 v7, v9
	flat_store_dwordx2 v[0:1], v[6:7]
.LBB372_24:
	s_or_b64 exec, exec, s[2:3]
	v_cmp_le_i32_e32 vcc, v10, v2
	s_and_b64 s[2:3], vcc, s[4:5]
	s_and_saveexec_b64 s[4:5], s[2:3]
	s_cbranch_execz .LBB372_28
; %bb.25:
	v_pk_mul_f32 v[6:7], v[14:15], s[18:19] op_sel:[0,1] op_sel_hi:[0,0]
	v_pk_fma_f32 v[0:1], v[12:13], s[18:19], v[6:7] op_sel_hi:[0,1,1] neg_lo:[0,0,1] neg_hi:[0,0,1]
	v_pk_fma_f32 v[6:7], v[12:13], s[18:19], v[6:7] op_sel_hi:[0,1,1]
	s_and_b64 vcc, exec, s[0:1]
	v_lshl_add_u64 v[2:3], v[2:3], 3, v[4:5]
	s_cbranch_vccnz .LBB372_27
; %bb.26:
	flat_load_dwordx2 v[4:5], v[2:3]
	s_mov_b32 s0, s17
	v_mov_b32_e32 v1, v7
	s_waitcnt vmcnt(0) lgkmcnt(0)
	v_pk_mul_f32 v[6:7], v[4:5], s[0:1] op_sel:[1,0] op_sel_hi:[0,0]
	v_pk_fma_f32 v[8:9], v[4:5], s[16:17], v[6:7] neg_lo:[0,0,1] neg_hi:[0,0,1]
	v_pk_fma_f32 v[4:5], v[4:5], s[16:17], v[6:7] op_sel_hi:[1,0,1]
	s_nop 0
	v_mov_b32_e32 v9, v5
	v_pk_add_f32 v[0:1], v[0:1], v[8:9]
	s_nop 0
	v_mov_b32_e32 v7, v1
.LBB372_27:
	v_mov_b32_e32 v1, v7
	flat_store_dwordx2 v[2:3], v[0:1]
.LBB372_28:
	s_endpgm
	.section	.rodata,"a",@progbits
	.p2align	6, 0x0
	.amdhsa_kernel _ZL29rocblas_internal_gemmt_kernelIiLi16ELi32ELi8ELc84ELc78ELc76ELb0ELb0E19rocblas_complex_numIfEPKS1_PKS3_PKPS1_EviT_T9_T10_S9_lSB_S9_lSA_T11_S9_li
		.amdhsa_group_segment_fixed_size 4096
		.amdhsa_private_segment_fixed_size 0
		.amdhsa_kernarg_size 100
		.amdhsa_user_sgpr_count 2
		.amdhsa_user_sgpr_dispatch_ptr 0
		.amdhsa_user_sgpr_queue_ptr 0
		.amdhsa_user_sgpr_kernarg_segment_ptr 1
		.amdhsa_user_sgpr_dispatch_id 0
		.amdhsa_user_sgpr_kernarg_preload_length 0
		.amdhsa_user_sgpr_kernarg_preload_offset 0
		.amdhsa_user_sgpr_private_segment_size 0
		.amdhsa_uses_dynamic_stack 0
		.amdhsa_enable_private_segment 0
		.amdhsa_system_sgpr_workgroup_id_x 1
		.amdhsa_system_sgpr_workgroup_id_y 1
		.amdhsa_system_sgpr_workgroup_id_z 1
		.amdhsa_system_sgpr_workgroup_info 0
		.amdhsa_system_vgpr_workitem_id 1
		.amdhsa_next_free_vgpr 52
		.amdhsa_next_free_sgpr 29
		.amdhsa_accum_offset 52
		.amdhsa_reserve_vcc 1
		.amdhsa_float_round_mode_32 0
		.amdhsa_float_round_mode_16_64 0
		.amdhsa_float_denorm_mode_32 3
		.amdhsa_float_denorm_mode_16_64 3
		.amdhsa_dx10_clamp 1
		.amdhsa_ieee_mode 1
		.amdhsa_fp16_overflow 0
		.amdhsa_tg_split 0
		.amdhsa_exception_fp_ieee_invalid_op 0
		.amdhsa_exception_fp_denorm_src 0
		.amdhsa_exception_fp_ieee_div_zero 0
		.amdhsa_exception_fp_ieee_overflow 0
		.amdhsa_exception_fp_ieee_underflow 0
		.amdhsa_exception_fp_ieee_inexact 0
		.amdhsa_exception_int_div_zero 0
	.end_amdhsa_kernel
	.section	.text._ZL29rocblas_internal_gemmt_kernelIiLi16ELi32ELi8ELc84ELc78ELc76ELb0ELb0E19rocblas_complex_numIfEPKS1_PKS3_PKPS1_EviT_T9_T10_S9_lSB_S9_lSA_T11_S9_li,"axG",@progbits,_ZL29rocblas_internal_gemmt_kernelIiLi16ELi32ELi8ELc84ELc78ELc76ELb0ELb0E19rocblas_complex_numIfEPKS1_PKS3_PKPS1_EviT_T9_T10_S9_lSB_S9_lSA_T11_S9_li,comdat
.Lfunc_end372:
	.size	_ZL29rocblas_internal_gemmt_kernelIiLi16ELi32ELi8ELc84ELc78ELc76ELb0ELb0E19rocblas_complex_numIfEPKS1_PKS3_PKPS1_EviT_T9_T10_S9_lSB_S9_lSA_T11_S9_li, .Lfunc_end372-_ZL29rocblas_internal_gemmt_kernelIiLi16ELi32ELi8ELc84ELc78ELc76ELb0ELb0E19rocblas_complex_numIfEPKS1_PKS3_PKPS1_EviT_T9_T10_S9_lSB_S9_lSA_T11_S9_li
                                        ; -- End function
	.set _ZL29rocblas_internal_gemmt_kernelIiLi16ELi32ELi8ELc84ELc78ELc76ELb0ELb0E19rocblas_complex_numIfEPKS1_PKS3_PKPS1_EviT_T9_T10_S9_lSB_S9_lSA_T11_S9_li.num_vgpr, 52
	.set _ZL29rocblas_internal_gemmt_kernelIiLi16ELi32ELi8ELc84ELc78ELc76ELb0ELb0E19rocblas_complex_numIfEPKS1_PKS3_PKPS1_EviT_T9_T10_S9_lSB_S9_lSA_T11_S9_li.num_agpr, 0
	.set _ZL29rocblas_internal_gemmt_kernelIiLi16ELi32ELi8ELc84ELc78ELc76ELb0ELb0E19rocblas_complex_numIfEPKS1_PKS3_PKPS1_EviT_T9_T10_S9_lSB_S9_lSA_T11_S9_li.numbered_sgpr, 29
	.set _ZL29rocblas_internal_gemmt_kernelIiLi16ELi32ELi8ELc84ELc78ELc76ELb0ELb0E19rocblas_complex_numIfEPKS1_PKS3_PKPS1_EviT_T9_T10_S9_lSB_S9_lSA_T11_S9_li.num_named_barrier, 0
	.set _ZL29rocblas_internal_gemmt_kernelIiLi16ELi32ELi8ELc84ELc78ELc76ELb0ELb0E19rocblas_complex_numIfEPKS1_PKS3_PKPS1_EviT_T9_T10_S9_lSB_S9_lSA_T11_S9_li.private_seg_size, 0
	.set _ZL29rocblas_internal_gemmt_kernelIiLi16ELi32ELi8ELc84ELc78ELc76ELb0ELb0E19rocblas_complex_numIfEPKS1_PKS3_PKPS1_EviT_T9_T10_S9_lSB_S9_lSA_T11_S9_li.uses_vcc, 1
	.set _ZL29rocblas_internal_gemmt_kernelIiLi16ELi32ELi8ELc84ELc78ELc76ELb0ELb0E19rocblas_complex_numIfEPKS1_PKS3_PKPS1_EviT_T9_T10_S9_lSB_S9_lSA_T11_S9_li.uses_flat_scratch, 0
	.set _ZL29rocblas_internal_gemmt_kernelIiLi16ELi32ELi8ELc84ELc78ELc76ELb0ELb0E19rocblas_complex_numIfEPKS1_PKS3_PKPS1_EviT_T9_T10_S9_lSB_S9_lSA_T11_S9_li.has_dyn_sized_stack, 0
	.set _ZL29rocblas_internal_gemmt_kernelIiLi16ELi32ELi8ELc84ELc78ELc76ELb0ELb0E19rocblas_complex_numIfEPKS1_PKS3_PKPS1_EviT_T9_T10_S9_lSB_S9_lSA_T11_S9_li.has_recursion, 0
	.set _ZL29rocblas_internal_gemmt_kernelIiLi16ELi32ELi8ELc84ELc78ELc76ELb0ELb0E19rocblas_complex_numIfEPKS1_PKS3_PKPS1_EviT_T9_T10_S9_lSB_S9_lSA_T11_S9_li.has_indirect_call, 0
	.section	.AMDGPU.csdata,"",@progbits
; Kernel info:
; codeLenInByte = 2476
; TotalNumSgprs: 35
; NumVgprs: 52
; NumAgprs: 0
; TotalNumVgprs: 52
; ScratchSize: 0
; MemoryBound: 0
; FloatMode: 240
; IeeeMode: 1
; LDSByteSize: 4096 bytes/workgroup (compile time only)
; SGPRBlocks: 4
; VGPRBlocks: 6
; NumSGPRsForWavesPerEU: 35
; NumVGPRsForWavesPerEU: 52
; AccumOffset: 52
; Occupancy: 8
; WaveLimiterHint : 1
; COMPUTE_PGM_RSRC2:SCRATCH_EN: 0
; COMPUTE_PGM_RSRC2:USER_SGPR: 2
; COMPUTE_PGM_RSRC2:TRAP_HANDLER: 0
; COMPUTE_PGM_RSRC2:TGID_X_EN: 1
; COMPUTE_PGM_RSRC2:TGID_Y_EN: 1
; COMPUTE_PGM_RSRC2:TGID_Z_EN: 1
; COMPUTE_PGM_RSRC2:TIDIG_COMP_CNT: 1
; COMPUTE_PGM_RSRC3_GFX90A:ACCUM_OFFSET: 12
; COMPUTE_PGM_RSRC3_GFX90A:TG_SPLIT: 0
	.section	.text._ZL29rocblas_internal_gemmt_kernelIiLi16ELi32ELi8ELc84ELc84ELc76ELb0ELb0E19rocblas_complex_numIfEPKS1_PKS3_PKPS1_EviT_T9_T10_S9_lSB_S9_lSA_T11_S9_li,"axG",@progbits,_ZL29rocblas_internal_gemmt_kernelIiLi16ELi32ELi8ELc84ELc84ELc76ELb0ELb0E19rocblas_complex_numIfEPKS1_PKS3_PKPS1_EviT_T9_T10_S9_lSB_S9_lSA_T11_S9_li,comdat
	.globl	_ZL29rocblas_internal_gemmt_kernelIiLi16ELi32ELi8ELc84ELc84ELc76ELb0ELb0E19rocblas_complex_numIfEPKS1_PKS3_PKPS1_EviT_T9_T10_S9_lSB_S9_lSA_T11_S9_li ; -- Begin function _ZL29rocblas_internal_gemmt_kernelIiLi16ELi32ELi8ELc84ELc84ELc76ELb0ELb0E19rocblas_complex_numIfEPKS1_PKS3_PKPS1_EviT_T9_T10_S9_lSB_S9_lSA_T11_S9_li
	.p2align	8
	.type	_ZL29rocblas_internal_gemmt_kernelIiLi16ELi32ELi8ELc84ELc84ELc76ELb0ELb0E19rocblas_complex_numIfEPKS1_PKS3_PKPS1_EviT_T9_T10_S9_lSB_S9_lSA_T11_S9_li,@function
_ZL29rocblas_internal_gemmt_kernelIiLi16ELi32ELi8ELc84ELc84ELc76ELb0ELb0E19rocblas_complex_numIfEPKS1_PKS3_PKPS1_EviT_T9_T10_S9_lSB_S9_lSA_T11_S9_li: ; @_ZL29rocblas_internal_gemmt_kernelIiLi16ELi32ELi8ELc84ELc84ELc76ELb0ELb0E19rocblas_complex_numIfEPKS1_PKS3_PKPS1_EviT_T9_T10_S9_lSB_S9_lSA_T11_S9_li
; %bb.0:
	s_load_dwordx4 s[8:11], s[0:1], 0x38
	s_load_dwordx4 s[12:15], s[0:1], 0x8
	s_waitcnt lgkmcnt(0)
	s_load_dwordx2 s[16:17], s[10:11], 0x0
	s_load_dwordx2 s[20:21], s[0:1], 0x0
	s_load_dwordx2 s[18:19], s[12:13], 0x0
	s_waitcnt lgkmcnt(0)
	s_and_b32 s5, s17, 0x7fffffff
	s_cmp_eq_u32 s5, 0
	v_cmp_eq_f32_e64 s[6:7], s16, 1.0
	s_cselect_b64 s[10:11], -1, 0
	s_and_b64 s[6:7], s[6:7], s[10:11]
	s_and_b64 vcc, exec, s[6:7]
	s_cbranch_vccnz .LBB373_2
; %bb.1:
	s_mov_b64 s[6:7], -1
	s_cbranch_execz .LBB373_3
	s_branch .LBB373_4
.LBB373_2:
	s_mov_b64 s[6:7], 0
.LBB373_3:
	s_cmp_lg_u32 s21, 0
	v_cmp_neq_f32_e64 s[12:13], s18, 0
	v_cmp_neq_f32_e64 s[22:23], s19, 0
	s_cselect_b64 s[6:7], -1, 0
	s_or_b64 s[12:13], s[12:13], s[22:23]
	s_and_b64 s[6:7], s[6:7], s[12:13]
.LBB373_4:
	s_andn2_b64 vcc, exec, s[6:7]
	s_cbranch_vccnz .LBB373_28
; %bb.5:
	s_load_dwordx2 s[12:13], s[0:1], 0x48
	s_mov_b32 s5, 0
	s_lshl_b64 s[6:7], s[4:5], 3
	v_cmp_eq_f32_e64 s[24:25], s19, 0
	v_and_b32_e32 v13, 0x3ff, v0
	s_waitcnt lgkmcnt(0)
	s_add_u32 s12, s12, s6
	s_addc_u32 s13, s13, s7
	s_lshl_b32 s4, s2, 5
	s_lshl_b32 s22, s3, 5
	v_cmp_eq_f32_e64 s[2:3], s18, 0
	s_load_dwordx2 s[12:13], s[12:13], 0x0
	s_and_b64 s[2:3], s[2:3], s[24:25]
	s_cmp_lt_i32 s21, 1
	s_cselect_b64 s[24:25], -1, 0
	s_or_b64 s[2:3], s[2:3], s[24:25]
	v_bfe_u32 v15, v0, 10, 10
	v_mov_b32_e32 v24, 0
	s_and_b64 vcc, exec, s[2:3]
	v_mov_b32_e32 v26, 0
	v_mov_b32_e32 v20, 0
	v_mov_b32_e32 v22, 0
	v_mov_b32_e32 v16, 0
	v_mov_b32_e32 v18, 0
	v_mov_b32_e32 v12, 0
	v_mov_b32_e32 v14, 0
	s_cbranch_vccnz .LBB373_12
; %bb.6:
	s_load_dword s23, s[0:1], 0x18
	s_load_dword s28, s[0:1], 0x30
	s_load_dwordx4 s[24:27], s[0:1], 0x20
	v_lshl_add_u32 v1, v15, 4, v13
	v_and_b32_e32 v3, 31, v1
	v_lshrrev_b32_e32 v19, 5, v1
	s_waitcnt lgkmcnt(0)
	s_ashr_i32 s29, s28, 31
	v_lshrrev_b32_e32 v2, 3, v1
	v_or_b32_e32 v1, s4, v3
	s_add_u32 s2, s26, s6
	v_and_b32_e32 v17, 7, v13
	s_addc_u32 s3, s27, s7
	v_cmp_gt_i32_e32 vcc, s20, v1
	v_lshlrev_b32_e32 v1, 3, v3
	s_load_dwordx2 s[26:27], s[2:3], 0x0
	s_add_u32 s2, s14, s6
	v_lshl_or_b32 v21, v19, 8, v1
	v_lshlrev_b32_e32 v1, 3, v17
	v_add_u32_e32 v0, s22, v2
	s_addc_u32 s3, s15, s7
	v_lshl_or_b32 v1, v2, 6, v1
	v_mov_b32_e32 v2, 0x800
	s_load_dwordx2 s[6:7], s[2:3], 0x0
	v_lshl_add_u32 v27, v15, 6, v2
	v_add_u32_e32 v2, s4, v3
	v_mad_i64_i32 v[2:3], s[14:15], s23, v2, 0
	s_lshl_b64 s[14:15], s[24:25], 3
	s_nop 0
	v_lshl_add_u64 v[2:3], v[2:3], 3, s[14:15]
	v_lshlrev_b32_e32 v4, 3, v19
	v_mov_b32_e32 v5, 0
	v_lshl_add_u64 v[2:3], v[2:3], 0, v[4:5]
	s_waitcnt lgkmcnt(0)
	v_lshl_add_u64 v[8:9], s[6:7], 0, v[2:3]
	v_mad_i64_i32 v[2:3], s[6:7], s28, v17, 0
	s_lshl_b64 s[6:7], s[8:9], 3
	v_add_u32_e32 v23, 0x800, v1
	v_ashrrev_i32_e32 v1, 31, v0
	v_lshl_add_u64 v[2:3], v[2:3], 3, s[6:7]
	v_cmp_gt_i32_e64 s[2:3], s20, v0
	v_lshl_add_u64 v[0:1], v[0:1], 3, v[2:3]
	v_lshlrev_b32_e32 v25, 3, v13
	v_lshl_add_u64 v[10:11], s[26:27], 0, v[0:1]
	s_lshl_b64 s[8:9], s[28:29], 6
	v_mov_b32_e32 v14, v5
	v_mov_b32_e32 v12, v5
	;; [unrolled: 1-line block ×8, first 2 shown]
	s_branch .LBB373_8
.LBB373_7:                              ;   in Loop: Header=BB373_8 Depth=1
	s_or_b64 exec, exec, s[6:7]
	s_waitcnt vmcnt(0) lgkmcnt(0)
	ds_write_b64 v23, v[0:1]
	s_waitcnt lgkmcnt(0)
	s_barrier
	ds_read2_b64 v[28:31], v25 offset1:16
	ds_read_b128 v[32:35], v27
	ds_read_b128 v[36:39], v27 offset:16
	ds_read_b128 v[4:7], v27 offset:32
	;; [unrolled: 1-line block ×3, first 2 shown]
	ds_read2_b64 v[48:51], v25 offset0:32 offset1:48
	s_waitcnt lgkmcnt(4)
	v_mul_f32_e32 v40, v33, v29
	v_fma_f32 v40, v32, v28, -v40
	v_mul_f32_e32 v41, v32, v29
	v_fmac_f32_e32 v41, v33, v28
	v_add_f32_e32 v24, v24, v40
	v_mul_f32_e32 v40, v33, v31
	v_add_f32_e32 v26, v26, v41
	v_fma_f32 v44, v32, v30, -v40
	ds_read_b128 v[40:43], v27 offset:1024
	v_mul_f32_e32 v32, v32, v31
	v_fmac_f32_e32 v32, v33, v30
	v_add_f32_e32 v20, v20, v44
	v_add_f32_e32 v22, v22, v32
	ds_read_b128 v[44:47], v27 offset:1040
	s_waitcnt lgkmcnt(1)
	v_mul_f32_e32 v32, v41, v29
	v_mul_f32_e32 v29, v40, v29
	v_fma_f32 v32, v40, v28, -v32
	v_fmac_f32_e32 v29, v41, v28
	v_mul_f32_e32 v28, v41, v31
	v_add_f32_e32 v18, v18, v29
	v_fma_f32 v28, v40, v30, -v28
	v_mul_f32_e32 v29, v40, v31
	v_fmac_f32_e32 v29, v41, v30
	v_add_f32_e32 v12, v12, v28
	v_mul_f32_e32 v28, v35, v49
	v_add_f32_e32 v14, v14, v29
	v_fma_f32 v28, v34, v48, -v28
	v_mul_f32_e32 v29, v34, v49
	v_fmac_f32_e32 v29, v35, v48
	v_add_f32_e32 v24, v24, v28
	;; [unrolled: 6-line block ×3, first 2 shown]
	v_mul_f32_e32 v28, v43, v49
	v_add_f32_e32 v16, v16, v32
	v_add_f32_e32 v22, v22, v29
	v_fma_f32 v28, v42, v48, -v28
	v_mul_f32_e32 v29, v42, v49
	v_fmac_f32_e32 v29, v43, v48
	v_add_f32_e32 v16, v16, v28
	v_mul_f32_e32 v28, v43, v51
	v_add_f32_e32 v18, v18, v29
	v_fma_f32 v32, v42, v50, -v28
	ds_read2_b64 v[28:31], v25 offset0:64 offset1:80
	v_mul_f32_e32 v33, v42, v51
	v_add_f32_e32 v12, v12, v32
	v_fmac_f32_e32 v33, v43, v50
	v_add_f32_e32 v14, v14, v33
	s_waitcnt lgkmcnt(0)
	v_mul_f32_e32 v32, v37, v29
	v_fma_f32 v32, v36, v28, -v32
	v_mul_f32_e32 v33, v36, v29
	v_add_f32_e32 v24, v24, v32
	v_mul_f32_e32 v32, v37, v31
	v_fmac_f32_e32 v33, v37, v28
	v_fma_f32 v32, v36, v30, -v32
	v_add_f32_e32 v26, v26, v33
	v_mul_f32_e32 v33, v36, v31
	v_add_f32_e32 v20, v20, v32
	v_mul_f32_e32 v32, v45, v29
	v_fmac_f32_e32 v33, v37, v30
	v_fma_f32 v32, v44, v28, -v32
	v_add_f32_e32 v22, v22, v33
	v_add_f32_e32 v16, v16, v32
	ds_read2_b64 v[32:35], v25 offset0:96 offset1:112
	v_mul_f32_e32 v29, v44, v29
	v_fmac_f32_e32 v29, v45, v28
	v_mul_f32_e32 v28, v45, v31
	v_add_f32_e32 v18, v18, v29
	v_fma_f32 v28, v44, v30, -v28
	v_mul_f32_e32 v29, v44, v31
	v_fmac_f32_e32 v29, v45, v30
	v_add_f32_e32 v12, v12, v28
	s_waitcnt lgkmcnt(0)
	v_mul_f32_e32 v28, v39, v33
	v_add_f32_e32 v14, v14, v29
	v_fma_f32 v28, v38, v32, -v28
	v_mul_f32_e32 v29, v38, v33
	v_fmac_f32_e32 v29, v39, v32
	v_add_f32_e32 v24, v24, v28
	v_mul_f32_e32 v28, v39, v35
	v_add_f32_e32 v26, v26, v29
	v_fma_f32 v28, v38, v34, -v28
	v_mul_f32_e32 v29, v38, v35
	v_fmac_f32_e32 v29, v39, v34
	v_add_f32_e32 v20, v20, v28
	;; [unrolled: 6-line block ×3, first 2 shown]
	v_mul_f32_e32 v28, v47, v35
	v_add_f32_e32 v18, v18, v29
	v_fma_f32 v32, v46, v34, -v28
	ds_read2_b64 v[28:31], v25 offset0:128 offset1:144
	v_mul_f32_e32 v33, v46, v35
	v_fmac_f32_e32 v33, v47, v34
	v_add_f32_e32 v12, v12, v32
	v_add_f32_e32 v14, v14, v33
	s_waitcnt lgkmcnt(0)
	v_mul_f32_e32 v32, v5, v29
	v_fma_f32 v32, v4, v28, -v32
	v_mul_f32_e32 v33, v4, v29
	v_fmac_f32_e32 v33, v5, v28
	v_add_f32_e32 v24, v24, v32
	v_mul_f32_e32 v32, v5, v31
	v_add_f32_e32 v26, v26, v33
	v_fma_f32 v36, v4, v30, -v32
	ds_read_b128 v[32:35], v27 offset:1056
	v_mul_f32_e32 v4, v4, v31
	ds_read2_b64 v[40:43], v25 offset0:160 offset1:176
	v_fmac_f32_e32 v4, v5, v30
	v_add_f32_e32 v5, v20, v36
	ds_read_b128 v[36:39], v27 offset:1072
	s_waitcnt lgkmcnt(2)
	v_mul_f32_e32 v20, v33, v29
	v_fma_f32 v20, v32, v28, -v20
	v_add_f32_e32 v16, v16, v20
	v_mul_f32_e32 v20, v33, v31
	v_add_f32_e32 v4, v22, v4
	v_mul_f32_e32 v22, v32, v29
	v_fma_f32 v20, v32, v30, -v20
	v_fmac_f32_e32 v22, v33, v28
	v_add_f32_e32 v12, v12, v20
	s_waitcnt lgkmcnt(1)
	v_mul_f32_e32 v20, v7, v41
	v_add_f32_e32 v18, v18, v22
	v_mul_f32_e32 v22, v32, v31
	v_fma_f32 v20, v6, v40, -v20
	v_fmac_f32_e32 v22, v33, v30
	v_add_f32_e32 v20, v24, v20
	v_mul_f32_e32 v24, v7, v43
	v_add_f32_e32 v14, v14, v22
	v_mul_f32_e32 v22, v6, v41
	v_fma_f32 v24, v6, v42, -v24
	v_mul_f32_e32 v6, v6, v43
	v_fmac_f32_e32 v22, v7, v40
	v_fmac_f32_e32 v6, v7, v42
	v_add_f32_e32 v22, v26, v22
	v_add_f32_e32 v26, v4, v6
	v_mul_f32_e32 v4, v35, v41
	v_add_f32_e32 v24, v5, v24
	v_fma_f32 v4, v34, v40, -v4
	v_mul_f32_e32 v5, v34, v41
	v_fmac_f32_e32 v5, v35, v40
	v_add_f32_e32 v16, v16, v4
	v_mul_f32_e32 v4, v35, v43
	v_add_f32_e32 v18, v18, v5
	v_fma_f32 v28, v34, v42, -v4
	ds_read2_b64 v[4:7], v25 offset0:192 offset1:208
	v_mul_f32_e32 v29, v34, v43
	v_add_f32_e32 v12, v12, v28
	v_fmac_f32_e32 v29, v35, v42
	v_add_f32_e32 v14, v14, v29
	s_waitcnt lgkmcnt(0)
	v_mul_f32_e32 v28, v1, v5
	v_fma_f32 v28, v0, v4, -v28
	v_mul_f32_e32 v29, v0, v5
	v_add_f32_e32 v20, v20, v28
	v_mul_f32_e32 v28, v1, v7
	v_fmac_f32_e32 v29, v1, v4
	v_fma_f32 v28, v0, v6, -v28
	v_mul_f32_e32 v0, v0, v7
	v_add_f32_e32 v22, v22, v29
	v_fmac_f32_e32 v0, v1, v6
	v_add_f32_e32 v1, v24, v28
	ds_read2_b64 v[28:31], v25 offset0:224 offset1:240
	v_mul_f32_e32 v24, v37, v5
	v_fma_f32 v24, v36, v4, -v24
	v_mul_f32_e32 v5, v36, v5
	v_fmac_f32_e32 v5, v37, v4
	v_add_f32_e32 v4, v16, v24
	v_mul_f32_e32 v16, v37, v7
	v_fma_f32 v16, v36, v6, -v16
	v_mul_f32_e32 v7, v36, v7
	v_fmac_f32_e32 v7, v37, v6
	v_add_f32_e32 v6, v12, v16
	s_waitcnt lgkmcnt(0)
	v_mul_f32_e32 v12, v3, v29
	v_fma_f32 v12, v2, v28, -v12
	v_add_f32_e32 v24, v20, v12
	v_mul_f32_e32 v12, v3, v31
	v_add_f32_e32 v7, v14, v7
	v_mul_f32_e32 v14, v2, v29
	v_fma_f32 v12, v2, v30, -v12
	v_mul_f32_e32 v2, v2, v31
	v_add_f32_e32 v0, v26, v0
	v_fmac_f32_e32 v14, v3, v28
	v_fmac_f32_e32 v2, v3, v30
	v_add_f32_e32 v26, v22, v14
	v_add_f32_e32 v20, v1, v12
	;; [unrolled: 1-line block ×3, first 2 shown]
	v_mul_f32_e32 v0, v39, v29
	v_mul_f32_e32 v1, v38, v29
	v_add_f32_e32 v5, v18, v5
	v_fma_f32 v0, v38, v28, -v0
	v_fmac_f32_e32 v1, v39, v28
	v_add_f32_e32 v16, v4, v0
	v_add_f32_e32 v18, v5, v1
	v_mul_f32_e32 v0, v39, v31
	v_mul_f32_e32 v1, v38, v31
	v_fma_f32 v0, v38, v30, -v0
	v_fmac_f32_e32 v1, v39, v30
	s_add_i32 s5, s5, 8
	v_add_f32_e32 v12, v6, v0
	v_add_f32_e32 v14, v7, v1
	v_lshl_add_u64 v[8:9], v[8:9], 0, 64
	s_cmp_lt_i32 s5, s21
	v_lshl_add_u64 v[10:11], v[10:11], 0, s[8:9]
	s_barrier
	s_cbranch_scc0 .LBB373_12
.LBB373_8:                              ; =>This Inner Loop Header: Depth=1
	v_add_u32_e32 v0, s5, v19
	v_cmp_gt_i32_e64 s[6:7], s21, v0
	s_and_b64 s[14:15], vcc, s[6:7]
	v_mov_b32_e32 v0, 0
	v_mov_b32_e32 v1, 0
	s_and_saveexec_b64 s[6:7], s[14:15]
	s_cbranch_execz .LBB373_10
; %bb.9:                                ;   in Loop: Header=BB373_8 Depth=1
	flat_load_dwordx2 v[0:1], v[8:9]
.LBB373_10:                             ;   in Loop: Header=BB373_8 Depth=1
	s_or_b64 exec, exec, s[6:7]
	s_waitcnt vmcnt(0) lgkmcnt(0)
	ds_write_b64 v21, v[0:1]
	v_add_u32_e32 v0, s5, v17
	v_cmp_gt_i32_e64 s[6:7], s21, v0
	s_and_b64 s[14:15], s[6:7], s[2:3]
	v_mov_b32_e32 v0, 0
	v_mov_b32_e32 v1, 0
	s_and_saveexec_b64 s[6:7], s[14:15]
	s_cbranch_execz .LBB373_7
; %bb.11:                               ;   in Loop: Header=BB373_8 Depth=1
	flat_load_dwordx2 v[0:1], v[10:11]
	s_branch .LBB373_7
.LBB373_12:
	s_load_dwordx2 s[2:3], s[0:1], 0x58
	s_load_dword s14, s[0:1], 0x50
	v_add_u32_e32 v0, s4, v13
	v_add_u32_e32 v10, s22, v15
	v_cmp_neq_f32_e64 s[0:1], s16, 0
	s_waitcnt lgkmcnt(0)
	s_lshl_b64 s[2:3], s[2:3], 3
	s_add_u32 s6, s12, s2
	s_addc_u32 s7, s13, s3
	s_xor_b64 s[4:5], s[10:11], -1
	v_mad_i64_i32 v[2:3], s[2:3], v10, s14, 0
	s_or_b64 s[0:1], s[0:1], s[4:5]
	v_lshl_add_u64 v[4:5], v[2:3], 3, s[6:7]
	v_cmp_le_i32_e32 vcc, v10, v0
	v_cmp_gt_i32_e64 s[2:3], s20, v0
	v_cndmask_b32_e64 v2, 0, 1, s[0:1]
	s_and_b64 s[8:9], vcc, s[2:3]
	v_ashrrev_i32_e32 v1, 31, v0
	v_cmp_ne_u32_e64 s[0:1], 1, v2
	s_and_saveexec_b64 s[4:5], s[8:9]
	s_cbranch_execz .LBB373_16
; %bb.13:
	v_pk_mul_f32 v[6:7], v[26:27], s[18:19] op_sel:[0,1] op_sel_hi:[0,0]
	v_pk_fma_f32 v[2:3], v[24:25], s[18:19], v[6:7] op_sel_hi:[0,1,1] neg_lo:[0,0,1] neg_hi:[0,0,1]
	v_pk_fma_f32 v[8:9], v[24:25], s[18:19], v[6:7] op_sel_hi:[0,1,1]
	s_and_b64 vcc, exec, s[0:1]
	v_lshl_add_u64 v[6:7], v[0:1], 3, v[4:5]
	s_cbranch_vccnz .LBB373_15
; %bb.14:
	flat_load_dwordx2 v[24:25], v[6:7]
	s_mov_b32 s8, s17
	v_mov_b32_e32 v3, v9
	s_waitcnt vmcnt(0) lgkmcnt(0)
	v_pk_mul_f32 v[8:9], v[24:25], s[8:9] op_sel:[1,0] op_sel_hi:[0,0]
	v_pk_fma_f32 v[26:27], v[24:25], s[16:17], v[8:9] neg_lo:[0,0,1] neg_hi:[0,0,1]
	v_pk_fma_f32 v[8:9], v[24:25], s[16:17], v[8:9] op_sel_hi:[1,0,1]
	s_nop 0
	v_mov_b32_e32 v27, v9
	v_pk_add_f32 v[2:3], v[2:3], v[26:27]
	s_nop 0
	v_mov_b32_e32 v9, v3
.LBB373_15:
	v_mov_b32_e32 v3, v9
	flat_store_dwordx2 v[6:7], v[2:3]
.LBB373_16:
	s_or_b64 exec, exec, s[4:5]
	v_add_u32_e32 v2, 16, v0
	v_cmp_le_i32_e32 vcc, v10, v2
	v_cmp_gt_i32_e64 s[4:5], s20, v2
	s_and_b64 s[10:11], vcc, s[4:5]
	v_ashrrev_i32_e32 v3, 31, v2
	s_and_saveexec_b64 s[8:9], s[10:11]
	s_cbranch_execz .LBB373_20
; %bb.17:
	v_pk_mul_f32 v[8:9], v[22:23], s[18:19] op_sel:[0,1] op_sel_hi:[0,0]
	v_pk_fma_f32 v[6:7], v[20:21], s[18:19], v[8:9] op_sel_hi:[0,1,1] neg_lo:[0,0,1] neg_hi:[0,0,1]
	v_pk_fma_f32 v[8:9], v[20:21], s[18:19], v[8:9] op_sel_hi:[0,1,1]
	s_and_b64 vcc, exec, s[0:1]
	v_lshl_add_u64 v[4:5], v[2:3], 3, v[4:5]
	s_cbranch_vccnz .LBB373_19
; %bb.18:
	flat_load_dwordx2 v[20:21], v[4:5]
	s_mov_b32 s10, s17
	v_mov_b32_e32 v7, v9
	s_waitcnt vmcnt(0) lgkmcnt(0)
	v_pk_mul_f32 v[8:9], v[20:21], s[10:11] op_sel:[1,0] op_sel_hi:[0,0]
	v_pk_fma_f32 v[22:23], v[20:21], s[16:17], v[8:9] neg_lo:[0,0,1] neg_hi:[0,0,1]
	v_pk_fma_f32 v[8:9], v[20:21], s[16:17], v[8:9] op_sel_hi:[1,0,1]
	s_nop 0
	v_mov_b32_e32 v23, v9
	v_pk_add_f32 v[6:7], v[6:7], v[22:23]
	s_nop 0
	v_mov_b32_e32 v9, v7
.LBB373_19:
	v_mov_b32_e32 v7, v9
	flat_store_dwordx2 v[4:5], v[6:7]
.LBB373_20:
	s_or_b64 exec, exec, s[8:9]
	v_add_u32_e32 v10, 16, v10
	v_mad_i64_i32 v[4:5], s[8:9], v10, s14, 0
	v_cmp_le_i32_e32 vcc, v10, v0
	v_lshl_add_u64 v[4:5], v[4:5], 3, s[6:7]
	s_and_b64 s[6:7], vcc, s[2:3]
	s_and_saveexec_b64 s[2:3], s[6:7]
	s_cbranch_execz .LBB373_24
; %bb.21:
	v_pk_mul_f32 v[8:9], v[18:19], s[18:19] op_sel:[0,1] op_sel_hi:[0,0]
	v_pk_fma_f32 v[6:7], v[16:17], s[18:19], v[8:9] op_sel_hi:[0,1,1] neg_lo:[0,0,1] neg_hi:[0,0,1]
	v_pk_fma_f32 v[8:9], v[16:17], s[18:19], v[8:9] op_sel_hi:[0,1,1]
	s_and_b64 vcc, exec, s[0:1]
	v_lshl_add_u64 v[0:1], v[0:1], 3, v[4:5]
	s_cbranch_vccnz .LBB373_23
; %bb.22:
	flat_load_dwordx2 v[16:17], v[0:1]
	s_mov_b32 s6, s17
	v_mov_b32_e32 v7, v9
	s_waitcnt vmcnt(0) lgkmcnt(0)
	v_pk_mul_f32 v[8:9], v[16:17], s[6:7] op_sel:[1,0] op_sel_hi:[0,0]
	v_pk_fma_f32 v[18:19], v[16:17], s[16:17], v[8:9] neg_lo:[0,0,1] neg_hi:[0,0,1]
	v_pk_fma_f32 v[8:9], v[16:17], s[16:17], v[8:9] op_sel_hi:[1,0,1]
	s_nop 0
	v_mov_b32_e32 v19, v9
	v_pk_add_f32 v[6:7], v[6:7], v[18:19]
	s_nop 0
	v_mov_b32_e32 v9, v7
.LBB373_23:
	v_mov_b32_e32 v7, v9
	flat_store_dwordx2 v[0:1], v[6:7]
.LBB373_24:
	s_or_b64 exec, exec, s[2:3]
	v_cmp_le_i32_e32 vcc, v10, v2
	s_and_b64 s[2:3], vcc, s[4:5]
	s_and_saveexec_b64 s[4:5], s[2:3]
	s_cbranch_execz .LBB373_28
; %bb.25:
	v_pk_mul_f32 v[6:7], v[14:15], s[18:19] op_sel:[0,1] op_sel_hi:[0,0]
	v_pk_fma_f32 v[0:1], v[12:13], s[18:19], v[6:7] op_sel_hi:[0,1,1] neg_lo:[0,0,1] neg_hi:[0,0,1]
	v_pk_fma_f32 v[6:7], v[12:13], s[18:19], v[6:7] op_sel_hi:[0,1,1]
	s_and_b64 vcc, exec, s[0:1]
	v_lshl_add_u64 v[2:3], v[2:3], 3, v[4:5]
	s_cbranch_vccnz .LBB373_27
; %bb.26:
	flat_load_dwordx2 v[4:5], v[2:3]
	s_mov_b32 s0, s17
	v_mov_b32_e32 v1, v7
	s_waitcnt vmcnt(0) lgkmcnt(0)
	v_pk_mul_f32 v[6:7], v[4:5], s[0:1] op_sel:[1,0] op_sel_hi:[0,0]
	v_pk_fma_f32 v[8:9], v[4:5], s[16:17], v[6:7] neg_lo:[0,0,1] neg_hi:[0,0,1]
	v_pk_fma_f32 v[4:5], v[4:5], s[16:17], v[6:7] op_sel_hi:[1,0,1]
	s_nop 0
	v_mov_b32_e32 v9, v5
	v_pk_add_f32 v[0:1], v[0:1], v[8:9]
	s_nop 0
	v_mov_b32_e32 v7, v1
.LBB373_27:
	v_mov_b32_e32 v1, v7
	flat_store_dwordx2 v[2:3], v[0:1]
.LBB373_28:
	s_endpgm
	.section	.rodata,"a",@progbits
	.p2align	6, 0x0
	.amdhsa_kernel _ZL29rocblas_internal_gemmt_kernelIiLi16ELi32ELi8ELc84ELc84ELc76ELb0ELb0E19rocblas_complex_numIfEPKS1_PKS3_PKPS1_EviT_T9_T10_S9_lSB_S9_lSA_T11_S9_li
		.amdhsa_group_segment_fixed_size 4096
		.amdhsa_private_segment_fixed_size 0
		.amdhsa_kernarg_size 100
		.amdhsa_user_sgpr_count 2
		.amdhsa_user_sgpr_dispatch_ptr 0
		.amdhsa_user_sgpr_queue_ptr 0
		.amdhsa_user_sgpr_kernarg_segment_ptr 1
		.amdhsa_user_sgpr_dispatch_id 0
		.amdhsa_user_sgpr_kernarg_preload_length 0
		.amdhsa_user_sgpr_kernarg_preload_offset 0
		.amdhsa_user_sgpr_private_segment_size 0
		.amdhsa_uses_dynamic_stack 0
		.amdhsa_enable_private_segment 0
		.amdhsa_system_sgpr_workgroup_id_x 1
		.amdhsa_system_sgpr_workgroup_id_y 1
		.amdhsa_system_sgpr_workgroup_id_z 1
		.amdhsa_system_sgpr_workgroup_info 0
		.amdhsa_system_vgpr_workitem_id 1
		.amdhsa_next_free_vgpr 52
		.amdhsa_next_free_sgpr 30
		.amdhsa_accum_offset 52
		.amdhsa_reserve_vcc 1
		.amdhsa_float_round_mode_32 0
		.amdhsa_float_round_mode_16_64 0
		.amdhsa_float_denorm_mode_32 3
		.amdhsa_float_denorm_mode_16_64 3
		.amdhsa_dx10_clamp 1
		.amdhsa_ieee_mode 1
		.amdhsa_fp16_overflow 0
		.amdhsa_tg_split 0
		.amdhsa_exception_fp_ieee_invalid_op 0
		.amdhsa_exception_fp_denorm_src 0
		.amdhsa_exception_fp_ieee_div_zero 0
		.amdhsa_exception_fp_ieee_overflow 0
		.amdhsa_exception_fp_ieee_underflow 0
		.amdhsa_exception_fp_ieee_inexact 0
		.amdhsa_exception_int_div_zero 0
	.end_amdhsa_kernel
	.section	.text._ZL29rocblas_internal_gemmt_kernelIiLi16ELi32ELi8ELc84ELc84ELc76ELb0ELb0E19rocblas_complex_numIfEPKS1_PKS3_PKPS1_EviT_T9_T10_S9_lSB_S9_lSA_T11_S9_li,"axG",@progbits,_ZL29rocblas_internal_gemmt_kernelIiLi16ELi32ELi8ELc84ELc84ELc76ELb0ELb0E19rocblas_complex_numIfEPKS1_PKS3_PKPS1_EviT_T9_T10_S9_lSB_S9_lSA_T11_S9_li,comdat
.Lfunc_end373:
	.size	_ZL29rocblas_internal_gemmt_kernelIiLi16ELi32ELi8ELc84ELc84ELc76ELb0ELb0E19rocblas_complex_numIfEPKS1_PKS3_PKPS1_EviT_T9_T10_S9_lSB_S9_lSA_T11_S9_li, .Lfunc_end373-_ZL29rocblas_internal_gemmt_kernelIiLi16ELi32ELi8ELc84ELc84ELc76ELb0ELb0E19rocblas_complex_numIfEPKS1_PKS3_PKPS1_EviT_T9_T10_S9_lSB_S9_lSA_T11_S9_li
                                        ; -- End function
	.set _ZL29rocblas_internal_gemmt_kernelIiLi16ELi32ELi8ELc84ELc84ELc76ELb0ELb0E19rocblas_complex_numIfEPKS1_PKS3_PKPS1_EviT_T9_T10_S9_lSB_S9_lSA_T11_S9_li.num_vgpr, 52
	.set _ZL29rocblas_internal_gemmt_kernelIiLi16ELi32ELi8ELc84ELc84ELc76ELb0ELb0E19rocblas_complex_numIfEPKS1_PKS3_PKPS1_EviT_T9_T10_S9_lSB_S9_lSA_T11_S9_li.num_agpr, 0
	.set _ZL29rocblas_internal_gemmt_kernelIiLi16ELi32ELi8ELc84ELc84ELc76ELb0ELb0E19rocblas_complex_numIfEPKS1_PKS3_PKPS1_EviT_T9_T10_S9_lSB_S9_lSA_T11_S9_li.numbered_sgpr, 30
	.set _ZL29rocblas_internal_gemmt_kernelIiLi16ELi32ELi8ELc84ELc84ELc76ELb0ELb0E19rocblas_complex_numIfEPKS1_PKS3_PKPS1_EviT_T9_T10_S9_lSB_S9_lSA_T11_S9_li.num_named_barrier, 0
	.set _ZL29rocblas_internal_gemmt_kernelIiLi16ELi32ELi8ELc84ELc84ELc76ELb0ELb0E19rocblas_complex_numIfEPKS1_PKS3_PKPS1_EviT_T9_T10_S9_lSB_S9_lSA_T11_S9_li.private_seg_size, 0
	.set _ZL29rocblas_internal_gemmt_kernelIiLi16ELi32ELi8ELc84ELc84ELc76ELb0ELb0E19rocblas_complex_numIfEPKS1_PKS3_PKPS1_EviT_T9_T10_S9_lSB_S9_lSA_T11_S9_li.uses_vcc, 1
	.set _ZL29rocblas_internal_gemmt_kernelIiLi16ELi32ELi8ELc84ELc84ELc76ELb0ELb0E19rocblas_complex_numIfEPKS1_PKS3_PKPS1_EviT_T9_T10_S9_lSB_S9_lSA_T11_S9_li.uses_flat_scratch, 0
	.set _ZL29rocblas_internal_gemmt_kernelIiLi16ELi32ELi8ELc84ELc84ELc76ELb0ELb0E19rocblas_complex_numIfEPKS1_PKS3_PKPS1_EviT_T9_T10_S9_lSB_S9_lSA_T11_S9_li.has_dyn_sized_stack, 0
	.set _ZL29rocblas_internal_gemmt_kernelIiLi16ELi32ELi8ELc84ELc84ELc76ELb0ELb0E19rocblas_complex_numIfEPKS1_PKS3_PKPS1_EviT_T9_T10_S9_lSB_S9_lSA_T11_S9_li.has_recursion, 0
	.set _ZL29rocblas_internal_gemmt_kernelIiLi16ELi32ELi8ELc84ELc84ELc76ELb0ELb0E19rocblas_complex_numIfEPKS1_PKS3_PKPS1_EviT_T9_T10_S9_lSB_S9_lSA_T11_S9_li.has_indirect_call, 0
	.section	.AMDGPU.csdata,"",@progbits
; Kernel info:
; codeLenInByte = 2480
; TotalNumSgprs: 36
; NumVgprs: 52
; NumAgprs: 0
; TotalNumVgprs: 52
; ScratchSize: 0
; MemoryBound: 0
; FloatMode: 240
; IeeeMode: 1
; LDSByteSize: 4096 bytes/workgroup (compile time only)
; SGPRBlocks: 4
; VGPRBlocks: 6
; NumSGPRsForWavesPerEU: 36
; NumVGPRsForWavesPerEU: 52
; AccumOffset: 52
; Occupancy: 8
; WaveLimiterHint : 1
; COMPUTE_PGM_RSRC2:SCRATCH_EN: 0
; COMPUTE_PGM_RSRC2:USER_SGPR: 2
; COMPUTE_PGM_RSRC2:TRAP_HANDLER: 0
; COMPUTE_PGM_RSRC2:TGID_X_EN: 1
; COMPUTE_PGM_RSRC2:TGID_Y_EN: 1
; COMPUTE_PGM_RSRC2:TGID_Z_EN: 1
; COMPUTE_PGM_RSRC2:TIDIG_COMP_CNT: 1
; COMPUTE_PGM_RSRC3_GFX90A:ACCUM_OFFSET: 12
; COMPUTE_PGM_RSRC3_GFX90A:TG_SPLIT: 0
	.section	.text._ZL29rocblas_internal_gemmt_kernelIiLi16ELi32ELi8ELc84ELc67ELc76ELb0ELb1E19rocblas_complex_numIfEPKS1_PKS3_PKPS1_EviT_T9_T10_S9_lSB_S9_lSA_T11_S9_li,"axG",@progbits,_ZL29rocblas_internal_gemmt_kernelIiLi16ELi32ELi8ELc84ELc67ELc76ELb0ELb1E19rocblas_complex_numIfEPKS1_PKS3_PKPS1_EviT_T9_T10_S9_lSB_S9_lSA_T11_S9_li,comdat
	.globl	_ZL29rocblas_internal_gemmt_kernelIiLi16ELi32ELi8ELc84ELc67ELc76ELb0ELb1E19rocblas_complex_numIfEPKS1_PKS3_PKPS1_EviT_T9_T10_S9_lSB_S9_lSA_T11_S9_li ; -- Begin function _ZL29rocblas_internal_gemmt_kernelIiLi16ELi32ELi8ELc84ELc67ELc76ELb0ELb1E19rocblas_complex_numIfEPKS1_PKS3_PKPS1_EviT_T9_T10_S9_lSB_S9_lSA_T11_S9_li
	.p2align	8
	.type	_ZL29rocblas_internal_gemmt_kernelIiLi16ELi32ELi8ELc84ELc67ELc76ELb0ELb1E19rocblas_complex_numIfEPKS1_PKS3_PKPS1_EviT_T9_T10_S9_lSB_S9_lSA_T11_S9_li,@function
_ZL29rocblas_internal_gemmt_kernelIiLi16ELi32ELi8ELc84ELc67ELc76ELb0ELb1E19rocblas_complex_numIfEPKS1_PKS3_PKPS1_EviT_T9_T10_S9_lSB_S9_lSA_T11_S9_li: ; @_ZL29rocblas_internal_gemmt_kernelIiLi16ELi32ELi8ELc84ELc67ELc76ELb0ELb1E19rocblas_complex_numIfEPKS1_PKS3_PKPS1_EviT_T9_T10_S9_lSB_S9_lSA_T11_S9_li
; %bb.0:
	s_load_dwordx4 s[8:11], s[0:1], 0x38
	s_load_dwordx4 s[12:15], s[0:1], 0x8
	s_waitcnt lgkmcnt(0)
	s_load_dwordx2 s[6:7], s[10:11], 0x0
	s_load_dwordx2 s[18:19], s[0:1], 0x0
	;; [unrolled: 1-line block ×3, first 2 shown]
	s_waitcnt lgkmcnt(0)
	s_and_b32 s5, s7, 0x7fffffff
	s_cmp_eq_u32 s5, 0
	v_cmp_eq_f32_e64 s[12:13], s6, 1.0
	s_cselect_b64 s[10:11], -1, 0
	s_and_b64 s[12:13], s[12:13], s[10:11]
	s_and_b64 vcc, exec, s[12:13]
	s_cbranch_vccnz .LBB374_2
; %bb.1:
	s_mov_b64 s[12:13], -1
	s_cbranch_execz .LBB374_3
	s_branch .LBB374_4
.LBB374_2:
	s_mov_b64 s[12:13], 0
.LBB374_3:
	s_cmp_lg_u32 s19, 0
	v_cmp_neq_f32_e64 s[20:21], s16, 0
	v_cmp_neq_f32_e64 s[22:23], s17, 0
	s_cselect_b64 s[12:13], -1, 0
	s_or_b64 s[20:21], s[20:21], s[22:23]
	s_and_b64 s[12:13], s[12:13], s[20:21]
.LBB374_4:
	s_andn2_b64 vcc, exec, s[12:13]
	s_cbranch_vccnz .LBB374_30
; %bb.5:
	s_load_dwordx2 s[12:13], s[0:1], 0x48
	s_mov_b32 s5, 0
	s_lshl_b64 s[20:21], s[4:5], 3
	v_cmp_eq_f32_e64 s[24:25], s17, 0
	v_and_b32_e32 v15, 0x3ff, v0
	s_waitcnt lgkmcnt(0)
	s_add_u32 s12, s12, s20
	s_addc_u32 s13, s13, s21
	s_lshl_b32 s4, s2, 5
	s_lshl_b32 s22, s3, 5
	v_cmp_eq_f32_e64 s[2:3], s16, 0
	s_load_dwordx2 s[12:13], s[12:13], 0x0
	s_and_b64 s[2:3], s[2:3], s[24:25]
	s_cmp_lt_i32 s19, 1
	s_cselect_b64 s[24:25], -1, 0
	s_or_b64 s[2:3], s[2:3], s[24:25]
	v_bfe_u32 v17, v0, 10, 10
	v_mov_b32_e32 v24, 0
	s_and_b64 vcc, exec, s[2:3]
	v_mov_b32_e32 v26, 0
	v_mov_b32_e32 v20, 0
	;; [unrolled: 1-line block ×7, first 2 shown]
	s_cbranch_vccnz .LBB374_14
; %bb.6:
	s_load_dword s23, s[0:1], 0x18
	s_load_dword s28, s[0:1], 0x30
	s_load_dwordx4 s[24:27], s[0:1], 0x20
	v_lshl_add_u32 v1, v17, 4, v15
	v_and_b32_e32 v3, 31, v1
	v_lshrrev_b32_e32 v21, 5, v1
	s_waitcnt lgkmcnt(0)
	s_ashr_i32 s29, s28, 31
	v_lshrrev_b32_e32 v2, 3, v1
	v_or_b32_e32 v1, s4, v3
	s_add_u32 s2, s26, s20
	v_and_b32_e32 v19, 7, v15
	s_addc_u32 s3, s27, s21
	v_cmp_gt_i32_e32 vcc, s18, v1
	v_lshlrev_b32_e32 v1, 3, v3
	s_load_dwordx2 s[26:27], s[2:3], 0x0
	s_add_u32 s2, s14, s20
	v_lshl_or_b32 v23, v21, 8, v1
	v_lshlrev_b32_e32 v1, 3, v19
	v_add_u32_e32 v0, s22, v2
	s_addc_u32 s3, s15, s21
	v_lshl_or_b32 v1, v2, 6, v1
	v_mov_b32_e32 v2, 0x800
	s_load_dwordx2 s[14:15], s[2:3], 0x0
	v_lshl_add_u32 v28, v17, 6, v2
	v_add_u32_e32 v2, s4, v3
	v_mad_i64_i32 v[2:3], s[20:21], s23, v2, 0
	s_lshl_b64 s[20:21], s[24:25], 3
	s_nop 0
	v_lshl_add_u64 v[2:3], v[2:3], 3, s[20:21]
	v_lshlrev_b32_e32 v8, 3, v21
	v_mov_b32_e32 v9, 0
	v_lshl_add_u64 v[2:3], v[2:3], 0, v[8:9]
	s_waitcnt lgkmcnt(0)
	v_lshl_add_u64 v[10:11], s[14:15], 0, v[2:3]
	v_mad_i64_i32 v[2:3], s[14:15], s28, v19, 0
	s_lshl_b64 s[8:9], s[8:9], 3
	v_add_u32_e32 v25, 0x800, v1
	v_ashrrev_i32_e32 v1, 31, v0
	v_lshl_add_u64 v[2:3], v[2:3], 3, s[8:9]
	v_cmp_gt_i32_e64 s[2:3], s18, v0
	v_lshl_add_u64 v[0:1], v[0:1], 3, v[2:3]
	v_lshlrev_b32_e32 v27, 3, v15
	v_lshl_add_u64 v[12:13], s[26:27], 0, v[0:1]
	s_lshl_b64 s[8:9], s[28:29], 6
	s_xor_b64 s[14:15], s[2:3], -1
	v_mov_b32_e32 v14, 0
	v_mov_b32_e32 v8, 0
	;; [unrolled: 1-line block ×8, first 2 shown]
	s_branch .LBB374_8
.LBB374_7:                              ;   in Loop: Header=BB374_8 Depth=1
	s_or_b64 exec, exec, s[2:3]
	ds_write_b32 v25, v0 offset:4
	s_waitcnt lgkmcnt(0)
	s_barrier
	ds_read2_b64 v[30:33], v27 offset1:16
	ds_read_b128 v[34:37], v28
	ds_read_b128 v[38:41], v28 offset:16
	ds_read_b128 v[4:7], v28 offset:32
	;; [unrolled: 1-line block ×3, first 2 shown]
	ds_read2_b64 v[50:53], v27 offset0:32 offset1:48
	s_waitcnt lgkmcnt(4)
	v_mul_f32_e32 v42, v34, v31
	v_fmac_f32_e32 v42, v35, v30
	v_add_f32_e32 v26, v26, v42
	ds_read_b128 v[42:45], v28 offset:1024
	ds_read_b128 v[46:49], v28 offset:1040
	v_mul_f32_e32 v29, v35, v31
	v_fma_f32 v29, v34, v30, -v29
	v_add_f32_e32 v24, v24, v29
	v_mul_f32_e32 v29, v35, v33
	v_fma_f32 v29, v34, v32, -v29
	v_add_f32_e32 v20, v20, v29
	s_waitcnt lgkmcnt(1)
	v_mul_f32_e32 v29, v43, v31
	v_mul_f32_e32 v31, v42, v31
	v_fma_f32 v29, v42, v30, -v29
	v_fmac_f32_e32 v31, v43, v30
	v_mul_f32_e32 v30, v42, v33
	v_fmac_f32_e32 v30, v43, v32
	v_add_f32_e32 v14, v14, v30
	v_mul_f32_e32 v30, v36, v51
	v_mul_f32_e32 v34, v34, v33
	v_fmac_f32_e32 v30, v37, v50
	v_fmac_f32_e32 v34, v35, v32
	v_add_f32_e32 v26, v26, v30
	v_mul_f32_e32 v30, v36, v53
	v_add_f32_e32 v22, v22, v34
	v_add_f32_e32 v16, v16, v29
	v_mul_f32_e32 v29, v43, v33
	v_fmac_f32_e32 v30, v37, v52
	v_fma_f32 v29, v42, v32, -v29
	v_add_f32_e32 v22, v22, v30
	v_mul_f32_e32 v30, v44, v51
	v_add_f32_e32 v18, v18, v31
	v_add_f32_e32 v8, v8, v29
	v_mul_f32_e32 v29, v37, v51
	v_fmac_f32_e32 v30, v45, v50
	v_fma_f32 v29, v36, v50, -v29
	v_add_f32_e32 v18, v18, v30
	ds_read2_b64 v[30:33], v27 offset0:64 offset1:80
	v_add_f32_e32 v24, v24, v29
	v_mul_f32_e32 v29, v37, v53
	v_fma_f32 v29, v36, v52, -v29
	v_add_f32_e32 v20, v20, v29
	v_mul_f32_e32 v29, v45, v51
	v_mul_f32_e32 v34, v44, v53
	v_fma_f32 v29, v44, v50, -v29
	v_fmac_f32_e32 v34, v45, v52
	v_add_f32_e32 v16, v16, v29
	v_mul_f32_e32 v29, v45, v53
	v_add_f32_e32 v14, v14, v34
	s_waitcnt lgkmcnt(0)
	v_mul_f32_e32 v34, v38, v31
	v_fma_f32 v29, v44, v52, -v29
	v_fmac_f32_e32 v34, v39, v30
	v_add_f32_e32 v8, v8, v29
	v_mul_f32_e32 v29, v39, v31
	v_add_f32_e32 v26, v26, v34
	v_mul_f32_e32 v34, v38, v33
	v_fma_f32 v29, v38, v30, -v29
	v_fmac_f32_e32 v34, v39, v32
	v_add_f32_e32 v24, v24, v29
	v_mul_f32_e32 v29, v39, v33
	v_add_f32_e32 v22, v22, v34
	ds_read2_b64 v[34:37], v27 offset0:96 offset1:112
	v_fma_f32 v29, v38, v32, -v29
	v_add_f32_e32 v20, v20, v29
	v_mul_f32_e32 v29, v47, v31
	v_mul_f32_e32 v31, v46, v31
	v_fma_f32 v29, v46, v30, -v29
	v_fmac_f32_e32 v31, v47, v30
	v_mul_f32_e32 v30, v46, v33
	v_fmac_f32_e32 v30, v47, v32
	v_add_f32_e32 v14, v14, v30
	s_waitcnt lgkmcnt(0)
	v_mul_f32_e32 v30, v40, v35
	v_fmac_f32_e32 v30, v41, v34
	v_add_f32_e32 v16, v16, v29
	v_mul_f32_e32 v29, v47, v33
	v_add_f32_e32 v26, v26, v30
	v_mul_f32_e32 v30, v40, v37
	v_fma_f32 v29, v46, v32, -v29
	v_fmac_f32_e32 v30, v41, v36
	v_add_f32_e32 v8, v8, v29
	v_mul_f32_e32 v29, v41, v35
	v_add_f32_e32 v22, v22, v30
	v_mul_f32_e32 v30, v48, v35
	v_add_f32_e32 v18, v18, v31
	v_fma_f32 v29, v40, v34, -v29
	v_fmac_f32_e32 v30, v49, v34
	v_add_f32_e32 v24, v24, v29
	v_mul_f32_e32 v29, v41, v37
	v_add_f32_e32 v18, v18, v30
	ds_read2_b64 v[30:33], v27 offset0:128 offset1:144
	v_fma_f32 v29, v40, v36, -v29
	v_add_f32_e32 v20, v20, v29
	v_mul_f32_e32 v29, v49, v35
	v_fma_f32 v29, v48, v34, -v29
	v_mul_f32_e32 v34, v48, v37
	v_fmac_f32_e32 v34, v49, v36
	v_add_f32_e32 v14, v14, v34
	s_waitcnt lgkmcnt(0)
	v_mul_f32_e32 v34, v4, v31
	v_add_f32_e32 v16, v16, v29
	v_mul_f32_e32 v29, v49, v37
	v_fmac_f32_e32 v34, v5, v30
	v_fma_f32 v29, v48, v36, -v29
	v_add_f32_e32 v26, v26, v34
	ds_read_b128 v[34:37], v28 offset:1056
	ds_read_b128 v[38:41], v28 offset:1072
	v_add_f32_e32 v8, v8, v29
	v_mul_f32_e32 v29, v5, v31
	v_fma_f32 v29, v4, v30, -v29
	v_add_f32_e32 v24, v24, v29
	v_mul_f32_e32 v29, v5, v33
	v_fma_f32 v29, v4, v32, -v29
	v_mul_f32_e32 v4, v4, v33
	ds_read2_b64 v[42:45], v27 offset0:160 offset1:176
	v_fmac_f32_e32 v4, v5, v32
	v_add_f32_e32 v5, v20, v29
	s_waitcnt lgkmcnt(2)
	v_mul_f32_e32 v20, v35, v31
	v_fma_f32 v20, v34, v30, -v20
	v_add_f32_e32 v16, v16, v20
	v_mul_f32_e32 v20, v35, v33
	v_add_f32_e32 v4, v22, v4
	v_mul_f32_e32 v22, v34, v31
	v_fma_f32 v20, v34, v32, -v20
	v_fmac_f32_e32 v22, v35, v30
	v_add_f32_e32 v8, v8, v20
	s_waitcnt lgkmcnt(0)
	v_mul_f32_e32 v20, v7, v43
	v_add_f32_e32 v18, v18, v22
	v_mul_f32_e32 v22, v34, v33
	v_fma_f32 v20, v6, v42, -v20
	v_fmac_f32_e32 v22, v35, v32
	v_add_f32_e32 v20, v24, v20
	v_mul_f32_e32 v24, v7, v45
	v_add_f32_e32 v14, v14, v22
	v_mul_f32_e32 v22, v6, v43
	v_fma_f32 v24, v6, v44, -v24
	v_mul_f32_e32 v6, v6, v45
	v_fmac_f32_e32 v22, v7, v42
	v_fmac_f32_e32 v6, v7, v44
	v_add_f32_e32 v22, v26, v22
	v_add_f32_e32 v26, v4, v6
	v_mul_f32_e32 v4, v37, v43
	v_add_f32_e32 v24, v5, v24
	v_fma_f32 v4, v36, v42, -v4
	v_mul_f32_e32 v5, v36, v43
	v_fmac_f32_e32 v5, v37, v42
	v_add_f32_e32 v16, v16, v4
	v_mul_f32_e32 v4, v37, v45
	v_add_f32_e32 v18, v18, v5
	v_fma_f32 v29, v36, v44, -v4
	ds_read2_b64 v[4:7], v27 offset0:192 offset1:208
	v_mul_f32_e32 v30, v36, v45
	v_fmac_f32_e32 v30, v37, v44
	v_add_f32_e32 v8, v8, v29
	v_add_f32_e32 v14, v14, v30
	s_waitcnt lgkmcnt(0)
	v_mul_f32_e32 v29, v1, v5
	v_fma_f32 v29, v0, v4, -v29
	v_mul_f32_e32 v30, v0, v5
	v_fmac_f32_e32 v30, v1, v4
	v_add_f32_e32 v20, v20, v29
	v_mul_f32_e32 v29, v1, v7
	v_add_f32_e32 v22, v22, v30
	v_fma_f32 v29, v0, v6, -v29
	v_mul_f32_e32 v0, v0, v7
	ds_read2_b64 v[30:33], v27 offset0:224 offset1:240
	v_fmac_f32_e32 v0, v1, v6
	v_add_f32_e32 v1, v24, v29
	v_mul_f32_e32 v24, v39, v5
	v_fma_f32 v24, v38, v4, -v24
	v_mul_f32_e32 v5, v38, v5
	v_fmac_f32_e32 v5, v39, v4
	v_add_f32_e32 v4, v16, v24
	v_mul_f32_e32 v16, v39, v7
	v_fma_f32 v16, v38, v6, -v16
	v_mul_f32_e32 v7, v38, v7
	v_fmac_f32_e32 v7, v39, v6
	v_add_f32_e32 v6, v8, v16
	s_waitcnt lgkmcnt(0)
	v_mul_f32_e32 v8, v3, v31
	v_fma_f32 v8, v2, v30, -v8
	v_add_f32_e32 v24, v20, v8
	v_mul_f32_e32 v8, v3, v33
	v_add_f32_e32 v7, v14, v7
	v_mul_f32_e32 v14, v2, v31
	v_fma_f32 v8, v2, v32, -v8
	v_mul_f32_e32 v2, v2, v33
	v_add_f32_e32 v0, v26, v0
	v_fmac_f32_e32 v14, v3, v30
	v_fmac_f32_e32 v2, v3, v32
	v_add_f32_e32 v26, v22, v14
	v_add_f32_e32 v20, v1, v8
	;; [unrolled: 1-line block ×3, first 2 shown]
	v_mul_f32_e32 v0, v41, v31
	v_mul_f32_e32 v1, v40, v31
	v_add_f32_e32 v5, v18, v5
	v_fma_f32 v0, v40, v30, -v0
	v_fmac_f32_e32 v1, v41, v30
	v_add_f32_e32 v16, v4, v0
	v_add_f32_e32 v18, v5, v1
	v_mul_f32_e32 v0, v41, v33
	v_mul_f32_e32 v1, v40, v33
	v_fma_f32 v0, v40, v32, -v0
	v_fmac_f32_e32 v1, v41, v32
	s_add_i32 s5, s5, 8
	v_add_f32_e32 v8, v6, v0
	v_add_f32_e32 v14, v7, v1
	v_lshl_add_u64 v[10:11], v[10:11], 0, 64
	s_cmp_lt_i32 s5, s19
	v_lshl_add_u64 v[12:13], v[12:13], 0, s[8:9]
	s_barrier
	s_cbranch_scc0 .LBB374_14
.LBB374_8:                              ; =>This Inner Loop Header: Depth=1
	v_add_u32_e32 v0, s5, v21
	v_cmp_gt_i32_e64 s[2:3], s19, v0
	s_and_b64 s[20:21], vcc, s[2:3]
	v_mov_b32_e32 v0, 0
	v_mov_b32_e32 v1, 0
	s_and_saveexec_b64 s[2:3], s[20:21]
	s_cbranch_execz .LBB374_10
; %bb.9:                                ;   in Loop: Header=BB374_8 Depth=1
	flat_load_dwordx2 v[0:1], v[10:11]
.LBB374_10:                             ;   in Loop: Header=BB374_8 Depth=1
	s_or_b64 exec, exec, s[2:3]
	s_waitcnt vmcnt(0) lgkmcnt(0)
	ds_write_b64 v23, v[0:1]
	v_add_u32_e32 v0, s5, v19
	v_cmp_le_i32_e64 s[2:3], s19, v0
	s_or_b64 s[2:3], s[2:3], s[14:15]
	s_and_saveexec_b64 s[20:21], s[2:3]
	s_xor_b64 s[2:3], exec, s[20:21]
; %bb.11:                               ;   in Loop: Header=BB374_8 Depth=1
	ds_write_b32 v25, v9
; %bb.12:                               ;   in Loop: Header=BB374_8 Depth=1
	s_or_saveexec_b64 s[2:3], s[2:3]
	v_mov_b32_e32 v0, 0
	s_xor_b64 exec, exec, s[2:3]
	s_cbranch_execz .LBB374_7
; %bb.13:                               ;   in Loop: Header=BB374_8 Depth=1
	flat_load_dwordx2 v[2:3], v[12:13]
	s_waitcnt vmcnt(0) lgkmcnt(0)
	v_xor_b32_e32 v0, 0x80000000, v3
	ds_write_b32 v25, v2
	s_branch .LBB374_7
.LBB374_14:
	s_load_dwordx2 s[2:3], s[0:1], 0x58
	s_load_dword s14, s[0:1], 0x50
	v_add_u32_e32 v0, s4, v15
	v_add_u32_e32 v9, s22, v17
	v_cmp_neq_f32_e64 s[0:1], s6, 0
	s_waitcnt lgkmcnt(0)
	s_lshl_b64 s[2:3], s[2:3], 3
	s_add_u32 s8, s12, s2
	s_addc_u32 s9, s13, s3
	s_xor_b64 s[4:5], s[10:11], -1
	v_mad_i64_i32 v[2:3], s[2:3], v9, s14, 0
	s_or_b64 s[0:1], s[0:1], s[4:5]
	v_lshl_add_u64 v[4:5], v[2:3], 3, s[8:9]
	v_cmp_le_i32_e32 vcc, v9, v0
	v_cmp_gt_i32_e64 s[2:3], s18, v0
	v_cndmask_b32_e64 v2, 0, 1, s[0:1]
	s_and_b64 s[10:11], vcc, s[2:3]
	v_ashrrev_i32_e32 v1, 31, v0
	v_cmp_ne_u32_e64 s[0:1], 1, v2
	s_and_saveexec_b64 s[4:5], s[10:11]
	s_cbranch_execz .LBB374_18
; %bb.15:
	v_pk_mul_f32 v[6:7], v[26:27], s[16:17] op_sel:[0,1] op_sel_hi:[0,0]
	v_pk_fma_f32 v[2:3], v[24:25], s[16:17], v[6:7] op_sel_hi:[0,1,1] neg_lo:[0,0,1] neg_hi:[0,0,1]
	v_pk_fma_f32 v[10:11], v[24:25], s[16:17], v[6:7] op_sel_hi:[0,1,1]
	s_and_b64 vcc, exec, s[0:1]
	v_lshl_add_u64 v[6:7], v[0:1], 3, v[4:5]
	s_cbranch_vccnz .LBB374_17
; %bb.16:
	flat_load_dwordx2 v[12:13], v[6:7]
	s_mov_b32 s10, s7
	v_mov_b32_e32 v3, v11
	s_waitcnt vmcnt(0) lgkmcnt(0)
	v_pk_mul_f32 v[10:11], v[12:13], s[10:11] op_sel:[1,0] op_sel_hi:[0,0]
	v_pk_fma_f32 v[24:25], v[12:13], s[6:7], v[10:11] neg_lo:[0,0,1] neg_hi:[0,0,1]
	v_pk_fma_f32 v[10:11], v[12:13], s[6:7], v[10:11] op_sel_hi:[1,0,1]
	s_nop 0
	v_mov_b32_e32 v25, v11
	v_pk_add_f32 v[2:3], v[2:3], v[24:25]
	s_nop 0
	v_mov_b32_e32 v11, v3
.LBB374_17:
	v_mov_b32_e32 v3, v11
	flat_store_dwordx2 v[6:7], v[2:3]
.LBB374_18:
	s_or_b64 exec, exec, s[4:5]
	v_add_u32_e32 v2, 16, v0
	v_cmp_le_i32_e32 vcc, v9, v2
	v_cmp_gt_i32_e64 s[4:5], s18, v2
	s_and_b64 s[12:13], vcc, s[4:5]
	v_ashrrev_i32_e32 v3, 31, v2
	s_and_saveexec_b64 s[10:11], s[12:13]
	s_cbranch_execz .LBB374_22
; %bb.19:
	v_pk_mul_f32 v[10:11], v[22:23], s[16:17] op_sel:[0,1] op_sel_hi:[0,0]
	v_pk_fma_f32 v[6:7], v[20:21], s[16:17], v[10:11] op_sel_hi:[0,1,1] neg_lo:[0,0,1] neg_hi:[0,0,1]
	v_pk_fma_f32 v[10:11], v[20:21], s[16:17], v[10:11] op_sel_hi:[0,1,1]
	s_and_b64 vcc, exec, s[0:1]
	v_lshl_add_u64 v[4:5], v[2:3], 3, v[4:5]
	s_cbranch_vccnz .LBB374_21
; %bb.20:
	flat_load_dwordx2 v[12:13], v[4:5]
	s_mov_b32 s12, s7
	v_mov_b32_e32 v7, v11
	s_waitcnt vmcnt(0) lgkmcnt(0)
	v_pk_mul_f32 v[10:11], v[12:13], s[12:13] op_sel:[1,0] op_sel_hi:[0,0]
	v_pk_fma_f32 v[20:21], v[12:13], s[6:7], v[10:11] neg_lo:[0,0,1] neg_hi:[0,0,1]
	v_pk_fma_f32 v[10:11], v[12:13], s[6:7], v[10:11] op_sel_hi:[1,0,1]
	s_nop 0
	v_mov_b32_e32 v21, v11
	v_pk_add_f32 v[6:7], v[6:7], v[20:21]
	s_nop 0
	v_mov_b32_e32 v11, v7
.LBB374_21:
	v_mov_b32_e32 v7, v11
	flat_store_dwordx2 v[4:5], v[6:7]
.LBB374_22:
	s_or_b64 exec, exec, s[10:11]
	v_add_u32_e32 v9, 16, v9
	v_mad_i64_i32 v[4:5], s[10:11], v9, s14, 0
	v_cmp_le_i32_e32 vcc, v9, v0
	v_lshl_add_u64 v[4:5], v[4:5], 3, s[8:9]
	s_and_b64 s[8:9], vcc, s[2:3]
	s_and_saveexec_b64 s[2:3], s[8:9]
	s_cbranch_execz .LBB374_26
; %bb.23:
	v_pk_mul_f32 v[10:11], v[18:19], s[16:17] op_sel:[0,1] op_sel_hi:[0,0]
	v_pk_fma_f32 v[6:7], v[16:17], s[16:17], v[10:11] op_sel_hi:[0,1,1] neg_lo:[0,0,1] neg_hi:[0,0,1]
	v_pk_fma_f32 v[10:11], v[16:17], s[16:17], v[10:11] op_sel_hi:[0,1,1]
	s_and_b64 vcc, exec, s[0:1]
	v_lshl_add_u64 v[0:1], v[0:1], 3, v[4:5]
	s_cbranch_vccnz .LBB374_25
; %bb.24:
	flat_load_dwordx2 v[12:13], v[0:1]
	s_mov_b32 s8, s7
	v_mov_b32_e32 v7, v11
	s_waitcnt vmcnt(0) lgkmcnt(0)
	v_pk_mul_f32 v[10:11], v[12:13], s[8:9] op_sel:[1,0] op_sel_hi:[0,0]
	v_pk_fma_f32 v[16:17], v[12:13], s[6:7], v[10:11] neg_lo:[0,0,1] neg_hi:[0,0,1]
	v_pk_fma_f32 v[10:11], v[12:13], s[6:7], v[10:11] op_sel_hi:[1,0,1]
	s_nop 0
	v_mov_b32_e32 v17, v11
	v_pk_add_f32 v[6:7], v[6:7], v[16:17]
	s_nop 0
	v_mov_b32_e32 v11, v7
.LBB374_25:
	v_mov_b32_e32 v7, v11
	flat_store_dwordx2 v[0:1], v[6:7]
.LBB374_26:
	s_or_b64 exec, exec, s[2:3]
	v_cmp_le_i32_e32 vcc, v9, v2
	s_and_b64 s[2:3], vcc, s[4:5]
	s_and_saveexec_b64 s[4:5], s[2:3]
	s_cbranch_execz .LBB374_30
; %bb.27:
	v_pk_mul_f32 v[6:7], v[14:15], s[16:17] op_sel:[0,1] op_sel_hi:[0,0]
	v_pk_fma_f32 v[0:1], v[8:9], s[16:17], v[6:7] op_sel_hi:[0,1,1] neg_lo:[0,0,1] neg_hi:[0,0,1]
	v_pk_fma_f32 v[6:7], v[8:9], s[16:17], v[6:7] op_sel_hi:[0,1,1]
	s_and_b64 vcc, exec, s[0:1]
	v_lshl_add_u64 v[2:3], v[2:3], 3, v[4:5]
	s_cbranch_vccnz .LBB374_29
; %bb.28:
	flat_load_dwordx2 v[4:5], v[2:3]
	s_mov_b32 s0, s7
	v_mov_b32_e32 v1, v7
	s_waitcnt vmcnt(0) lgkmcnt(0)
	v_pk_mul_f32 v[6:7], v[4:5], s[0:1] op_sel:[1,0] op_sel_hi:[0,0]
	v_pk_fma_f32 v[8:9], v[4:5], s[6:7], v[6:7] neg_lo:[0,0,1] neg_hi:[0,0,1]
	v_pk_fma_f32 v[4:5], v[4:5], s[6:7], v[6:7] op_sel_hi:[1,0,1]
	s_nop 0
	v_mov_b32_e32 v9, v5
	v_pk_add_f32 v[0:1], v[0:1], v[8:9]
	s_nop 0
	v_mov_b32_e32 v7, v1
.LBB374_29:
	v_mov_b32_e32 v1, v7
	flat_store_dwordx2 v[2:3], v[0:1]
.LBB374_30:
	s_endpgm
	.section	.rodata,"a",@progbits
	.p2align	6, 0x0
	.amdhsa_kernel _ZL29rocblas_internal_gemmt_kernelIiLi16ELi32ELi8ELc84ELc67ELc76ELb0ELb1E19rocblas_complex_numIfEPKS1_PKS3_PKPS1_EviT_T9_T10_S9_lSB_S9_lSA_T11_S9_li
		.amdhsa_group_segment_fixed_size 4096
		.amdhsa_private_segment_fixed_size 0
		.amdhsa_kernarg_size 100
		.amdhsa_user_sgpr_count 2
		.amdhsa_user_sgpr_dispatch_ptr 0
		.amdhsa_user_sgpr_queue_ptr 0
		.amdhsa_user_sgpr_kernarg_segment_ptr 1
		.amdhsa_user_sgpr_dispatch_id 0
		.amdhsa_user_sgpr_kernarg_preload_length 0
		.amdhsa_user_sgpr_kernarg_preload_offset 0
		.amdhsa_user_sgpr_private_segment_size 0
		.amdhsa_uses_dynamic_stack 0
		.amdhsa_enable_private_segment 0
		.amdhsa_system_sgpr_workgroup_id_x 1
		.amdhsa_system_sgpr_workgroup_id_y 1
		.amdhsa_system_sgpr_workgroup_id_z 1
		.amdhsa_system_sgpr_workgroup_info 0
		.amdhsa_system_vgpr_workitem_id 1
		.amdhsa_next_free_vgpr 54
		.amdhsa_next_free_sgpr 30
		.amdhsa_accum_offset 56
		.amdhsa_reserve_vcc 1
		.amdhsa_float_round_mode_32 0
		.amdhsa_float_round_mode_16_64 0
		.amdhsa_float_denorm_mode_32 3
		.amdhsa_float_denorm_mode_16_64 3
		.amdhsa_dx10_clamp 1
		.amdhsa_ieee_mode 1
		.amdhsa_fp16_overflow 0
		.amdhsa_tg_split 0
		.amdhsa_exception_fp_ieee_invalid_op 0
		.amdhsa_exception_fp_denorm_src 0
		.amdhsa_exception_fp_ieee_div_zero 0
		.amdhsa_exception_fp_ieee_overflow 0
		.amdhsa_exception_fp_ieee_underflow 0
		.amdhsa_exception_fp_ieee_inexact 0
		.amdhsa_exception_int_div_zero 0
	.end_amdhsa_kernel
	.section	.text._ZL29rocblas_internal_gemmt_kernelIiLi16ELi32ELi8ELc84ELc67ELc76ELb0ELb1E19rocblas_complex_numIfEPKS1_PKS3_PKPS1_EviT_T9_T10_S9_lSB_S9_lSA_T11_S9_li,"axG",@progbits,_ZL29rocblas_internal_gemmt_kernelIiLi16ELi32ELi8ELc84ELc67ELc76ELb0ELb1E19rocblas_complex_numIfEPKS1_PKS3_PKPS1_EviT_T9_T10_S9_lSB_S9_lSA_T11_S9_li,comdat
.Lfunc_end374:
	.size	_ZL29rocblas_internal_gemmt_kernelIiLi16ELi32ELi8ELc84ELc67ELc76ELb0ELb1E19rocblas_complex_numIfEPKS1_PKS3_PKPS1_EviT_T9_T10_S9_lSB_S9_lSA_T11_S9_li, .Lfunc_end374-_ZL29rocblas_internal_gemmt_kernelIiLi16ELi32ELi8ELc84ELc67ELc76ELb0ELb1E19rocblas_complex_numIfEPKS1_PKS3_PKPS1_EviT_T9_T10_S9_lSB_S9_lSA_T11_S9_li
                                        ; -- End function
	.set _ZL29rocblas_internal_gemmt_kernelIiLi16ELi32ELi8ELc84ELc67ELc76ELb0ELb1E19rocblas_complex_numIfEPKS1_PKS3_PKPS1_EviT_T9_T10_S9_lSB_S9_lSA_T11_S9_li.num_vgpr, 54
	.set _ZL29rocblas_internal_gemmt_kernelIiLi16ELi32ELi8ELc84ELc67ELc76ELb0ELb1E19rocblas_complex_numIfEPKS1_PKS3_PKPS1_EviT_T9_T10_S9_lSB_S9_lSA_T11_S9_li.num_agpr, 0
	.set _ZL29rocblas_internal_gemmt_kernelIiLi16ELi32ELi8ELc84ELc67ELc76ELb0ELb1E19rocblas_complex_numIfEPKS1_PKS3_PKPS1_EviT_T9_T10_S9_lSB_S9_lSA_T11_S9_li.numbered_sgpr, 30
	.set _ZL29rocblas_internal_gemmt_kernelIiLi16ELi32ELi8ELc84ELc67ELc76ELb0ELb1E19rocblas_complex_numIfEPKS1_PKS3_PKPS1_EviT_T9_T10_S9_lSB_S9_lSA_T11_S9_li.num_named_barrier, 0
	.set _ZL29rocblas_internal_gemmt_kernelIiLi16ELi32ELi8ELc84ELc67ELc76ELb0ELb1E19rocblas_complex_numIfEPKS1_PKS3_PKPS1_EviT_T9_T10_S9_lSB_S9_lSA_T11_S9_li.private_seg_size, 0
	.set _ZL29rocblas_internal_gemmt_kernelIiLi16ELi32ELi8ELc84ELc67ELc76ELb0ELb1E19rocblas_complex_numIfEPKS1_PKS3_PKPS1_EviT_T9_T10_S9_lSB_S9_lSA_T11_S9_li.uses_vcc, 1
	.set _ZL29rocblas_internal_gemmt_kernelIiLi16ELi32ELi8ELc84ELc67ELc76ELb0ELb1E19rocblas_complex_numIfEPKS1_PKS3_PKPS1_EviT_T9_T10_S9_lSB_S9_lSA_T11_S9_li.uses_flat_scratch, 0
	.set _ZL29rocblas_internal_gemmt_kernelIiLi16ELi32ELi8ELc84ELc67ELc76ELb0ELb1E19rocblas_complex_numIfEPKS1_PKS3_PKPS1_EviT_T9_T10_S9_lSB_S9_lSA_T11_S9_li.has_dyn_sized_stack, 0
	.set _ZL29rocblas_internal_gemmt_kernelIiLi16ELi32ELi8ELc84ELc67ELc76ELb0ELb1E19rocblas_complex_numIfEPKS1_PKS3_PKPS1_EviT_T9_T10_S9_lSB_S9_lSA_T11_S9_li.has_recursion, 0
	.set _ZL29rocblas_internal_gemmt_kernelIiLi16ELi32ELi8ELc84ELc67ELc76ELb0ELb1E19rocblas_complex_numIfEPKS1_PKS3_PKPS1_EviT_T9_T10_S9_lSB_S9_lSA_T11_S9_li.has_indirect_call, 0
	.section	.AMDGPU.csdata,"",@progbits
; Kernel info:
; codeLenInByte = 2516
; TotalNumSgprs: 36
; NumVgprs: 54
; NumAgprs: 0
; TotalNumVgprs: 54
; ScratchSize: 0
; MemoryBound: 0
; FloatMode: 240
; IeeeMode: 1
; LDSByteSize: 4096 bytes/workgroup (compile time only)
; SGPRBlocks: 4
; VGPRBlocks: 6
; NumSGPRsForWavesPerEU: 36
; NumVGPRsForWavesPerEU: 54
; AccumOffset: 56
; Occupancy: 8
; WaveLimiterHint : 1
; COMPUTE_PGM_RSRC2:SCRATCH_EN: 0
; COMPUTE_PGM_RSRC2:USER_SGPR: 2
; COMPUTE_PGM_RSRC2:TRAP_HANDLER: 0
; COMPUTE_PGM_RSRC2:TGID_X_EN: 1
; COMPUTE_PGM_RSRC2:TGID_Y_EN: 1
; COMPUTE_PGM_RSRC2:TGID_Z_EN: 1
; COMPUTE_PGM_RSRC2:TIDIG_COMP_CNT: 1
; COMPUTE_PGM_RSRC3_GFX90A:ACCUM_OFFSET: 13
; COMPUTE_PGM_RSRC3_GFX90A:TG_SPLIT: 0
	.section	.text._ZL29rocblas_internal_gemmt_kernelIiLi16ELi32ELi8ELc67ELc78ELc76ELb1ELb0E19rocblas_complex_numIfEPKS1_PKS3_PKPS1_EviT_T9_T10_S9_lSB_S9_lSA_T11_S9_li,"axG",@progbits,_ZL29rocblas_internal_gemmt_kernelIiLi16ELi32ELi8ELc67ELc78ELc76ELb1ELb0E19rocblas_complex_numIfEPKS1_PKS3_PKPS1_EviT_T9_T10_S9_lSB_S9_lSA_T11_S9_li,comdat
	.globl	_ZL29rocblas_internal_gemmt_kernelIiLi16ELi32ELi8ELc67ELc78ELc76ELb1ELb0E19rocblas_complex_numIfEPKS1_PKS3_PKPS1_EviT_T9_T10_S9_lSB_S9_lSA_T11_S9_li ; -- Begin function _ZL29rocblas_internal_gemmt_kernelIiLi16ELi32ELi8ELc67ELc78ELc76ELb1ELb0E19rocblas_complex_numIfEPKS1_PKS3_PKPS1_EviT_T9_T10_S9_lSB_S9_lSA_T11_S9_li
	.p2align	8
	.type	_ZL29rocblas_internal_gemmt_kernelIiLi16ELi32ELi8ELc67ELc78ELc76ELb1ELb0E19rocblas_complex_numIfEPKS1_PKS3_PKPS1_EviT_T9_T10_S9_lSB_S9_lSA_T11_S9_li,@function
_ZL29rocblas_internal_gemmt_kernelIiLi16ELi32ELi8ELc67ELc78ELc76ELb1ELb0E19rocblas_complex_numIfEPKS1_PKS3_PKPS1_EviT_T9_T10_S9_lSB_S9_lSA_T11_S9_li: ; @_ZL29rocblas_internal_gemmt_kernelIiLi16ELi32ELi8ELc67ELc78ELc76ELb1ELb0E19rocblas_complex_numIfEPKS1_PKS3_PKPS1_EviT_T9_T10_S9_lSB_S9_lSA_T11_S9_li
; %bb.0:
	s_load_dwordx4 s[8:11], s[0:1], 0x38
	s_load_dwordx4 s[12:15], s[0:1], 0x8
	s_waitcnt lgkmcnt(0)
	s_load_dwordx2 s[6:7], s[10:11], 0x0
	s_load_dwordx2 s[18:19], s[0:1], 0x0
	;; [unrolled: 1-line block ×3, first 2 shown]
	s_waitcnt lgkmcnt(0)
	s_and_b32 s5, s7, 0x7fffffff
	s_cmp_eq_u32 s5, 0
	v_cmp_eq_f32_e64 s[12:13], s6, 1.0
	s_cselect_b64 s[10:11], -1, 0
	s_and_b64 s[12:13], s[12:13], s[10:11]
	s_and_b64 vcc, exec, s[12:13]
	s_cbranch_vccnz .LBB375_2
; %bb.1:
	s_mov_b64 s[12:13], -1
	s_cbranch_execz .LBB375_3
	s_branch .LBB375_4
.LBB375_2:
	s_mov_b64 s[12:13], 0
.LBB375_3:
	s_cmp_lg_u32 s19, 0
	v_cmp_neq_f32_e64 s[20:21], s16, 0
	v_cmp_neq_f32_e64 s[22:23], s17, 0
	s_cselect_b64 s[12:13], -1, 0
	s_or_b64 s[20:21], s[20:21], s[22:23]
	s_and_b64 s[12:13], s[12:13], s[20:21]
.LBB375_4:
	s_andn2_b64 vcc, exec, s[12:13]
	s_cbranch_vccnz .LBB375_30
; %bb.5:
	s_load_dwordx2 s[12:13], s[0:1], 0x48
	s_mov_b32 s5, 0
	s_lshl_b64 s[20:21], s[4:5], 3
	v_cmp_eq_f32_e64 s[24:25], s17, 0
	v_and_b32_e32 v15, 0x3ff, v0
	s_waitcnt lgkmcnt(0)
	s_add_u32 s12, s12, s20
	s_addc_u32 s13, s13, s21
	s_lshl_b32 s4, s2, 5
	s_lshl_b32 s22, s3, 5
	v_cmp_eq_f32_e64 s[2:3], s16, 0
	s_load_dwordx2 s[12:13], s[12:13], 0x0
	s_and_b64 s[2:3], s[2:3], s[24:25]
	s_cmp_lt_i32 s19, 1
	s_cselect_b64 s[24:25], -1, 0
	s_or_b64 s[2:3], s[2:3], s[24:25]
	v_bfe_u32 v17, v0, 10, 10
	v_mov_b32_e32 v24, 0
	s_and_b64 vcc, exec, s[2:3]
	v_mov_b32_e32 v26, 0
	v_mov_b32_e32 v20, 0
	v_mov_b32_e32 v22, 0
	v_mov_b32_e32 v16, 0
	v_mov_b32_e32 v18, 0
	v_mov_b32_e32 v8, 0
	v_mov_b32_e32 v14, 0
	s_cbranch_vccnz .LBB375_14
; %bb.6:
	s_load_dword s23, s[0:1], 0x18
	s_load_dwordx4 s[24:27], s[0:1], 0x20
	s_load_dword s28, s[0:1], 0x30
	v_lshl_add_u32 v0, v17, 4, v15
	v_and_b32_e32 v2, 31, v0
	v_lshrrev_b32_e32 v21, 5, v0
	s_waitcnt lgkmcnt(0)
	s_add_u32 s2, s26, s20
	s_addc_u32 s3, s27, s21
	s_load_dwordx2 s[26:27], s[2:3], 0x0
	s_add_u32 s2, s14, s20
	v_lshrrev_b32_e32 v1, 3, v0
	v_or_b32_e32 v0, s4, v2
	s_addc_u32 s3, s15, s21
	v_and_b32_e32 v19, 7, v15
	s_load_dwordx2 s[14:15], s[2:3], 0x0
	v_cmp_gt_i32_e64 s[2:3], s18, v0
	v_lshlrev_b32_e32 v0, 3, v2
	v_lshl_or_b32 v23, v21, 8, v0
	v_lshlrev_b32_e32 v0, 3, v19
	v_add_u32_e32 v4, s22, v1
	v_lshl_or_b32 v1, v1, 6, v0
	v_add_u32_e32 v25, 0x800, v1
	v_mov_b32_e32 v1, 0x800
	v_lshl_add_u32 v28, v17, 6, v1
	v_add_u32_e32 v1, s4, v2
	v_mad_i64_i32 v[2:3], s[20:21], s23, v1, 0
	s_lshl_b64 s[20:21], s[24:25], 3
	s_nop 0
	v_lshl_add_u64 v[2:3], v[2:3], 3, s[20:21]
	v_lshlrev_b32_e32 v8, 3, v21
	v_mov_b32_e32 v9, 0
	v_lshl_add_u64 v[2:3], v[2:3], 0, v[8:9]
	s_waitcnt lgkmcnt(0)
	v_lshl_add_u64 v[10:11], s[14:15], 0, v[2:3]
	v_mad_i64_i32 v[2:3], s[14:15], s28, v4, 0
	s_lshl_b64 s[8:9], s[8:9], 3
	v_lshl_add_u64 v[2:3], v[2:3], 3, s[8:9]
	v_mov_b32_e32 v1, v9
	v_lshl_add_u64 v[0:1], v[2:3], 0, v[0:1]
	v_cmp_gt_i32_e32 vcc, s18, v4
	v_lshlrev_b32_e32 v27, 3, v15
	v_lshl_add_u64 v[12:13], s[26:27], 0, v[0:1]
	s_xor_b64 s[8:9], s[2:3], -1
	v_mov_b32_e32 v14, 0
	v_mov_b32_e32 v8, 0
	;; [unrolled: 1-line block ×8, first 2 shown]
	s_branch .LBB375_8
.LBB375_7:                              ;   in Loop: Header=BB375_8 Depth=1
	s_or_b64 exec, exec, s[2:3]
	s_waitcnt vmcnt(0) lgkmcnt(0)
	ds_write_b64 v25, v[2:3]
	s_waitcnt lgkmcnt(0)
	s_barrier
	ds_read2_b64 v[30:33], v27 offset1:16
	ds_read_b128 v[34:37], v28
	ds_read_b128 v[38:41], v28 offset:16
	ds_read_b128 v[4:7], v28 offset:32
	;; [unrolled: 1-line block ×3, first 2 shown]
	ds_read2_b64 v[50:53], v27 offset0:32 offset1:48
	s_waitcnt lgkmcnt(4)
	v_mul_f32_e32 v42, v34, v31
	v_fmac_f32_e32 v42, v35, v30
	v_add_f32_e32 v26, v26, v42
	ds_read_b128 v[42:45], v28 offset:1024
	ds_read_b128 v[46:49], v28 offset:1040
	v_mul_f32_e32 v29, v35, v31
	v_fma_f32 v29, v34, v30, -v29
	v_add_f32_e32 v24, v24, v29
	v_mul_f32_e32 v29, v35, v33
	v_fma_f32 v29, v34, v32, -v29
	v_add_f32_e32 v20, v20, v29
	s_waitcnt lgkmcnt(1)
	v_mul_f32_e32 v29, v43, v31
	v_mul_f32_e32 v31, v42, v31
	v_fma_f32 v29, v42, v30, -v29
	v_fmac_f32_e32 v31, v43, v30
	v_mul_f32_e32 v30, v42, v33
	v_fmac_f32_e32 v30, v43, v32
	v_add_f32_e32 v14, v14, v30
	v_mul_f32_e32 v30, v36, v51
	v_mul_f32_e32 v34, v34, v33
	v_fmac_f32_e32 v30, v37, v50
	v_fmac_f32_e32 v34, v35, v32
	v_add_f32_e32 v26, v26, v30
	v_mul_f32_e32 v30, v36, v53
	v_add_f32_e32 v22, v22, v34
	v_add_f32_e32 v16, v16, v29
	v_mul_f32_e32 v29, v43, v33
	v_fmac_f32_e32 v30, v37, v52
	v_fma_f32 v29, v42, v32, -v29
	v_add_f32_e32 v22, v22, v30
	v_mul_f32_e32 v30, v44, v51
	v_add_f32_e32 v18, v18, v31
	v_add_f32_e32 v8, v8, v29
	v_mul_f32_e32 v29, v37, v51
	v_fmac_f32_e32 v30, v45, v50
	v_fma_f32 v29, v36, v50, -v29
	v_add_f32_e32 v18, v18, v30
	ds_read2_b64 v[30:33], v27 offset0:64 offset1:80
	v_add_f32_e32 v24, v24, v29
	v_mul_f32_e32 v29, v37, v53
	v_fma_f32 v29, v36, v52, -v29
	v_add_f32_e32 v20, v20, v29
	v_mul_f32_e32 v29, v45, v51
	v_mul_f32_e32 v34, v44, v53
	v_fma_f32 v29, v44, v50, -v29
	v_fmac_f32_e32 v34, v45, v52
	v_add_f32_e32 v16, v16, v29
	v_mul_f32_e32 v29, v45, v53
	v_add_f32_e32 v14, v14, v34
	s_waitcnt lgkmcnt(0)
	v_mul_f32_e32 v34, v38, v31
	v_fma_f32 v29, v44, v52, -v29
	v_fmac_f32_e32 v34, v39, v30
	v_add_f32_e32 v8, v8, v29
	v_mul_f32_e32 v29, v39, v31
	v_add_f32_e32 v26, v26, v34
	v_mul_f32_e32 v34, v38, v33
	v_fma_f32 v29, v38, v30, -v29
	v_fmac_f32_e32 v34, v39, v32
	v_add_f32_e32 v24, v24, v29
	v_mul_f32_e32 v29, v39, v33
	v_add_f32_e32 v22, v22, v34
	ds_read2_b64 v[34:37], v27 offset0:96 offset1:112
	v_fma_f32 v29, v38, v32, -v29
	v_add_f32_e32 v20, v20, v29
	v_mul_f32_e32 v29, v47, v31
	v_mul_f32_e32 v31, v46, v31
	v_fma_f32 v29, v46, v30, -v29
	v_fmac_f32_e32 v31, v47, v30
	v_mul_f32_e32 v30, v46, v33
	v_fmac_f32_e32 v30, v47, v32
	v_add_f32_e32 v14, v14, v30
	s_waitcnt lgkmcnt(0)
	v_mul_f32_e32 v30, v40, v35
	v_fmac_f32_e32 v30, v41, v34
	v_add_f32_e32 v16, v16, v29
	v_mul_f32_e32 v29, v47, v33
	v_add_f32_e32 v26, v26, v30
	v_mul_f32_e32 v30, v40, v37
	v_fma_f32 v29, v46, v32, -v29
	v_fmac_f32_e32 v30, v41, v36
	v_add_f32_e32 v8, v8, v29
	v_mul_f32_e32 v29, v41, v35
	v_add_f32_e32 v22, v22, v30
	v_mul_f32_e32 v30, v48, v35
	v_add_f32_e32 v18, v18, v31
	v_fma_f32 v29, v40, v34, -v29
	v_fmac_f32_e32 v30, v49, v34
	v_add_f32_e32 v24, v24, v29
	v_mul_f32_e32 v29, v41, v37
	v_add_f32_e32 v18, v18, v30
	ds_read2_b64 v[30:33], v27 offset0:128 offset1:144
	v_fma_f32 v29, v40, v36, -v29
	v_add_f32_e32 v20, v20, v29
	v_mul_f32_e32 v29, v49, v35
	v_fma_f32 v29, v48, v34, -v29
	v_mul_f32_e32 v34, v48, v37
	v_fmac_f32_e32 v34, v49, v36
	v_add_f32_e32 v14, v14, v34
	s_waitcnt lgkmcnt(0)
	v_mul_f32_e32 v34, v4, v31
	v_add_f32_e32 v16, v16, v29
	v_mul_f32_e32 v29, v49, v37
	v_fmac_f32_e32 v34, v5, v30
	v_fma_f32 v29, v48, v36, -v29
	v_add_f32_e32 v26, v26, v34
	ds_read_b128 v[34:37], v28 offset:1056
	ds_read_b128 v[38:41], v28 offset:1072
	v_add_f32_e32 v8, v8, v29
	v_mul_f32_e32 v29, v5, v31
	v_fma_f32 v29, v4, v30, -v29
	v_add_f32_e32 v24, v24, v29
	v_mul_f32_e32 v29, v5, v33
	v_fma_f32 v29, v4, v32, -v29
	v_mul_f32_e32 v4, v4, v33
	ds_read2_b64 v[42:45], v27 offset0:160 offset1:176
	v_fmac_f32_e32 v4, v5, v32
	v_add_f32_e32 v5, v20, v29
	s_waitcnt lgkmcnt(2)
	v_mul_f32_e32 v20, v35, v31
	v_fma_f32 v20, v34, v30, -v20
	v_add_f32_e32 v16, v16, v20
	v_mul_f32_e32 v20, v35, v33
	v_add_f32_e32 v4, v22, v4
	v_mul_f32_e32 v22, v34, v31
	v_fma_f32 v20, v34, v32, -v20
	v_fmac_f32_e32 v22, v35, v30
	v_add_f32_e32 v8, v8, v20
	s_waitcnt lgkmcnt(0)
	v_mul_f32_e32 v20, v7, v43
	v_add_f32_e32 v18, v18, v22
	v_mul_f32_e32 v22, v34, v33
	v_fma_f32 v20, v6, v42, -v20
	v_fmac_f32_e32 v22, v35, v32
	v_add_f32_e32 v20, v24, v20
	v_mul_f32_e32 v24, v7, v45
	v_add_f32_e32 v14, v14, v22
	v_mul_f32_e32 v22, v6, v43
	v_fma_f32 v24, v6, v44, -v24
	v_mul_f32_e32 v6, v6, v45
	v_fmac_f32_e32 v22, v7, v42
	v_fmac_f32_e32 v6, v7, v44
	v_add_f32_e32 v22, v26, v22
	v_add_f32_e32 v26, v4, v6
	v_mul_f32_e32 v4, v37, v43
	v_add_f32_e32 v24, v5, v24
	v_fma_f32 v4, v36, v42, -v4
	v_mul_f32_e32 v5, v36, v43
	v_fmac_f32_e32 v5, v37, v42
	v_add_f32_e32 v16, v16, v4
	v_mul_f32_e32 v4, v37, v45
	v_add_f32_e32 v18, v18, v5
	v_fma_f32 v29, v36, v44, -v4
	ds_read2_b64 v[4:7], v27 offset0:192 offset1:208
	v_mul_f32_e32 v30, v36, v45
	v_fmac_f32_e32 v30, v37, v44
	v_add_f32_e32 v8, v8, v29
	v_add_f32_e32 v14, v14, v30
	s_waitcnt lgkmcnt(0)
	v_mul_f32_e32 v29, v1, v5
	v_fma_f32 v29, v0, v4, -v29
	v_mul_f32_e32 v30, v0, v5
	v_fmac_f32_e32 v30, v1, v4
	v_add_f32_e32 v20, v20, v29
	v_mul_f32_e32 v29, v1, v7
	v_add_f32_e32 v22, v22, v30
	v_fma_f32 v29, v0, v6, -v29
	v_mul_f32_e32 v0, v0, v7
	ds_read2_b64 v[30:33], v27 offset0:224 offset1:240
	v_fmac_f32_e32 v0, v1, v6
	v_add_f32_e32 v1, v24, v29
	v_mul_f32_e32 v24, v39, v5
	v_fma_f32 v24, v38, v4, -v24
	v_mul_f32_e32 v5, v38, v5
	v_fmac_f32_e32 v5, v39, v4
	v_add_f32_e32 v4, v16, v24
	v_mul_f32_e32 v16, v39, v7
	v_fma_f32 v16, v38, v6, -v16
	v_mul_f32_e32 v7, v38, v7
	v_fmac_f32_e32 v7, v39, v6
	v_add_f32_e32 v6, v8, v16
	s_waitcnt lgkmcnt(0)
	v_mul_f32_e32 v8, v3, v31
	v_fma_f32 v8, v2, v30, -v8
	v_add_f32_e32 v24, v20, v8
	v_mul_f32_e32 v8, v3, v33
	v_add_f32_e32 v7, v14, v7
	v_mul_f32_e32 v14, v2, v31
	v_fma_f32 v8, v2, v32, -v8
	v_mul_f32_e32 v2, v2, v33
	v_add_f32_e32 v0, v26, v0
	v_fmac_f32_e32 v14, v3, v30
	v_fmac_f32_e32 v2, v3, v32
	v_add_f32_e32 v26, v22, v14
	v_add_f32_e32 v20, v1, v8
	;; [unrolled: 1-line block ×3, first 2 shown]
	v_mul_f32_e32 v0, v41, v31
	v_mul_f32_e32 v1, v40, v31
	v_add_f32_e32 v5, v18, v5
	v_fma_f32 v0, v40, v30, -v0
	v_fmac_f32_e32 v1, v41, v30
	v_add_f32_e32 v16, v4, v0
	v_add_f32_e32 v18, v5, v1
	v_mul_f32_e32 v0, v41, v33
	v_mul_f32_e32 v1, v40, v33
	v_fma_f32 v0, v40, v32, -v0
	v_fmac_f32_e32 v1, v41, v32
	s_add_i32 s5, s5, 8
	v_add_f32_e32 v8, v6, v0
	v_add_f32_e32 v14, v7, v1
	v_lshl_add_u64 v[10:11], v[10:11], 0, 64
	s_cmp_lt_i32 s5, s19
	v_lshl_add_u64 v[12:13], v[12:13], 0, 64
	s_barrier
	s_cbranch_scc0 .LBB375_14
.LBB375_8:                              ; =>This Inner Loop Header: Depth=1
	v_add_u32_e32 v0, s5, v21
	v_cmp_le_i32_e64 s[2:3], s19, v0
	s_or_b64 s[2:3], s[8:9], s[2:3]
	s_and_saveexec_b64 s[14:15], s[2:3]
	s_xor_b64 s[2:3], exec, s[14:15]
; %bb.9:                                ;   in Loop: Header=BB375_8 Depth=1
	ds_write_b32 v23, v9
; %bb.10:                               ;   in Loop: Header=BB375_8 Depth=1
	s_or_saveexec_b64 s[2:3], s[2:3]
	v_mov_b32_e32 v2, 0
	v_mov_b32_e32 v0, 0
	s_xor_b64 exec, exec, s[2:3]
	s_cbranch_execz .LBB375_12
; %bb.11:                               ;   in Loop: Header=BB375_8 Depth=1
	flat_load_dwordx2 v[4:5], v[10:11]
	s_waitcnt vmcnt(0) lgkmcnt(0)
	v_xor_b32_e32 v0, 0x80000000, v5
	ds_write_b32 v23, v4
.LBB375_12:                             ;   in Loop: Header=BB375_8 Depth=1
	s_or_b64 exec, exec, s[2:3]
	ds_write_b32 v23, v0 offset:4
	v_add_u32_e32 v0, s5, v19
	v_cmp_gt_i32_e64 s[2:3], s19, v0
	s_and_b64 s[14:15], s[2:3], vcc
	v_mov_b32_e32 v3, 0
	s_and_saveexec_b64 s[2:3], s[14:15]
	s_cbranch_execz .LBB375_7
; %bb.13:                               ;   in Loop: Header=BB375_8 Depth=1
	flat_load_dwordx2 v[2:3], v[12:13]
	s_branch .LBB375_7
.LBB375_14:
	s_load_dwordx2 s[2:3], s[0:1], 0x58
	s_load_dword s14, s[0:1], 0x50
	v_add_u32_e32 v0, s4, v15
	v_add_u32_e32 v9, s22, v17
	v_cmp_neq_f32_e64 s[0:1], s6, 0
	s_waitcnt lgkmcnt(0)
	s_lshl_b64 s[2:3], s[2:3], 3
	s_add_u32 s8, s12, s2
	s_addc_u32 s9, s13, s3
	s_xor_b64 s[4:5], s[10:11], -1
	v_mad_i64_i32 v[2:3], s[2:3], v9, s14, 0
	s_or_b64 s[0:1], s[0:1], s[4:5]
	v_lshl_add_u64 v[4:5], v[2:3], 3, s[8:9]
	v_cmp_le_i32_e32 vcc, v9, v0
	v_cmp_gt_i32_e64 s[2:3], s18, v0
	v_cndmask_b32_e64 v2, 0, 1, s[0:1]
	s_and_b64 s[10:11], vcc, s[2:3]
	v_ashrrev_i32_e32 v1, 31, v0
	v_cmp_ne_u32_e64 s[0:1], 1, v2
	s_and_saveexec_b64 s[4:5], s[10:11]
	s_cbranch_execz .LBB375_18
; %bb.15:
	v_pk_mul_f32 v[6:7], v[26:27], s[16:17] op_sel:[0,1] op_sel_hi:[0,0]
	v_pk_fma_f32 v[2:3], v[24:25], s[16:17], v[6:7] op_sel_hi:[0,1,1] neg_lo:[0,0,1] neg_hi:[0,0,1]
	v_pk_fma_f32 v[10:11], v[24:25], s[16:17], v[6:7] op_sel_hi:[0,1,1]
	s_and_b64 vcc, exec, s[0:1]
	v_lshl_add_u64 v[6:7], v[0:1], 3, v[4:5]
	s_cbranch_vccnz .LBB375_17
; %bb.16:
	flat_load_dwordx2 v[12:13], v[6:7]
	s_mov_b32 s10, s7
	v_mov_b32_e32 v3, v11
	s_waitcnt vmcnt(0) lgkmcnt(0)
	v_pk_mul_f32 v[10:11], v[12:13], s[10:11] op_sel:[1,0] op_sel_hi:[0,0]
	v_pk_fma_f32 v[24:25], v[12:13], s[6:7], v[10:11] neg_lo:[0,0,1] neg_hi:[0,0,1]
	v_pk_fma_f32 v[10:11], v[12:13], s[6:7], v[10:11] op_sel_hi:[1,0,1]
	s_nop 0
	v_mov_b32_e32 v25, v11
	v_pk_add_f32 v[2:3], v[2:3], v[24:25]
	s_nop 0
	v_mov_b32_e32 v11, v3
.LBB375_17:
	v_mov_b32_e32 v3, v11
	flat_store_dwordx2 v[6:7], v[2:3]
.LBB375_18:
	s_or_b64 exec, exec, s[4:5]
	v_add_u32_e32 v2, 16, v0
	v_cmp_le_i32_e32 vcc, v9, v2
	v_cmp_gt_i32_e64 s[4:5], s18, v2
	s_and_b64 s[12:13], vcc, s[4:5]
	v_ashrrev_i32_e32 v3, 31, v2
	s_and_saveexec_b64 s[10:11], s[12:13]
	s_cbranch_execz .LBB375_22
; %bb.19:
	v_pk_mul_f32 v[10:11], v[22:23], s[16:17] op_sel:[0,1] op_sel_hi:[0,0]
	v_pk_fma_f32 v[6:7], v[20:21], s[16:17], v[10:11] op_sel_hi:[0,1,1] neg_lo:[0,0,1] neg_hi:[0,0,1]
	v_pk_fma_f32 v[10:11], v[20:21], s[16:17], v[10:11] op_sel_hi:[0,1,1]
	s_and_b64 vcc, exec, s[0:1]
	v_lshl_add_u64 v[4:5], v[2:3], 3, v[4:5]
	s_cbranch_vccnz .LBB375_21
; %bb.20:
	flat_load_dwordx2 v[12:13], v[4:5]
	s_mov_b32 s12, s7
	v_mov_b32_e32 v7, v11
	s_waitcnt vmcnt(0) lgkmcnt(0)
	v_pk_mul_f32 v[10:11], v[12:13], s[12:13] op_sel:[1,0] op_sel_hi:[0,0]
	v_pk_fma_f32 v[20:21], v[12:13], s[6:7], v[10:11] neg_lo:[0,0,1] neg_hi:[0,0,1]
	v_pk_fma_f32 v[10:11], v[12:13], s[6:7], v[10:11] op_sel_hi:[1,0,1]
	s_nop 0
	v_mov_b32_e32 v21, v11
	v_pk_add_f32 v[6:7], v[6:7], v[20:21]
	s_nop 0
	v_mov_b32_e32 v11, v7
.LBB375_21:
	v_mov_b32_e32 v7, v11
	flat_store_dwordx2 v[4:5], v[6:7]
.LBB375_22:
	s_or_b64 exec, exec, s[10:11]
	v_add_u32_e32 v9, 16, v9
	v_mad_i64_i32 v[4:5], s[10:11], v9, s14, 0
	v_cmp_le_i32_e32 vcc, v9, v0
	v_lshl_add_u64 v[4:5], v[4:5], 3, s[8:9]
	s_and_b64 s[8:9], vcc, s[2:3]
	s_and_saveexec_b64 s[2:3], s[8:9]
	s_cbranch_execz .LBB375_26
; %bb.23:
	v_pk_mul_f32 v[10:11], v[18:19], s[16:17] op_sel:[0,1] op_sel_hi:[0,0]
	v_pk_fma_f32 v[6:7], v[16:17], s[16:17], v[10:11] op_sel_hi:[0,1,1] neg_lo:[0,0,1] neg_hi:[0,0,1]
	v_pk_fma_f32 v[10:11], v[16:17], s[16:17], v[10:11] op_sel_hi:[0,1,1]
	s_and_b64 vcc, exec, s[0:1]
	v_lshl_add_u64 v[0:1], v[0:1], 3, v[4:5]
	s_cbranch_vccnz .LBB375_25
; %bb.24:
	flat_load_dwordx2 v[12:13], v[0:1]
	s_mov_b32 s8, s7
	v_mov_b32_e32 v7, v11
	s_waitcnt vmcnt(0) lgkmcnt(0)
	v_pk_mul_f32 v[10:11], v[12:13], s[8:9] op_sel:[1,0] op_sel_hi:[0,0]
	v_pk_fma_f32 v[16:17], v[12:13], s[6:7], v[10:11] neg_lo:[0,0,1] neg_hi:[0,0,1]
	v_pk_fma_f32 v[10:11], v[12:13], s[6:7], v[10:11] op_sel_hi:[1,0,1]
	s_nop 0
	v_mov_b32_e32 v17, v11
	v_pk_add_f32 v[6:7], v[6:7], v[16:17]
	s_nop 0
	v_mov_b32_e32 v11, v7
.LBB375_25:
	v_mov_b32_e32 v7, v11
	flat_store_dwordx2 v[0:1], v[6:7]
.LBB375_26:
	s_or_b64 exec, exec, s[2:3]
	v_cmp_le_i32_e32 vcc, v9, v2
	s_and_b64 s[2:3], vcc, s[4:5]
	s_and_saveexec_b64 s[4:5], s[2:3]
	s_cbranch_execz .LBB375_30
; %bb.27:
	v_pk_mul_f32 v[6:7], v[14:15], s[16:17] op_sel:[0,1] op_sel_hi:[0,0]
	v_pk_fma_f32 v[0:1], v[8:9], s[16:17], v[6:7] op_sel_hi:[0,1,1] neg_lo:[0,0,1] neg_hi:[0,0,1]
	v_pk_fma_f32 v[6:7], v[8:9], s[16:17], v[6:7] op_sel_hi:[0,1,1]
	s_and_b64 vcc, exec, s[0:1]
	v_lshl_add_u64 v[2:3], v[2:3], 3, v[4:5]
	s_cbranch_vccnz .LBB375_29
; %bb.28:
	flat_load_dwordx2 v[4:5], v[2:3]
	s_mov_b32 s0, s7
	v_mov_b32_e32 v1, v7
	s_waitcnt vmcnt(0) lgkmcnt(0)
	v_pk_mul_f32 v[6:7], v[4:5], s[0:1] op_sel:[1,0] op_sel_hi:[0,0]
	v_pk_fma_f32 v[8:9], v[4:5], s[6:7], v[6:7] neg_lo:[0,0,1] neg_hi:[0,0,1]
	v_pk_fma_f32 v[4:5], v[4:5], s[6:7], v[6:7] op_sel_hi:[1,0,1]
	s_nop 0
	v_mov_b32_e32 v9, v5
	v_pk_add_f32 v[0:1], v[0:1], v[8:9]
	s_nop 0
	v_mov_b32_e32 v7, v1
.LBB375_29:
	v_mov_b32_e32 v1, v7
	flat_store_dwordx2 v[2:3], v[0:1]
.LBB375_30:
	s_endpgm
	.section	.rodata,"a",@progbits
	.p2align	6, 0x0
	.amdhsa_kernel _ZL29rocblas_internal_gemmt_kernelIiLi16ELi32ELi8ELc67ELc78ELc76ELb1ELb0E19rocblas_complex_numIfEPKS1_PKS3_PKPS1_EviT_T9_T10_S9_lSB_S9_lSA_T11_S9_li
		.amdhsa_group_segment_fixed_size 4096
		.amdhsa_private_segment_fixed_size 0
		.amdhsa_kernarg_size 100
		.amdhsa_user_sgpr_count 2
		.amdhsa_user_sgpr_dispatch_ptr 0
		.amdhsa_user_sgpr_queue_ptr 0
		.amdhsa_user_sgpr_kernarg_segment_ptr 1
		.amdhsa_user_sgpr_dispatch_id 0
		.amdhsa_user_sgpr_kernarg_preload_length 0
		.amdhsa_user_sgpr_kernarg_preload_offset 0
		.amdhsa_user_sgpr_private_segment_size 0
		.amdhsa_uses_dynamic_stack 0
		.amdhsa_enable_private_segment 0
		.amdhsa_system_sgpr_workgroup_id_x 1
		.amdhsa_system_sgpr_workgroup_id_y 1
		.amdhsa_system_sgpr_workgroup_id_z 1
		.amdhsa_system_sgpr_workgroup_info 0
		.amdhsa_system_vgpr_workitem_id 1
		.amdhsa_next_free_vgpr 54
		.amdhsa_next_free_sgpr 29
		.amdhsa_accum_offset 56
		.amdhsa_reserve_vcc 1
		.amdhsa_float_round_mode_32 0
		.amdhsa_float_round_mode_16_64 0
		.amdhsa_float_denorm_mode_32 3
		.amdhsa_float_denorm_mode_16_64 3
		.amdhsa_dx10_clamp 1
		.amdhsa_ieee_mode 1
		.amdhsa_fp16_overflow 0
		.amdhsa_tg_split 0
		.amdhsa_exception_fp_ieee_invalid_op 0
		.amdhsa_exception_fp_denorm_src 0
		.amdhsa_exception_fp_ieee_div_zero 0
		.amdhsa_exception_fp_ieee_overflow 0
		.amdhsa_exception_fp_ieee_underflow 0
		.amdhsa_exception_fp_ieee_inexact 0
		.amdhsa_exception_int_div_zero 0
	.end_amdhsa_kernel
	.section	.text._ZL29rocblas_internal_gemmt_kernelIiLi16ELi32ELi8ELc67ELc78ELc76ELb1ELb0E19rocblas_complex_numIfEPKS1_PKS3_PKPS1_EviT_T9_T10_S9_lSB_S9_lSA_T11_S9_li,"axG",@progbits,_ZL29rocblas_internal_gemmt_kernelIiLi16ELi32ELi8ELc67ELc78ELc76ELb1ELb0E19rocblas_complex_numIfEPKS1_PKS3_PKPS1_EviT_T9_T10_S9_lSB_S9_lSA_T11_S9_li,comdat
.Lfunc_end375:
	.size	_ZL29rocblas_internal_gemmt_kernelIiLi16ELi32ELi8ELc67ELc78ELc76ELb1ELb0E19rocblas_complex_numIfEPKS1_PKS3_PKPS1_EviT_T9_T10_S9_lSB_S9_lSA_T11_S9_li, .Lfunc_end375-_ZL29rocblas_internal_gemmt_kernelIiLi16ELi32ELi8ELc67ELc78ELc76ELb1ELb0E19rocblas_complex_numIfEPKS1_PKS3_PKPS1_EviT_T9_T10_S9_lSB_S9_lSA_T11_S9_li
                                        ; -- End function
	.set _ZL29rocblas_internal_gemmt_kernelIiLi16ELi32ELi8ELc67ELc78ELc76ELb1ELb0E19rocblas_complex_numIfEPKS1_PKS3_PKPS1_EviT_T9_T10_S9_lSB_S9_lSA_T11_S9_li.num_vgpr, 54
	.set _ZL29rocblas_internal_gemmt_kernelIiLi16ELi32ELi8ELc67ELc78ELc76ELb1ELb0E19rocblas_complex_numIfEPKS1_PKS3_PKPS1_EviT_T9_T10_S9_lSB_S9_lSA_T11_S9_li.num_agpr, 0
	.set _ZL29rocblas_internal_gemmt_kernelIiLi16ELi32ELi8ELc67ELc78ELc76ELb1ELb0E19rocblas_complex_numIfEPKS1_PKS3_PKPS1_EviT_T9_T10_S9_lSB_S9_lSA_T11_S9_li.numbered_sgpr, 29
	.set _ZL29rocblas_internal_gemmt_kernelIiLi16ELi32ELi8ELc67ELc78ELc76ELb1ELb0E19rocblas_complex_numIfEPKS1_PKS3_PKPS1_EviT_T9_T10_S9_lSB_S9_lSA_T11_S9_li.num_named_barrier, 0
	.set _ZL29rocblas_internal_gemmt_kernelIiLi16ELi32ELi8ELc67ELc78ELc76ELb1ELb0E19rocblas_complex_numIfEPKS1_PKS3_PKPS1_EviT_T9_T10_S9_lSB_S9_lSA_T11_S9_li.private_seg_size, 0
	.set _ZL29rocblas_internal_gemmt_kernelIiLi16ELi32ELi8ELc67ELc78ELc76ELb1ELb0E19rocblas_complex_numIfEPKS1_PKS3_PKPS1_EviT_T9_T10_S9_lSB_S9_lSA_T11_S9_li.uses_vcc, 1
	.set _ZL29rocblas_internal_gemmt_kernelIiLi16ELi32ELi8ELc67ELc78ELc76ELb1ELb0E19rocblas_complex_numIfEPKS1_PKS3_PKPS1_EviT_T9_T10_S9_lSB_S9_lSA_T11_S9_li.uses_flat_scratch, 0
	.set _ZL29rocblas_internal_gemmt_kernelIiLi16ELi32ELi8ELc67ELc78ELc76ELb1ELb0E19rocblas_complex_numIfEPKS1_PKS3_PKPS1_EviT_T9_T10_S9_lSB_S9_lSA_T11_S9_li.has_dyn_sized_stack, 0
	.set _ZL29rocblas_internal_gemmt_kernelIiLi16ELi32ELi8ELc67ELc78ELc76ELb1ELb0E19rocblas_complex_numIfEPKS1_PKS3_PKPS1_EviT_T9_T10_S9_lSB_S9_lSA_T11_S9_li.has_recursion, 0
	.set _ZL29rocblas_internal_gemmt_kernelIiLi16ELi32ELi8ELc67ELc78ELc76ELb1ELb0E19rocblas_complex_numIfEPKS1_PKS3_PKPS1_EviT_T9_T10_S9_lSB_S9_lSA_T11_S9_li.has_indirect_call, 0
	.section	.AMDGPU.csdata,"",@progbits
; Kernel info:
; codeLenInByte = 2508
; TotalNumSgprs: 35
; NumVgprs: 54
; NumAgprs: 0
; TotalNumVgprs: 54
; ScratchSize: 0
; MemoryBound: 0
; FloatMode: 240
; IeeeMode: 1
; LDSByteSize: 4096 bytes/workgroup (compile time only)
; SGPRBlocks: 4
; VGPRBlocks: 6
; NumSGPRsForWavesPerEU: 35
; NumVGPRsForWavesPerEU: 54
; AccumOffset: 56
; Occupancy: 8
; WaveLimiterHint : 1
; COMPUTE_PGM_RSRC2:SCRATCH_EN: 0
; COMPUTE_PGM_RSRC2:USER_SGPR: 2
; COMPUTE_PGM_RSRC2:TRAP_HANDLER: 0
; COMPUTE_PGM_RSRC2:TGID_X_EN: 1
; COMPUTE_PGM_RSRC2:TGID_Y_EN: 1
; COMPUTE_PGM_RSRC2:TGID_Z_EN: 1
; COMPUTE_PGM_RSRC2:TIDIG_COMP_CNT: 1
; COMPUTE_PGM_RSRC3_GFX90A:ACCUM_OFFSET: 13
; COMPUTE_PGM_RSRC3_GFX90A:TG_SPLIT: 0
	.section	.text._ZL29rocblas_internal_gemmt_kernelIiLi16ELi32ELi8ELc67ELc84ELc76ELb1ELb0E19rocblas_complex_numIfEPKS1_PKS3_PKPS1_EviT_T9_T10_S9_lSB_S9_lSA_T11_S9_li,"axG",@progbits,_ZL29rocblas_internal_gemmt_kernelIiLi16ELi32ELi8ELc67ELc84ELc76ELb1ELb0E19rocblas_complex_numIfEPKS1_PKS3_PKPS1_EviT_T9_T10_S9_lSB_S9_lSA_T11_S9_li,comdat
	.globl	_ZL29rocblas_internal_gemmt_kernelIiLi16ELi32ELi8ELc67ELc84ELc76ELb1ELb0E19rocblas_complex_numIfEPKS1_PKS3_PKPS1_EviT_T9_T10_S9_lSB_S9_lSA_T11_S9_li ; -- Begin function _ZL29rocblas_internal_gemmt_kernelIiLi16ELi32ELi8ELc67ELc84ELc76ELb1ELb0E19rocblas_complex_numIfEPKS1_PKS3_PKPS1_EviT_T9_T10_S9_lSB_S9_lSA_T11_S9_li
	.p2align	8
	.type	_ZL29rocblas_internal_gemmt_kernelIiLi16ELi32ELi8ELc67ELc84ELc76ELb1ELb0E19rocblas_complex_numIfEPKS1_PKS3_PKPS1_EviT_T9_T10_S9_lSB_S9_lSA_T11_S9_li,@function
_ZL29rocblas_internal_gemmt_kernelIiLi16ELi32ELi8ELc67ELc84ELc76ELb1ELb0E19rocblas_complex_numIfEPKS1_PKS3_PKPS1_EviT_T9_T10_S9_lSB_S9_lSA_T11_S9_li: ; @_ZL29rocblas_internal_gemmt_kernelIiLi16ELi32ELi8ELc67ELc84ELc76ELb1ELb0E19rocblas_complex_numIfEPKS1_PKS3_PKPS1_EviT_T9_T10_S9_lSB_S9_lSA_T11_S9_li
; %bb.0:
	s_load_dwordx4 s[8:11], s[0:1], 0x38
	s_load_dwordx4 s[12:15], s[0:1], 0x8
	s_waitcnt lgkmcnt(0)
	s_load_dwordx2 s[6:7], s[10:11], 0x0
	s_load_dwordx2 s[18:19], s[0:1], 0x0
	;; [unrolled: 1-line block ×3, first 2 shown]
	s_waitcnt lgkmcnt(0)
	s_and_b32 s5, s7, 0x7fffffff
	s_cmp_eq_u32 s5, 0
	v_cmp_eq_f32_e64 s[12:13], s6, 1.0
	s_cselect_b64 s[10:11], -1, 0
	s_and_b64 s[12:13], s[12:13], s[10:11]
	s_and_b64 vcc, exec, s[12:13]
	s_cbranch_vccnz .LBB376_2
; %bb.1:
	s_mov_b64 s[12:13], -1
	s_cbranch_execz .LBB376_3
	s_branch .LBB376_4
.LBB376_2:
	s_mov_b64 s[12:13], 0
.LBB376_3:
	s_cmp_lg_u32 s19, 0
	v_cmp_neq_f32_e64 s[20:21], s16, 0
	v_cmp_neq_f32_e64 s[22:23], s17, 0
	s_cselect_b64 s[12:13], -1, 0
	s_or_b64 s[20:21], s[20:21], s[22:23]
	s_and_b64 s[12:13], s[12:13], s[20:21]
.LBB376_4:
	s_andn2_b64 vcc, exec, s[12:13]
	s_cbranch_vccnz .LBB376_30
; %bb.5:
	s_load_dwordx2 s[12:13], s[0:1], 0x48
	s_mov_b32 s5, 0
	s_lshl_b64 s[20:21], s[4:5], 3
	v_cmp_eq_f32_e64 s[24:25], s17, 0
	v_and_b32_e32 v15, 0x3ff, v0
	s_waitcnt lgkmcnt(0)
	s_add_u32 s12, s12, s20
	s_addc_u32 s13, s13, s21
	s_lshl_b32 s4, s2, 5
	s_lshl_b32 s22, s3, 5
	v_cmp_eq_f32_e64 s[2:3], s16, 0
	s_load_dwordx2 s[12:13], s[12:13], 0x0
	s_and_b64 s[2:3], s[2:3], s[24:25]
	s_cmp_lt_i32 s19, 1
	s_cselect_b64 s[24:25], -1, 0
	s_or_b64 s[2:3], s[2:3], s[24:25]
	v_bfe_u32 v17, v0, 10, 10
	v_mov_b32_e32 v24, 0
	s_and_b64 vcc, exec, s[2:3]
	v_mov_b32_e32 v26, 0
	v_mov_b32_e32 v20, 0
	;; [unrolled: 1-line block ×7, first 2 shown]
	s_cbranch_vccnz .LBB376_14
; %bb.6:
	s_load_dword s23, s[0:1], 0x18
	s_load_dword s28, s[0:1], 0x30
	s_load_dwordx4 s[24:27], s[0:1], 0x20
	v_lshl_add_u32 v1, v17, 4, v15
	v_and_b32_e32 v3, 31, v1
	v_lshrrev_b32_e32 v21, 5, v1
	s_waitcnt lgkmcnt(0)
	s_ashr_i32 s29, s28, 31
	s_add_u32 s2, s26, s20
	s_addc_u32 s3, s27, s21
	s_load_dwordx2 s[26:27], s[2:3], 0x0
	s_add_u32 s2, s14, s20
	v_lshrrev_b32_e32 v2, 3, v1
	v_or_b32_e32 v1, s4, v3
	s_addc_u32 s3, s15, s21
	v_and_b32_e32 v19, 7, v15
	s_load_dwordx2 s[14:15], s[2:3], 0x0
	v_cmp_gt_i32_e64 s[2:3], s18, v1
	v_lshlrev_b32_e32 v1, 3, v3
	v_lshl_or_b32 v23, v21, 8, v1
	v_lshlrev_b32_e32 v1, 3, v19
	v_add_u32_e32 v0, s22, v2
	v_lshl_or_b32 v1, v2, 6, v1
	v_mov_b32_e32 v2, 0x800
	v_lshl_add_u32 v28, v17, 6, v2
	v_add_u32_e32 v2, s4, v3
	v_mad_i64_i32 v[2:3], s[20:21], s23, v2, 0
	s_lshl_b64 s[20:21], s[24:25], 3
	s_nop 0
	v_lshl_add_u64 v[2:3], v[2:3], 3, s[20:21]
	v_lshlrev_b32_e32 v8, 3, v21
	v_mov_b32_e32 v9, 0
	v_lshl_add_u64 v[2:3], v[2:3], 0, v[8:9]
	s_waitcnt lgkmcnt(0)
	v_lshl_add_u64 v[10:11], s[14:15], 0, v[2:3]
	v_mad_i64_i32 v[2:3], s[14:15], s28, v19, 0
	s_lshl_b64 s[8:9], s[8:9], 3
	v_add_u32_e32 v25, 0x800, v1
	v_ashrrev_i32_e32 v1, 31, v0
	v_lshl_add_u64 v[2:3], v[2:3], 3, s[8:9]
	v_cmp_gt_i32_e32 vcc, s18, v0
	v_lshl_add_u64 v[0:1], v[0:1], 3, v[2:3]
	v_lshlrev_b32_e32 v27, 3, v15
	v_lshl_add_u64 v[12:13], s[26:27], 0, v[0:1]
	s_lshl_b64 s[8:9], s[28:29], 6
	s_xor_b64 s[14:15], s[2:3], -1
	v_mov_b32_e32 v14, 0
	v_mov_b32_e32 v8, 0
	;; [unrolled: 1-line block ×8, first 2 shown]
	s_branch .LBB376_8
.LBB376_7:                              ;   in Loop: Header=BB376_8 Depth=1
	s_or_b64 exec, exec, s[2:3]
	s_waitcnt vmcnt(0) lgkmcnt(0)
	ds_write_b64 v25, v[2:3]
	s_waitcnt lgkmcnt(0)
	s_barrier
	ds_read2_b64 v[30:33], v27 offset1:16
	ds_read_b128 v[34:37], v28
	ds_read_b128 v[38:41], v28 offset:16
	ds_read_b128 v[4:7], v28 offset:32
	ds_read_b128 v[0:3], v28 offset:48
	ds_read2_b64 v[50:53], v27 offset0:32 offset1:48
	s_waitcnt lgkmcnt(4)
	v_mul_f32_e32 v42, v34, v31
	v_fmac_f32_e32 v42, v35, v30
	v_add_f32_e32 v26, v26, v42
	ds_read_b128 v[42:45], v28 offset:1024
	ds_read_b128 v[46:49], v28 offset:1040
	v_mul_f32_e32 v29, v35, v31
	v_fma_f32 v29, v34, v30, -v29
	v_add_f32_e32 v24, v24, v29
	v_mul_f32_e32 v29, v35, v33
	v_fma_f32 v29, v34, v32, -v29
	v_add_f32_e32 v20, v20, v29
	s_waitcnt lgkmcnt(1)
	v_mul_f32_e32 v29, v43, v31
	v_mul_f32_e32 v31, v42, v31
	v_fma_f32 v29, v42, v30, -v29
	v_fmac_f32_e32 v31, v43, v30
	v_mul_f32_e32 v30, v42, v33
	v_fmac_f32_e32 v30, v43, v32
	v_add_f32_e32 v14, v14, v30
	v_mul_f32_e32 v30, v36, v51
	v_mul_f32_e32 v34, v34, v33
	v_fmac_f32_e32 v30, v37, v50
	v_fmac_f32_e32 v34, v35, v32
	v_add_f32_e32 v26, v26, v30
	v_mul_f32_e32 v30, v36, v53
	v_add_f32_e32 v22, v22, v34
	v_add_f32_e32 v16, v16, v29
	v_mul_f32_e32 v29, v43, v33
	v_fmac_f32_e32 v30, v37, v52
	v_fma_f32 v29, v42, v32, -v29
	v_add_f32_e32 v22, v22, v30
	v_mul_f32_e32 v30, v44, v51
	v_add_f32_e32 v18, v18, v31
	v_add_f32_e32 v8, v8, v29
	v_mul_f32_e32 v29, v37, v51
	v_fmac_f32_e32 v30, v45, v50
	v_fma_f32 v29, v36, v50, -v29
	v_add_f32_e32 v18, v18, v30
	ds_read2_b64 v[30:33], v27 offset0:64 offset1:80
	v_add_f32_e32 v24, v24, v29
	v_mul_f32_e32 v29, v37, v53
	v_fma_f32 v29, v36, v52, -v29
	v_add_f32_e32 v20, v20, v29
	v_mul_f32_e32 v29, v45, v51
	v_mul_f32_e32 v34, v44, v53
	v_fma_f32 v29, v44, v50, -v29
	v_fmac_f32_e32 v34, v45, v52
	v_add_f32_e32 v16, v16, v29
	v_mul_f32_e32 v29, v45, v53
	v_add_f32_e32 v14, v14, v34
	s_waitcnt lgkmcnt(0)
	v_mul_f32_e32 v34, v38, v31
	v_fma_f32 v29, v44, v52, -v29
	v_fmac_f32_e32 v34, v39, v30
	v_add_f32_e32 v8, v8, v29
	v_mul_f32_e32 v29, v39, v31
	v_add_f32_e32 v26, v26, v34
	v_mul_f32_e32 v34, v38, v33
	v_fma_f32 v29, v38, v30, -v29
	v_fmac_f32_e32 v34, v39, v32
	v_add_f32_e32 v24, v24, v29
	v_mul_f32_e32 v29, v39, v33
	v_add_f32_e32 v22, v22, v34
	ds_read2_b64 v[34:37], v27 offset0:96 offset1:112
	v_fma_f32 v29, v38, v32, -v29
	v_add_f32_e32 v20, v20, v29
	v_mul_f32_e32 v29, v47, v31
	v_mul_f32_e32 v31, v46, v31
	v_fma_f32 v29, v46, v30, -v29
	v_fmac_f32_e32 v31, v47, v30
	v_mul_f32_e32 v30, v46, v33
	v_fmac_f32_e32 v30, v47, v32
	v_add_f32_e32 v14, v14, v30
	s_waitcnt lgkmcnt(0)
	v_mul_f32_e32 v30, v40, v35
	v_fmac_f32_e32 v30, v41, v34
	v_add_f32_e32 v16, v16, v29
	v_mul_f32_e32 v29, v47, v33
	v_add_f32_e32 v26, v26, v30
	v_mul_f32_e32 v30, v40, v37
	v_fma_f32 v29, v46, v32, -v29
	v_fmac_f32_e32 v30, v41, v36
	v_add_f32_e32 v8, v8, v29
	v_mul_f32_e32 v29, v41, v35
	v_add_f32_e32 v22, v22, v30
	v_mul_f32_e32 v30, v48, v35
	v_add_f32_e32 v18, v18, v31
	v_fma_f32 v29, v40, v34, -v29
	v_fmac_f32_e32 v30, v49, v34
	v_add_f32_e32 v24, v24, v29
	v_mul_f32_e32 v29, v41, v37
	v_add_f32_e32 v18, v18, v30
	ds_read2_b64 v[30:33], v27 offset0:128 offset1:144
	v_fma_f32 v29, v40, v36, -v29
	v_add_f32_e32 v20, v20, v29
	v_mul_f32_e32 v29, v49, v35
	v_fma_f32 v29, v48, v34, -v29
	v_mul_f32_e32 v34, v48, v37
	v_fmac_f32_e32 v34, v49, v36
	v_add_f32_e32 v14, v14, v34
	s_waitcnt lgkmcnt(0)
	v_mul_f32_e32 v34, v4, v31
	v_add_f32_e32 v16, v16, v29
	v_mul_f32_e32 v29, v49, v37
	v_fmac_f32_e32 v34, v5, v30
	v_fma_f32 v29, v48, v36, -v29
	v_add_f32_e32 v26, v26, v34
	ds_read_b128 v[34:37], v28 offset:1056
	ds_read_b128 v[38:41], v28 offset:1072
	v_add_f32_e32 v8, v8, v29
	v_mul_f32_e32 v29, v5, v31
	v_fma_f32 v29, v4, v30, -v29
	v_add_f32_e32 v24, v24, v29
	v_mul_f32_e32 v29, v5, v33
	v_fma_f32 v29, v4, v32, -v29
	v_mul_f32_e32 v4, v4, v33
	ds_read2_b64 v[42:45], v27 offset0:160 offset1:176
	v_fmac_f32_e32 v4, v5, v32
	v_add_f32_e32 v5, v20, v29
	s_waitcnt lgkmcnt(2)
	v_mul_f32_e32 v20, v35, v31
	v_fma_f32 v20, v34, v30, -v20
	v_add_f32_e32 v16, v16, v20
	v_mul_f32_e32 v20, v35, v33
	v_add_f32_e32 v4, v22, v4
	v_mul_f32_e32 v22, v34, v31
	v_fma_f32 v20, v34, v32, -v20
	v_fmac_f32_e32 v22, v35, v30
	v_add_f32_e32 v8, v8, v20
	s_waitcnt lgkmcnt(0)
	v_mul_f32_e32 v20, v7, v43
	v_add_f32_e32 v18, v18, v22
	v_mul_f32_e32 v22, v34, v33
	v_fma_f32 v20, v6, v42, -v20
	v_fmac_f32_e32 v22, v35, v32
	v_add_f32_e32 v20, v24, v20
	v_mul_f32_e32 v24, v7, v45
	v_add_f32_e32 v14, v14, v22
	v_mul_f32_e32 v22, v6, v43
	v_fma_f32 v24, v6, v44, -v24
	v_mul_f32_e32 v6, v6, v45
	v_fmac_f32_e32 v22, v7, v42
	v_fmac_f32_e32 v6, v7, v44
	v_add_f32_e32 v22, v26, v22
	v_add_f32_e32 v26, v4, v6
	v_mul_f32_e32 v4, v37, v43
	v_add_f32_e32 v24, v5, v24
	v_fma_f32 v4, v36, v42, -v4
	v_mul_f32_e32 v5, v36, v43
	v_fmac_f32_e32 v5, v37, v42
	v_add_f32_e32 v16, v16, v4
	v_mul_f32_e32 v4, v37, v45
	v_add_f32_e32 v18, v18, v5
	v_fma_f32 v29, v36, v44, -v4
	ds_read2_b64 v[4:7], v27 offset0:192 offset1:208
	v_mul_f32_e32 v30, v36, v45
	v_fmac_f32_e32 v30, v37, v44
	v_add_f32_e32 v8, v8, v29
	v_add_f32_e32 v14, v14, v30
	s_waitcnt lgkmcnt(0)
	v_mul_f32_e32 v29, v1, v5
	v_fma_f32 v29, v0, v4, -v29
	v_mul_f32_e32 v30, v0, v5
	v_fmac_f32_e32 v30, v1, v4
	v_add_f32_e32 v20, v20, v29
	v_mul_f32_e32 v29, v1, v7
	v_add_f32_e32 v22, v22, v30
	v_fma_f32 v29, v0, v6, -v29
	v_mul_f32_e32 v0, v0, v7
	ds_read2_b64 v[30:33], v27 offset0:224 offset1:240
	v_fmac_f32_e32 v0, v1, v6
	v_add_f32_e32 v1, v24, v29
	v_mul_f32_e32 v24, v39, v5
	v_fma_f32 v24, v38, v4, -v24
	v_mul_f32_e32 v5, v38, v5
	v_fmac_f32_e32 v5, v39, v4
	v_add_f32_e32 v4, v16, v24
	v_mul_f32_e32 v16, v39, v7
	v_fma_f32 v16, v38, v6, -v16
	v_mul_f32_e32 v7, v38, v7
	v_fmac_f32_e32 v7, v39, v6
	v_add_f32_e32 v6, v8, v16
	s_waitcnt lgkmcnt(0)
	v_mul_f32_e32 v8, v3, v31
	v_fma_f32 v8, v2, v30, -v8
	v_add_f32_e32 v24, v20, v8
	v_mul_f32_e32 v8, v3, v33
	v_add_f32_e32 v7, v14, v7
	v_mul_f32_e32 v14, v2, v31
	v_fma_f32 v8, v2, v32, -v8
	v_mul_f32_e32 v2, v2, v33
	v_add_f32_e32 v0, v26, v0
	v_fmac_f32_e32 v14, v3, v30
	v_fmac_f32_e32 v2, v3, v32
	v_add_f32_e32 v26, v22, v14
	v_add_f32_e32 v20, v1, v8
	;; [unrolled: 1-line block ×3, first 2 shown]
	v_mul_f32_e32 v0, v41, v31
	v_mul_f32_e32 v1, v40, v31
	v_add_f32_e32 v5, v18, v5
	v_fma_f32 v0, v40, v30, -v0
	v_fmac_f32_e32 v1, v41, v30
	v_add_f32_e32 v16, v4, v0
	v_add_f32_e32 v18, v5, v1
	v_mul_f32_e32 v0, v41, v33
	v_mul_f32_e32 v1, v40, v33
	v_fma_f32 v0, v40, v32, -v0
	v_fmac_f32_e32 v1, v41, v32
	s_add_i32 s5, s5, 8
	v_add_f32_e32 v8, v6, v0
	v_add_f32_e32 v14, v7, v1
	v_lshl_add_u64 v[10:11], v[10:11], 0, 64
	s_cmp_lt_i32 s5, s19
	v_lshl_add_u64 v[12:13], v[12:13], 0, s[8:9]
	s_barrier
	s_cbranch_scc0 .LBB376_14
.LBB376_8:                              ; =>This Inner Loop Header: Depth=1
	v_add_u32_e32 v0, s5, v21
	v_cmp_le_i32_e64 s[2:3], s19, v0
	s_or_b64 s[2:3], s[14:15], s[2:3]
	s_and_saveexec_b64 s[20:21], s[2:3]
	s_xor_b64 s[2:3], exec, s[20:21]
; %bb.9:                                ;   in Loop: Header=BB376_8 Depth=1
	ds_write_b32 v23, v9
; %bb.10:                               ;   in Loop: Header=BB376_8 Depth=1
	s_or_saveexec_b64 s[2:3], s[2:3]
	v_mov_b32_e32 v2, 0
	v_mov_b32_e32 v0, 0
	s_xor_b64 exec, exec, s[2:3]
	s_cbranch_execz .LBB376_12
; %bb.11:                               ;   in Loop: Header=BB376_8 Depth=1
	flat_load_dwordx2 v[4:5], v[10:11]
	s_waitcnt vmcnt(0) lgkmcnt(0)
	v_xor_b32_e32 v0, 0x80000000, v5
	ds_write_b32 v23, v4
.LBB376_12:                             ;   in Loop: Header=BB376_8 Depth=1
	s_or_b64 exec, exec, s[2:3]
	ds_write_b32 v23, v0 offset:4
	v_add_u32_e32 v0, s5, v19
	v_cmp_gt_i32_e64 s[2:3], s19, v0
	s_and_b64 s[20:21], s[2:3], vcc
	v_mov_b32_e32 v3, 0
	s_and_saveexec_b64 s[2:3], s[20:21]
	s_cbranch_execz .LBB376_7
; %bb.13:                               ;   in Loop: Header=BB376_8 Depth=1
	flat_load_dwordx2 v[2:3], v[12:13]
	s_branch .LBB376_7
.LBB376_14:
	s_load_dwordx2 s[2:3], s[0:1], 0x58
	s_load_dword s14, s[0:1], 0x50
	v_add_u32_e32 v0, s4, v15
	v_add_u32_e32 v9, s22, v17
	v_cmp_neq_f32_e64 s[0:1], s6, 0
	s_waitcnt lgkmcnt(0)
	s_lshl_b64 s[2:3], s[2:3], 3
	s_add_u32 s8, s12, s2
	s_addc_u32 s9, s13, s3
	s_xor_b64 s[4:5], s[10:11], -1
	v_mad_i64_i32 v[2:3], s[2:3], v9, s14, 0
	s_or_b64 s[0:1], s[0:1], s[4:5]
	v_lshl_add_u64 v[4:5], v[2:3], 3, s[8:9]
	v_cmp_le_i32_e32 vcc, v9, v0
	v_cmp_gt_i32_e64 s[2:3], s18, v0
	v_cndmask_b32_e64 v2, 0, 1, s[0:1]
	s_and_b64 s[10:11], vcc, s[2:3]
	v_ashrrev_i32_e32 v1, 31, v0
	v_cmp_ne_u32_e64 s[0:1], 1, v2
	s_and_saveexec_b64 s[4:5], s[10:11]
	s_cbranch_execz .LBB376_18
; %bb.15:
	v_pk_mul_f32 v[6:7], v[26:27], s[16:17] op_sel:[0,1] op_sel_hi:[0,0]
	v_pk_fma_f32 v[2:3], v[24:25], s[16:17], v[6:7] op_sel_hi:[0,1,1] neg_lo:[0,0,1] neg_hi:[0,0,1]
	v_pk_fma_f32 v[10:11], v[24:25], s[16:17], v[6:7] op_sel_hi:[0,1,1]
	s_and_b64 vcc, exec, s[0:1]
	v_lshl_add_u64 v[6:7], v[0:1], 3, v[4:5]
	s_cbranch_vccnz .LBB376_17
; %bb.16:
	flat_load_dwordx2 v[12:13], v[6:7]
	s_mov_b32 s10, s7
	v_mov_b32_e32 v3, v11
	s_waitcnt vmcnt(0) lgkmcnt(0)
	v_pk_mul_f32 v[10:11], v[12:13], s[10:11] op_sel:[1,0] op_sel_hi:[0,0]
	v_pk_fma_f32 v[24:25], v[12:13], s[6:7], v[10:11] neg_lo:[0,0,1] neg_hi:[0,0,1]
	v_pk_fma_f32 v[10:11], v[12:13], s[6:7], v[10:11] op_sel_hi:[1,0,1]
	s_nop 0
	v_mov_b32_e32 v25, v11
	v_pk_add_f32 v[2:3], v[2:3], v[24:25]
	s_nop 0
	v_mov_b32_e32 v11, v3
.LBB376_17:
	v_mov_b32_e32 v3, v11
	flat_store_dwordx2 v[6:7], v[2:3]
.LBB376_18:
	s_or_b64 exec, exec, s[4:5]
	v_add_u32_e32 v2, 16, v0
	v_cmp_le_i32_e32 vcc, v9, v2
	v_cmp_gt_i32_e64 s[4:5], s18, v2
	s_and_b64 s[12:13], vcc, s[4:5]
	v_ashrrev_i32_e32 v3, 31, v2
	s_and_saveexec_b64 s[10:11], s[12:13]
	s_cbranch_execz .LBB376_22
; %bb.19:
	v_pk_mul_f32 v[10:11], v[22:23], s[16:17] op_sel:[0,1] op_sel_hi:[0,0]
	v_pk_fma_f32 v[6:7], v[20:21], s[16:17], v[10:11] op_sel_hi:[0,1,1] neg_lo:[0,0,1] neg_hi:[0,0,1]
	v_pk_fma_f32 v[10:11], v[20:21], s[16:17], v[10:11] op_sel_hi:[0,1,1]
	s_and_b64 vcc, exec, s[0:1]
	v_lshl_add_u64 v[4:5], v[2:3], 3, v[4:5]
	s_cbranch_vccnz .LBB376_21
; %bb.20:
	flat_load_dwordx2 v[12:13], v[4:5]
	s_mov_b32 s12, s7
	v_mov_b32_e32 v7, v11
	s_waitcnt vmcnt(0) lgkmcnt(0)
	v_pk_mul_f32 v[10:11], v[12:13], s[12:13] op_sel:[1,0] op_sel_hi:[0,0]
	v_pk_fma_f32 v[20:21], v[12:13], s[6:7], v[10:11] neg_lo:[0,0,1] neg_hi:[0,0,1]
	v_pk_fma_f32 v[10:11], v[12:13], s[6:7], v[10:11] op_sel_hi:[1,0,1]
	s_nop 0
	v_mov_b32_e32 v21, v11
	v_pk_add_f32 v[6:7], v[6:7], v[20:21]
	s_nop 0
	v_mov_b32_e32 v11, v7
.LBB376_21:
	v_mov_b32_e32 v7, v11
	flat_store_dwordx2 v[4:5], v[6:7]
.LBB376_22:
	s_or_b64 exec, exec, s[10:11]
	v_add_u32_e32 v9, 16, v9
	v_mad_i64_i32 v[4:5], s[10:11], v9, s14, 0
	v_cmp_le_i32_e32 vcc, v9, v0
	v_lshl_add_u64 v[4:5], v[4:5], 3, s[8:9]
	s_and_b64 s[8:9], vcc, s[2:3]
	s_and_saveexec_b64 s[2:3], s[8:9]
	s_cbranch_execz .LBB376_26
; %bb.23:
	v_pk_mul_f32 v[10:11], v[18:19], s[16:17] op_sel:[0,1] op_sel_hi:[0,0]
	v_pk_fma_f32 v[6:7], v[16:17], s[16:17], v[10:11] op_sel_hi:[0,1,1] neg_lo:[0,0,1] neg_hi:[0,0,1]
	v_pk_fma_f32 v[10:11], v[16:17], s[16:17], v[10:11] op_sel_hi:[0,1,1]
	s_and_b64 vcc, exec, s[0:1]
	v_lshl_add_u64 v[0:1], v[0:1], 3, v[4:5]
	s_cbranch_vccnz .LBB376_25
; %bb.24:
	flat_load_dwordx2 v[12:13], v[0:1]
	s_mov_b32 s8, s7
	v_mov_b32_e32 v7, v11
	s_waitcnt vmcnt(0) lgkmcnt(0)
	v_pk_mul_f32 v[10:11], v[12:13], s[8:9] op_sel:[1,0] op_sel_hi:[0,0]
	v_pk_fma_f32 v[16:17], v[12:13], s[6:7], v[10:11] neg_lo:[0,0,1] neg_hi:[0,0,1]
	v_pk_fma_f32 v[10:11], v[12:13], s[6:7], v[10:11] op_sel_hi:[1,0,1]
	s_nop 0
	v_mov_b32_e32 v17, v11
	v_pk_add_f32 v[6:7], v[6:7], v[16:17]
	s_nop 0
	v_mov_b32_e32 v11, v7
.LBB376_25:
	v_mov_b32_e32 v7, v11
	flat_store_dwordx2 v[0:1], v[6:7]
.LBB376_26:
	s_or_b64 exec, exec, s[2:3]
	v_cmp_le_i32_e32 vcc, v9, v2
	s_and_b64 s[2:3], vcc, s[4:5]
	s_and_saveexec_b64 s[4:5], s[2:3]
	s_cbranch_execz .LBB376_30
; %bb.27:
	v_pk_mul_f32 v[6:7], v[14:15], s[16:17] op_sel:[0,1] op_sel_hi:[0,0]
	v_pk_fma_f32 v[0:1], v[8:9], s[16:17], v[6:7] op_sel_hi:[0,1,1] neg_lo:[0,0,1] neg_hi:[0,0,1]
	v_pk_fma_f32 v[6:7], v[8:9], s[16:17], v[6:7] op_sel_hi:[0,1,1]
	s_and_b64 vcc, exec, s[0:1]
	v_lshl_add_u64 v[2:3], v[2:3], 3, v[4:5]
	s_cbranch_vccnz .LBB376_29
; %bb.28:
	flat_load_dwordx2 v[4:5], v[2:3]
	s_mov_b32 s0, s7
	v_mov_b32_e32 v1, v7
	s_waitcnt vmcnt(0) lgkmcnt(0)
	v_pk_mul_f32 v[6:7], v[4:5], s[0:1] op_sel:[1,0] op_sel_hi:[0,0]
	v_pk_fma_f32 v[8:9], v[4:5], s[6:7], v[6:7] neg_lo:[0,0,1] neg_hi:[0,0,1]
	v_pk_fma_f32 v[4:5], v[4:5], s[6:7], v[6:7] op_sel_hi:[1,0,1]
	s_nop 0
	v_mov_b32_e32 v9, v5
	v_pk_add_f32 v[0:1], v[0:1], v[8:9]
	s_nop 0
	v_mov_b32_e32 v7, v1
.LBB376_29:
	v_mov_b32_e32 v1, v7
	flat_store_dwordx2 v[2:3], v[0:1]
.LBB376_30:
	s_endpgm
	.section	.rodata,"a",@progbits
	.p2align	6, 0x0
	.amdhsa_kernel _ZL29rocblas_internal_gemmt_kernelIiLi16ELi32ELi8ELc67ELc84ELc76ELb1ELb0E19rocblas_complex_numIfEPKS1_PKS3_PKPS1_EviT_T9_T10_S9_lSB_S9_lSA_T11_S9_li
		.amdhsa_group_segment_fixed_size 4096
		.amdhsa_private_segment_fixed_size 0
		.amdhsa_kernarg_size 100
		.amdhsa_user_sgpr_count 2
		.amdhsa_user_sgpr_dispatch_ptr 0
		.amdhsa_user_sgpr_queue_ptr 0
		.amdhsa_user_sgpr_kernarg_segment_ptr 1
		.amdhsa_user_sgpr_dispatch_id 0
		.amdhsa_user_sgpr_kernarg_preload_length 0
		.amdhsa_user_sgpr_kernarg_preload_offset 0
		.amdhsa_user_sgpr_private_segment_size 0
		.amdhsa_uses_dynamic_stack 0
		.amdhsa_enable_private_segment 0
		.amdhsa_system_sgpr_workgroup_id_x 1
		.amdhsa_system_sgpr_workgroup_id_y 1
		.amdhsa_system_sgpr_workgroup_id_z 1
		.amdhsa_system_sgpr_workgroup_info 0
		.amdhsa_system_vgpr_workitem_id 1
		.amdhsa_next_free_vgpr 54
		.amdhsa_next_free_sgpr 30
		.amdhsa_accum_offset 56
		.amdhsa_reserve_vcc 1
		.amdhsa_float_round_mode_32 0
		.amdhsa_float_round_mode_16_64 0
		.amdhsa_float_denorm_mode_32 3
		.amdhsa_float_denorm_mode_16_64 3
		.amdhsa_dx10_clamp 1
		.amdhsa_ieee_mode 1
		.amdhsa_fp16_overflow 0
		.amdhsa_tg_split 0
		.amdhsa_exception_fp_ieee_invalid_op 0
		.amdhsa_exception_fp_denorm_src 0
		.amdhsa_exception_fp_ieee_div_zero 0
		.amdhsa_exception_fp_ieee_overflow 0
		.amdhsa_exception_fp_ieee_underflow 0
		.amdhsa_exception_fp_ieee_inexact 0
		.amdhsa_exception_int_div_zero 0
	.end_amdhsa_kernel
	.section	.text._ZL29rocblas_internal_gemmt_kernelIiLi16ELi32ELi8ELc67ELc84ELc76ELb1ELb0E19rocblas_complex_numIfEPKS1_PKS3_PKPS1_EviT_T9_T10_S9_lSB_S9_lSA_T11_S9_li,"axG",@progbits,_ZL29rocblas_internal_gemmt_kernelIiLi16ELi32ELi8ELc67ELc84ELc76ELb1ELb0E19rocblas_complex_numIfEPKS1_PKS3_PKPS1_EviT_T9_T10_S9_lSB_S9_lSA_T11_S9_li,comdat
.Lfunc_end376:
	.size	_ZL29rocblas_internal_gemmt_kernelIiLi16ELi32ELi8ELc67ELc84ELc76ELb1ELb0E19rocblas_complex_numIfEPKS1_PKS3_PKPS1_EviT_T9_T10_S9_lSB_S9_lSA_T11_S9_li, .Lfunc_end376-_ZL29rocblas_internal_gemmt_kernelIiLi16ELi32ELi8ELc67ELc84ELc76ELb1ELb0E19rocblas_complex_numIfEPKS1_PKS3_PKPS1_EviT_T9_T10_S9_lSB_S9_lSA_T11_S9_li
                                        ; -- End function
	.set _ZL29rocblas_internal_gemmt_kernelIiLi16ELi32ELi8ELc67ELc84ELc76ELb1ELb0E19rocblas_complex_numIfEPKS1_PKS3_PKPS1_EviT_T9_T10_S9_lSB_S9_lSA_T11_S9_li.num_vgpr, 54
	.set _ZL29rocblas_internal_gemmt_kernelIiLi16ELi32ELi8ELc67ELc84ELc76ELb1ELb0E19rocblas_complex_numIfEPKS1_PKS3_PKPS1_EviT_T9_T10_S9_lSB_S9_lSA_T11_S9_li.num_agpr, 0
	.set _ZL29rocblas_internal_gemmt_kernelIiLi16ELi32ELi8ELc67ELc84ELc76ELb1ELb0E19rocblas_complex_numIfEPKS1_PKS3_PKPS1_EviT_T9_T10_S9_lSB_S9_lSA_T11_S9_li.numbered_sgpr, 30
	.set _ZL29rocblas_internal_gemmt_kernelIiLi16ELi32ELi8ELc67ELc84ELc76ELb1ELb0E19rocblas_complex_numIfEPKS1_PKS3_PKPS1_EviT_T9_T10_S9_lSB_S9_lSA_T11_S9_li.num_named_barrier, 0
	.set _ZL29rocblas_internal_gemmt_kernelIiLi16ELi32ELi8ELc67ELc84ELc76ELb1ELb0E19rocblas_complex_numIfEPKS1_PKS3_PKPS1_EviT_T9_T10_S9_lSB_S9_lSA_T11_S9_li.private_seg_size, 0
	.set _ZL29rocblas_internal_gemmt_kernelIiLi16ELi32ELi8ELc67ELc84ELc76ELb1ELb0E19rocblas_complex_numIfEPKS1_PKS3_PKPS1_EviT_T9_T10_S9_lSB_S9_lSA_T11_S9_li.uses_vcc, 1
	.set _ZL29rocblas_internal_gemmt_kernelIiLi16ELi32ELi8ELc67ELc84ELc76ELb1ELb0E19rocblas_complex_numIfEPKS1_PKS3_PKPS1_EviT_T9_T10_S9_lSB_S9_lSA_T11_S9_li.uses_flat_scratch, 0
	.set _ZL29rocblas_internal_gemmt_kernelIiLi16ELi32ELi8ELc67ELc84ELc76ELb1ELb0E19rocblas_complex_numIfEPKS1_PKS3_PKPS1_EviT_T9_T10_S9_lSB_S9_lSA_T11_S9_li.has_dyn_sized_stack, 0
	.set _ZL29rocblas_internal_gemmt_kernelIiLi16ELi32ELi8ELc67ELc84ELc76ELb1ELb0E19rocblas_complex_numIfEPKS1_PKS3_PKPS1_EviT_T9_T10_S9_lSB_S9_lSA_T11_S9_li.has_recursion, 0
	.set _ZL29rocblas_internal_gemmt_kernelIiLi16ELi32ELi8ELc67ELc84ELc76ELb1ELb0E19rocblas_complex_numIfEPKS1_PKS3_PKPS1_EviT_T9_T10_S9_lSB_S9_lSA_T11_S9_li.has_indirect_call, 0
	.section	.AMDGPU.csdata,"",@progbits
; Kernel info:
; codeLenInByte = 2516
; TotalNumSgprs: 36
; NumVgprs: 54
; NumAgprs: 0
; TotalNumVgprs: 54
; ScratchSize: 0
; MemoryBound: 0
; FloatMode: 240
; IeeeMode: 1
; LDSByteSize: 4096 bytes/workgroup (compile time only)
; SGPRBlocks: 4
; VGPRBlocks: 6
; NumSGPRsForWavesPerEU: 36
; NumVGPRsForWavesPerEU: 54
; AccumOffset: 56
; Occupancy: 8
; WaveLimiterHint : 1
; COMPUTE_PGM_RSRC2:SCRATCH_EN: 0
; COMPUTE_PGM_RSRC2:USER_SGPR: 2
; COMPUTE_PGM_RSRC2:TRAP_HANDLER: 0
; COMPUTE_PGM_RSRC2:TGID_X_EN: 1
; COMPUTE_PGM_RSRC2:TGID_Y_EN: 1
; COMPUTE_PGM_RSRC2:TGID_Z_EN: 1
; COMPUTE_PGM_RSRC2:TIDIG_COMP_CNT: 1
; COMPUTE_PGM_RSRC3_GFX90A:ACCUM_OFFSET: 13
; COMPUTE_PGM_RSRC3_GFX90A:TG_SPLIT: 0
	.section	.text._ZL29rocblas_internal_gemmt_kernelIiLi16ELi32ELi8ELc67ELc67ELc76ELb1ELb1E19rocblas_complex_numIfEPKS1_PKS3_PKPS1_EviT_T9_T10_S9_lSB_S9_lSA_T11_S9_li,"axG",@progbits,_ZL29rocblas_internal_gemmt_kernelIiLi16ELi32ELi8ELc67ELc67ELc76ELb1ELb1E19rocblas_complex_numIfEPKS1_PKS3_PKPS1_EviT_T9_T10_S9_lSB_S9_lSA_T11_S9_li,comdat
	.globl	_ZL29rocblas_internal_gemmt_kernelIiLi16ELi32ELi8ELc67ELc67ELc76ELb1ELb1E19rocblas_complex_numIfEPKS1_PKS3_PKPS1_EviT_T9_T10_S9_lSB_S9_lSA_T11_S9_li ; -- Begin function _ZL29rocblas_internal_gemmt_kernelIiLi16ELi32ELi8ELc67ELc67ELc76ELb1ELb1E19rocblas_complex_numIfEPKS1_PKS3_PKPS1_EviT_T9_T10_S9_lSB_S9_lSA_T11_S9_li
	.p2align	8
	.type	_ZL29rocblas_internal_gemmt_kernelIiLi16ELi32ELi8ELc67ELc67ELc76ELb1ELb1E19rocblas_complex_numIfEPKS1_PKS3_PKPS1_EviT_T9_T10_S9_lSB_S9_lSA_T11_S9_li,@function
_ZL29rocblas_internal_gemmt_kernelIiLi16ELi32ELi8ELc67ELc67ELc76ELb1ELb1E19rocblas_complex_numIfEPKS1_PKS3_PKPS1_EviT_T9_T10_S9_lSB_S9_lSA_T11_S9_li: ; @_ZL29rocblas_internal_gemmt_kernelIiLi16ELi32ELi8ELc67ELc67ELc76ELb1ELb1E19rocblas_complex_numIfEPKS1_PKS3_PKPS1_EviT_T9_T10_S9_lSB_S9_lSA_T11_S9_li
; %bb.0:
	s_load_dwordx4 s[8:11], s[0:1], 0x38
	s_load_dwordx4 s[12:15], s[0:1], 0x8
	s_waitcnt lgkmcnt(0)
	s_load_dwordx2 s[6:7], s[10:11], 0x0
	s_load_dwordx2 s[18:19], s[0:1], 0x0
	;; [unrolled: 1-line block ×3, first 2 shown]
	s_waitcnt lgkmcnt(0)
	s_and_b32 s5, s7, 0x7fffffff
	s_cmp_eq_u32 s5, 0
	v_cmp_eq_f32_e64 s[12:13], s6, 1.0
	s_cselect_b64 s[10:11], -1, 0
	s_and_b64 s[12:13], s[12:13], s[10:11]
	s_and_b64 vcc, exec, s[12:13]
	s_cbranch_vccnz .LBB377_2
; %bb.1:
	s_mov_b64 s[12:13], -1
	s_cbranch_execz .LBB377_3
	s_branch .LBB377_4
.LBB377_2:
	s_mov_b64 s[12:13], 0
.LBB377_3:
	s_cmp_lg_u32 s19, 0
	v_cmp_neq_f32_e64 s[20:21], s16, 0
	v_cmp_neq_f32_e64 s[22:23], s17, 0
	s_cselect_b64 s[12:13], -1, 0
	s_or_b64 s[20:21], s[20:21], s[22:23]
	s_and_b64 s[12:13], s[12:13], s[20:21]
.LBB377_4:
	s_andn2_b64 vcc, exec, s[12:13]
	s_cbranch_vccnz .LBB377_32
; %bb.5:
	s_load_dwordx2 s[12:13], s[0:1], 0x48
	s_mov_b32 s5, 0
	s_lshl_b64 s[20:21], s[4:5], 3
	v_cmp_eq_f32_e64 s[24:25], s17, 0
	v_and_b32_e32 v15, 0x3ff, v0
	s_waitcnt lgkmcnt(0)
	s_add_u32 s12, s12, s20
	s_addc_u32 s13, s13, s21
	s_lshl_b32 s4, s2, 5
	s_lshl_b32 s22, s3, 5
	v_cmp_eq_f32_e64 s[2:3], s16, 0
	s_load_dwordx2 s[12:13], s[12:13], 0x0
	s_and_b64 s[2:3], s[2:3], s[24:25]
	s_cmp_lt_i32 s19, 1
	s_cselect_b64 s[24:25], -1, 0
	s_or_b64 s[2:3], s[2:3], s[24:25]
	v_bfe_u32 v17, v0, 10, 10
	v_mov_b32_e32 v24, 0
	s_and_b64 vcc, exec, s[2:3]
	v_mov_b32_e32 v26, 0
	v_mov_b32_e32 v20, 0
	;; [unrolled: 1-line block ×7, first 2 shown]
	s_cbranch_vccnz .LBB377_16
; %bb.6:
	s_load_dword s23, s[0:1], 0x18
	s_load_dword s28, s[0:1], 0x30
	s_load_dwordx4 s[24:27], s[0:1], 0x20
	v_lshl_add_u32 v1, v17, 4, v15
	v_and_b32_e32 v3, 31, v1
	v_lshrrev_b32_e32 v21, 5, v1
	s_waitcnt lgkmcnt(0)
	s_ashr_i32 s29, s28, 31
	v_lshrrev_b32_e32 v2, 3, v1
	v_or_b32_e32 v1, s4, v3
	s_add_u32 s2, s26, s20
	v_and_b32_e32 v19, 7, v15
	s_addc_u32 s3, s27, s21
	v_cmp_gt_i32_e32 vcc, s18, v1
	v_lshlrev_b32_e32 v1, 3, v3
	s_load_dwordx2 s[26:27], s[2:3], 0x0
	s_add_u32 s2, s14, s20
	v_lshl_or_b32 v23, v21, 8, v1
	v_lshlrev_b32_e32 v1, 3, v19
	v_add_u32_e32 v0, s22, v2
	s_addc_u32 s3, s15, s21
	v_lshl_or_b32 v1, v2, 6, v1
	v_mov_b32_e32 v2, 0x800
	s_load_dwordx2 s[14:15], s[2:3], 0x0
	v_lshl_add_u32 v28, v17, 6, v2
	v_add_u32_e32 v2, s4, v3
	v_mad_i64_i32 v[2:3], s[20:21], s23, v2, 0
	s_lshl_b64 s[20:21], s[24:25], 3
	s_nop 0
	v_lshl_add_u64 v[2:3], v[2:3], 3, s[20:21]
	v_lshlrev_b32_e32 v8, 3, v21
	v_mov_b32_e32 v9, 0
	v_lshl_add_u64 v[2:3], v[2:3], 0, v[8:9]
	s_waitcnt lgkmcnt(0)
	v_lshl_add_u64 v[10:11], s[14:15], 0, v[2:3]
	v_mad_i64_i32 v[2:3], s[14:15], s28, v19, 0
	s_lshl_b64 s[8:9], s[8:9], 3
	v_add_u32_e32 v25, 0x800, v1
	v_ashrrev_i32_e32 v1, 31, v0
	v_lshl_add_u64 v[2:3], v[2:3], 3, s[8:9]
	v_cmp_gt_i32_e64 s[2:3], s18, v0
	v_lshl_add_u64 v[0:1], v[0:1], 3, v[2:3]
	v_lshlrev_b32_e32 v27, 3, v15
	v_lshl_add_u64 v[12:13], s[26:27], 0, v[0:1]
	s_lshl_b64 s[8:9], s[28:29], 6
	s_xor_b64 s[14:15], vcc, -1
	s_xor_b64 s[2:3], s[2:3], -1
	v_mov_b32_e32 v14, 0
	v_mov_b32_e32 v8, 0
	;; [unrolled: 1-line block ×8, first 2 shown]
	s_branch .LBB377_8
.LBB377_7:                              ;   in Loop: Header=BB377_8 Depth=1
	s_or_b64 exec, exec, s[20:21]
	ds_write_b32 v25, v0 offset:4
	s_waitcnt lgkmcnt(0)
	s_barrier
	ds_read2_b64 v[30:33], v27 offset1:16
	ds_read_b128 v[34:37], v28
	ds_read_b128 v[38:41], v28 offset:16
	ds_read_b128 v[4:7], v28 offset:32
	ds_read_b128 v[0:3], v28 offset:48
	ds_read2_b64 v[50:53], v27 offset0:32 offset1:48
	s_waitcnt lgkmcnt(4)
	v_mul_f32_e32 v42, v34, v31
	v_fmac_f32_e32 v42, v35, v30
	v_add_f32_e32 v26, v26, v42
	ds_read_b128 v[42:45], v28 offset:1024
	ds_read_b128 v[46:49], v28 offset:1040
	v_mul_f32_e32 v29, v35, v31
	v_fma_f32 v29, v34, v30, -v29
	v_add_f32_e32 v24, v24, v29
	v_mul_f32_e32 v29, v35, v33
	v_fma_f32 v29, v34, v32, -v29
	v_add_f32_e32 v20, v20, v29
	s_waitcnt lgkmcnt(1)
	v_mul_f32_e32 v29, v43, v31
	v_mul_f32_e32 v31, v42, v31
	v_fma_f32 v29, v42, v30, -v29
	v_fmac_f32_e32 v31, v43, v30
	v_mul_f32_e32 v30, v42, v33
	v_fmac_f32_e32 v30, v43, v32
	v_add_f32_e32 v14, v14, v30
	v_mul_f32_e32 v30, v36, v51
	v_mul_f32_e32 v34, v34, v33
	v_fmac_f32_e32 v30, v37, v50
	v_fmac_f32_e32 v34, v35, v32
	v_add_f32_e32 v26, v26, v30
	v_mul_f32_e32 v30, v36, v53
	v_add_f32_e32 v22, v22, v34
	v_add_f32_e32 v16, v16, v29
	v_mul_f32_e32 v29, v43, v33
	v_fmac_f32_e32 v30, v37, v52
	v_fma_f32 v29, v42, v32, -v29
	v_add_f32_e32 v22, v22, v30
	v_mul_f32_e32 v30, v44, v51
	v_add_f32_e32 v18, v18, v31
	v_add_f32_e32 v8, v8, v29
	v_mul_f32_e32 v29, v37, v51
	v_fmac_f32_e32 v30, v45, v50
	v_fma_f32 v29, v36, v50, -v29
	v_add_f32_e32 v18, v18, v30
	ds_read2_b64 v[30:33], v27 offset0:64 offset1:80
	v_add_f32_e32 v24, v24, v29
	v_mul_f32_e32 v29, v37, v53
	v_fma_f32 v29, v36, v52, -v29
	v_add_f32_e32 v20, v20, v29
	v_mul_f32_e32 v29, v45, v51
	v_mul_f32_e32 v34, v44, v53
	v_fma_f32 v29, v44, v50, -v29
	v_fmac_f32_e32 v34, v45, v52
	v_add_f32_e32 v16, v16, v29
	v_mul_f32_e32 v29, v45, v53
	v_add_f32_e32 v14, v14, v34
	s_waitcnt lgkmcnt(0)
	v_mul_f32_e32 v34, v38, v31
	v_fma_f32 v29, v44, v52, -v29
	v_fmac_f32_e32 v34, v39, v30
	v_add_f32_e32 v8, v8, v29
	v_mul_f32_e32 v29, v39, v31
	v_add_f32_e32 v26, v26, v34
	v_mul_f32_e32 v34, v38, v33
	v_fma_f32 v29, v38, v30, -v29
	v_fmac_f32_e32 v34, v39, v32
	v_add_f32_e32 v24, v24, v29
	v_mul_f32_e32 v29, v39, v33
	v_add_f32_e32 v22, v22, v34
	ds_read2_b64 v[34:37], v27 offset0:96 offset1:112
	v_fma_f32 v29, v38, v32, -v29
	v_add_f32_e32 v20, v20, v29
	v_mul_f32_e32 v29, v47, v31
	v_mul_f32_e32 v31, v46, v31
	v_fma_f32 v29, v46, v30, -v29
	v_fmac_f32_e32 v31, v47, v30
	v_mul_f32_e32 v30, v46, v33
	v_fmac_f32_e32 v30, v47, v32
	v_add_f32_e32 v14, v14, v30
	s_waitcnt lgkmcnt(0)
	v_mul_f32_e32 v30, v40, v35
	v_fmac_f32_e32 v30, v41, v34
	v_add_f32_e32 v16, v16, v29
	v_mul_f32_e32 v29, v47, v33
	v_add_f32_e32 v26, v26, v30
	v_mul_f32_e32 v30, v40, v37
	v_fma_f32 v29, v46, v32, -v29
	v_fmac_f32_e32 v30, v41, v36
	v_add_f32_e32 v8, v8, v29
	v_mul_f32_e32 v29, v41, v35
	v_add_f32_e32 v22, v22, v30
	v_mul_f32_e32 v30, v48, v35
	v_add_f32_e32 v18, v18, v31
	v_fma_f32 v29, v40, v34, -v29
	v_fmac_f32_e32 v30, v49, v34
	v_add_f32_e32 v24, v24, v29
	v_mul_f32_e32 v29, v41, v37
	v_add_f32_e32 v18, v18, v30
	ds_read2_b64 v[30:33], v27 offset0:128 offset1:144
	v_fma_f32 v29, v40, v36, -v29
	v_add_f32_e32 v20, v20, v29
	v_mul_f32_e32 v29, v49, v35
	v_fma_f32 v29, v48, v34, -v29
	v_mul_f32_e32 v34, v48, v37
	v_fmac_f32_e32 v34, v49, v36
	v_add_f32_e32 v14, v14, v34
	s_waitcnt lgkmcnt(0)
	v_mul_f32_e32 v34, v4, v31
	v_add_f32_e32 v16, v16, v29
	v_mul_f32_e32 v29, v49, v37
	v_fmac_f32_e32 v34, v5, v30
	v_fma_f32 v29, v48, v36, -v29
	v_add_f32_e32 v26, v26, v34
	ds_read_b128 v[34:37], v28 offset:1056
	ds_read_b128 v[38:41], v28 offset:1072
	v_add_f32_e32 v8, v8, v29
	v_mul_f32_e32 v29, v5, v31
	v_fma_f32 v29, v4, v30, -v29
	v_add_f32_e32 v24, v24, v29
	v_mul_f32_e32 v29, v5, v33
	v_fma_f32 v29, v4, v32, -v29
	v_mul_f32_e32 v4, v4, v33
	ds_read2_b64 v[42:45], v27 offset0:160 offset1:176
	v_fmac_f32_e32 v4, v5, v32
	v_add_f32_e32 v5, v20, v29
	s_waitcnt lgkmcnt(2)
	v_mul_f32_e32 v20, v35, v31
	v_fma_f32 v20, v34, v30, -v20
	v_add_f32_e32 v16, v16, v20
	v_mul_f32_e32 v20, v35, v33
	v_add_f32_e32 v4, v22, v4
	v_mul_f32_e32 v22, v34, v31
	v_fma_f32 v20, v34, v32, -v20
	v_fmac_f32_e32 v22, v35, v30
	v_add_f32_e32 v8, v8, v20
	s_waitcnt lgkmcnt(0)
	v_mul_f32_e32 v20, v7, v43
	v_add_f32_e32 v18, v18, v22
	v_mul_f32_e32 v22, v34, v33
	v_fma_f32 v20, v6, v42, -v20
	v_fmac_f32_e32 v22, v35, v32
	v_add_f32_e32 v20, v24, v20
	v_mul_f32_e32 v24, v7, v45
	v_add_f32_e32 v14, v14, v22
	v_mul_f32_e32 v22, v6, v43
	v_fma_f32 v24, v6, v44, -v24
	v_mul_f32_e32 v6, v6, v45
	v_fmac_f32_e32 v22, v7, v42
	v_fmac_f32_e32 v6, v7, v44
	v_add_f32_e32 v22, v26, v22
	v_add_f32_e32 v26, v4, v6
	v_mul_f32_e32 v4, v37, v43
	v_add_f32_e32 v24, v5, v24
	v_fma_f32 v4, v36, v42, -v4
	v_mul_f32_e32 v5, v36, v43
	v_fmac_f32_e32 v5, v37, v42
	v_add_f32_e32 v16, v16, v4
	v_mul_f32_e32 v4, v37, v45
	v_add_f32_e32 v18, v18, v5
	v_fma_f32 v29, v36, v44, -v4
	ds_read2_b64 v[4:7], v27 offset0:192 offset1:208
	v_mul_f32_e32 v30, v36, v45
	v_fmac_f32_e32 v30, v37, v44
	v_add_f32_e32 v8, v8, v29
	v_add_f32_e32 v14, v14, v30
	s_waitcnt lgkmcnt(0)
	v_mul_f32_e32 v29, v1, v5
	v_fma_f32 v29, v0, v4, -v29
	v_mul_f32_e32 v30, v0, v5
	v_fmac_f32_e32 v30, v1, v4
	v_add_f32_e32 v20, v20, v29
	v_mul_f32_e32 v29, v1, v7
	v_add_f32_e32 v22, v22, v30
	v_fma_f32 v29, v0, v6, -v29
	v_mul_f32_e32 v0, v0, v7
	ds_read2_b64 v[30:33], v27 offset0:224 offset1:240
	v_fmac_f32_e32 v0, v1, v6
	v_add_f32_e32 v1, v24, v29
	v_mul_f32_e32 v24, v39, v5
	v_fma_f32 v24, v38, v4, -v24
	v_mul_f32_e32 v5, v38, v5
	v_fmac_f32_e32 v5, v39, v4
	v_add_f32_e32 v4, v16, v24
	v_mul_f32_e32 v16, v39, v7
	v_fma_f32 v16, v38, v6, -v16
	v_mul_f32_e32 v7, v38, v7
	v_fmac_f32_e32 v7, v39, v6
	v_add_f32_e32 v6, v8, v16
	s_waitcnt lgkmcnt(0)
	v_mul_f32_e32 v8, v3, v31
	v_fma_f32 v8, v2, v30, -v8
	v_add_f32_e32 v24, v20, v8
	v_mul_f32_e32 v8, v3, v33
	v_add_f32_e32 v7, v14, v7
	v_mul_f32_e32 v14, v2, v31
	v_fma_f32 v8, v2, v32, -v8
	v_mul_f32_e32 v2, v2, v33
	v_add_f32_e32 v0, v26, v0
	v_fmac_f32_e32 v14, v3, v30
	v_fmac_f32_e32 v2, v3, v32
	v_add_f32_e32 v26, v22, v14
	v_add_f32_e32 v20, v1, v8
	v_add_f32_e32 v22, v0, v2
	v_mul_f32_e32 v0, v41, v31
	v_mul_f32_e32 v1, v40, v31
	v_add_f32_e32 v5, v18, v5
	v_fma_f32 v0, v40, v30, -v0
	v_fmac_f32_e32 v1, v41, v30
	v_add_f32_e32 v16, v4, v0
	v_add_f32_e32 v18, v5, v1
	v_mul_f32_e32 v0, v41, v33
	v_mul_f32_e32 v1, v40, v33
	v_fma_f32 v0, v40, v32, -v0
	v_fmac_f32_e32 v1, v41, v32
	s_add_i32 s5, s5, 8
	v_add_f32_e32 v8, v6, v0
	v_add_f32_e32 v14, v7, v1
	v_lshl_add_u64 v[10:11], v[10:11], 0, 64
	s_cmp_lt_i32 s5, s19
	v_lshl_add_u64 v[12:13], v[12:13], 0, s[8:9]
	s_barrier
	s_cbranch_scc0 .LBB377_16
.LBB377_8:                              ; =>This Inner Loop Header: Depth=1
	v_add_u32_e32 v0, s5, v21
	v_cmp_le_i32_e32 vcc, s19, v0
	s_or_b64 s[20:21], s[14:15], vcc
	s_and_saveexec_b64 s[24:25], s[20:21]
	s_xor_b64 s[20:21], exec, s[24:25]
; %bb.9:                                ;   in Loop: Header=BB377_8 Depth=1
	ds_write_b32 v23, v9
; %bb.10:                               ;   in Loop: Header=BB377_8 Depth=1
	s_or_saveexec_b64 s[20:21], s[20:21]
	v_mov_b32_e32 v0, 0
	s_xor_b64 exec, exec, s[20:21]
	s_cbranch_execz .LBB377_12
; %bb.11:                               ;   in Loop: Header=BB377_8 Depth=1
	flat_load_dwordx2 v[2:3], v[10:11]
	s_waitcnt vmcnt(0) lgkmcnt(0)
	v_xor_b32_e32 v0, 0x80000000, v3
	ds_write_b32 v23, v2
.LBB377_12:                             ;   in Loop: Header=BB377_8 Depth=1
	s_or_b64 exec, exec, s[20:21]
	ds_write_b32 v23, v0 offset:4
	v_add_u32_e32 v0, s5, v19
	v_cmp_le_i32_e32 vcc, s19, v0
	s_or_b64 s[20:21], vcc, s[2:3]
	s_and_saveexec_b64 s[24:25], s[20:21]
	s_xor_b64 s[20:21], exec, s[24:25]
; %bb.13:                               ;   in Loop: Header=BB377_8 Depth=1
	ds_write_b32 v25, v9
; %bb.14:                               ;   in Loop: Header=BB377_8 Depth=1
	s_or_saveexec_b64 s[20:21], s[20:21]
	v_mov_b32_e32 v0, 0
	s_xor_b64 exec, exec, s[20:21]
	s_cbranch_execz .LBB377_7
; %bb.15:                               ;   in Loop: Header=BB377_8 Depth=1
	flat_load_dwordx2 v[2:3], v[12:13]
	s_waitcnt vmcnt(0) lgkmcnt(0)
	v_xor_b32_e32 v0, 0x80000000, v3
	ds_write_b32 v25, v2
	s_branch .LBB377_7
.LBB377_16:
	s_load_dwordx2 s[2:3], s[0:1], 0x58
	s_load_dword s14, s[0:1], 0x50
	v_add_u32_e32 v0, s4, v15
	v_add_u32_e32 v9, s22, v17
	v_cmp_neq_f32_e64 s[0:1], s6, 0
	s_waitcnt lgkmcnt(0)
	s_lshl_b64 s[2:3], s[2:3], 3
	s_add_u32 s8, s12, s2
	s_addc_u32 s9, s13, s3
	s_xor_b64 s[4:5], s[10:11], -1
	v_mad_i64_i32 v[2:3], s[2:3], v9, s14, 0
	s_or_b64 s[0:1], s[0:1], s[4:5]
	v_lshl_add_u64 v[4:5], v[2:3], 3, s[8:9]
	v_cmp_le_i32_e32 vcc, v9, v0
	v_cmp_gt_i32_e64 s[2:3], s18, v0
	v_cndmask_b32_e64 v2, 0, 1, s[0:1]
	s_and_b64 s[10:11], vcc, s[2:3]
	v_ashrrev_i32_e32 v1, 31, v0
	v_cmp_ne_u32_e64 s[0:1], 1, v2
	s_and_saveexec_b64 s[4:5], s[10:11]
	s_cbranch_execz .LBB377_20
; %bb.17:
	v_pk_mul_f32 v[6:7], v[26:27], s[16:17] op_sel:[0,1] op_sel_hi:[0,0]
	v_pk_fma_f32 v[2:3], v[24:25], s[16:17], v[6:7] op_sel_hi:[0,1,1] neg_lo:[0,0,1] neg_hi:[0,0,1]
	v_pk_fma_f32 v[10:11], v[24:25], s[16:17], v[6:7] op_sel_hi:[0,1,1]
	s_and_b64 vcc, exec, s[0:1]
	v_lshl_add_u64 v[6:7], v[0:1], 3, v[4:5]
	s_cbranch_vccnz .LBB377_19
; %bb.18:
	flat_load_dwordx2 v[12:13], v[6:7]
	s_mov_b32 s10, s7
	v_mov_b32_e32 v3, v11
	s_waitcnt vmcnt(0) lgkmcnt(0)
	v_pk_mul_f32 v[10:11], v[12:13], s[10:11] op_sel:[1,0] op_sel_hi:[0,0]
	v_pk_fma_f32 v[24:25], v[12:13], s[6:7], v[10:11] neg_lo:[0,0,1] neg_hi:[0,0,1]
	v_pk_fma_f32 v[10:11], v[12:13], s[6:7], v[10:11] op_sel_hi:[1,0,1]
	s_nop 0
	v_mov_b32_e32 v25, v11
	v_pk_add_f32 v[2:3], v[2:3], v[24:25]
	s_nop 0
	v_mov_b32_e32 v11, v3
.LBB377_19:
	v_mov_b32_e32 v3, v11
	flat_store_dwordx2 v[6:7], v[2:3]
.LBB377_20:
	s_or_b64 exec, exec, s[4:5]
	v_add_u32_e32 v2, 16, v0
	v_cmp_le_i32_e32 vcc, v9, v2
	v_cmp_gt_i32_e64 s[4:5], s18, v2
	s_and_b64 s[12:13], vcc, s[4:5]
	v_ashrrev_i32_e32 v3, 31, v2
	s_and_saveexec_b64 s[10:11], s[12:13]
	s_cbranch_execz .LBB377_24
; %bb.21:
	v_pk_mul_f32 v[10:11], v[22:23], s[16:17] op_sel:[0,1] op_sel_hi:[0,0]
	v_pk_fma_f32 v[6:7], v[20:21], s[16:17], v[10:11] op_sel_hi:[0,1,1] neg_lo:[0,0,1] neg_hi:[0,0,1]
	v_pk_fma_f32 v[10:11], v[20:21], s[16:17], v[10:11] op_sel_hi:[0,1,1]
	s_and_b64 vcc, exec, s[0:1]
	v_lshl_add_u64 v[4:5], v[2:3], 3, v[4:5]
	s_cbranch_vccnz .LBB377_23
; %bb.22:
	flat_load_dwordx2 v[12:13], v[4:5]
	s_mov_b32 s12, s7
	v_mov_b32_e32 v7, v11
	s_waitcnt vmcnt(0) lgkmcnt(0)
	v_pk_mul_f32 v[10:11], v[12:13], s[12:13] op_sel:[1,0] op_sel_hi:[0,0]
	v_pk_fma_f32 v[20:21], v[12:13], s[6:7], v[10:11] neg_lo:[0,0,1] neg_hi:[0,0,1]
	v_pk_fma_f32 v[10:11], v[12:13], s[6:7], v[10:11] op_sel_hi:[1,0,1]
	s_nop 0
	v_mov_b32_e32 v21, v11
	v_pk_add_f32 v[6:7], v[6:7], v[20:21]
	s_nop 0
	v_mov_b32_e32 v11, v7
.LBB377_23:
	v_mov_b32_e32 v7, v11
	flat_store_dwordx2 v[4:5], v[6:7]
.LBB377_24:
	s_or_b64 exec, exec, s[10:11]
	v_add_u32_e32 v9, 16, v9
	v_mad_i64_i32 v[4:5], s[10:11], v9, s14, 0
	v_cmp_le_i32_e32 vcc, v9, v0
	v_lshl_add_u64 v[4:5], v[4:5], 3, s[8:9]
	s_and_b64 s[8:9], vcc, s[2:3]
	s_and_saveexec_b64 s[2:3], s[8:9]
	s_cbranch_execz .LBB377_28
; %bb.25:
	v_pk_mul_f32 v[10:11], v[18:19], s[16:17] op_sel:[0,1] op_sel_hi:[0,0]
	v_pk_fma_f32 v[6:7], v[16:17], s[16:17], v[10:11] op_sel_hi:[0,1,1] neg_lo:[0,0,1] neg_hi:[0,0,1]
	v_pk_fma_f32 v[10:11], v[16:17], s[16:17], v[10:11] op_sel_hi:[0,1,1]
	s_and_b64 vcc, exec, s[0:1]
	v_lshl_add_u64 v[0:1], v[0:1], 3, v[4:5]
	s_cbranch_vccnz .LBB377_27
; %bb.26:
	flat_load_dwordx2 v[12:13], v[0:1]
	s_mov_b32 s8, s7
	v_mov_b32_e32 v7, v11
	s_waitcnt vmcnt(0) lgkmcnt(0)
	v_pk_mul_f32 v[10:11], v[12:13], s[8:9] op_sel:[1,0] op_sel_hi:[0,0]
	v_pk_fma_f32 v[16:17], v[12:13], s[6:7], v[10:11] neg_lo:[0,0,1] neg_hi:[0,0,1]
	v_pk_fma_f32 v[10:11], v[12:13], s[6:7], v[10:11] op_sel_hi:[1,0,1]
	s_nop 0
	v_mov_b32_e32 v17, v11
	v_pk_add_f32 v[6:7], v[6:7], v[16:17]
	s_nop 0
	v_mov_b32_e32 v11, v7
.LBB377_27:
	v_mov_b32_e32 v7, v11
	flat_store_dwordx2 v[0:1], v[6:7]
.LBB377_28:
	s_or_b64 exec, exec, s[2:3]
	v_cmp_le_i32_e32 vcc, v9, v2
	s_and_b64 s[2:3], vcc, s[4:5]
	s_and_saveexec_b64 s[4:5], s[2:3]
	s_cbranch_execz .LBB377_32
; %bb.29:
	v_pk_mul_f32 v[6:7], v[14:15], s[16:17] op_sel:[0,1] op_sel_hi:[0,0]
	v_pk_fma_f32 v[0:1], v[8:9], s[16:17], v[6:7] op_sel_hi:[0,1,1] neg_lo:[0,0,1] neg_hi:[0,0,1]
	v_pk_fma_f32 v[6:7], v[8:9], s[16:17], v[6:7] op_sel_hi:[0,1,1]
	s_and_b64 vcc, exec, s[0:1]
	v_lshl_add_u64 v[2:3], v[2:3], 3, v[4:5]
	s_cbranch_vccnz .LBB377_31
; %bb.30:
	flat_load_dwordx2 v[4:5], v[2:3]
	s_mov_b32 s0, s7
	v_mov_b32_e32 v1, v7
	s_waitcnt vmcnt(0) lgkmcnt(0)
	v_pk_mul_f32 v[6:7], v[4:5], s[0:1] op_sel:[1,0] op_sel_hi:[0,0]
	v_pk_fma_f32 v[8:9], v[4:5], s[6:7], v[6:7] neg_lo:[0,0,1] neg_hi:[0,0,1]
	v_pk_fma_f32 v[4:5], v[4:5], s[6:7], v[6:7] op_sel_hi:[1,0,1]
	s_nop 0
	v_mov_b32_e32 v9, v5
	v_pk_add_f32 v[0:1], v[0:1], v[8:9]
	s_nop 0
	v_mov_b32_e32 v7, v1
.LBB377_31:
	v_mov_b32_e32 v1, v7
	flat_store_dwordx2 v[2:3], v[0:1]
.LBB377_32:
	s_endpgm
	.section	.rodata,"a",@progbits
	.p2align	6, 0x0
	.amdhsa_kernel _ZL29rocblas_internal_gemmt_kernelIiLi16ELi32ELi8ELc67ELc67ELc76ELb1ELb1E19rocblas_complex_numIfEPKS1_PKS3_PKPS1_EviT_T9_T10_S9_lSB_S9_lSA_T11_S9_li
		.amdhsa_group_segment_fixed_size 4096
		.amdhsa_private_segment_fixed_size 0
		.amdhsa_kernarg_size 100
		.amdhsa_user_sgpr_count 2
		.amdhsa_user_sgpr_dispatch_ptr 0
		.amdhsa_user_sgpr_queue_ptr 0
		.amdhsa_user_sgpr_kernarg_segment_ptr 1
		.amdhsa_user_sgpr_dispatch_id 0
		.amdhsa_user_sgpr_kernarg_preload_length 0
		.amdhsa_user_sgpr_kernarg_preload_offset 0
		.amdhsa_user_sgpr_private_segment_size 0
		.amdhsa_uses_dynamic_stack 0
		.amdhsa_enable_private_segment 0
		.amdhsa_system_sgpr_workgroup_id_x 1
		.amdhsa_system_sgpr_workgroup_id_y 1
		.amdhsa_system_sgpr_workgroup_id_z 1
		.amdhsa_system_sgpr_workgroup_info 0
		.amdhsa_system_vgpr_workitem_id 1
		.amdhsa_next_free_vgpr 54
		.amdhsa_next_free_sgpr 30
		.amdhsa_accum_offset 56
		.amdhsa_reserve_vcc 1
		.amdhsa_float_round_mode_32 0
		.amdhsa_float_round_mode_16_64 0
		.amdhsa_float_denorm_mode_32 3
		.amdhsa_float_denorm_mode_16_64 3
		.amdhsa_dx10_clamp 1
		.amdhsa_ieee_mode 1
		.amdhsa_fp16_overflow 0
		.amdhsa_tg_split 0
		.amdhsa_exception_fp_ieee_invalid_op 0
		.amdhsa_exception_fp_denorm_src 0
		.amdhsa_exception_fp_ieee_div_zero 0
		.amdhsa_exception_fp_ieee_overflow 0
		.amdhsa_exception_fp_ieee_underflow 0
		.amdhsa_exception_fp_ieee_inexact 0
		.amdhsa_exception_int_div_zero 0
	.end_amdhsa_kernel
	.section	.text._ZL29rocblas_internal_gemmt_kernelIiLi16ELi32ELi8ELc67ELc67ELc76ELb1ELb1E19rocblas_complex_numIfEPKS1_PKS3_PKPS1_EviT_T9_T10_S9_lSB_S9_lSA_T11_S9_li,"axG",@progbits,_ZL29rocblas_internal_gemmt_kernelIiLi16ELi32ELi8ELc67ELc67ELc76ELb1ELb1E19rocblas_complex_numIfEPKS1_PKS3_PKPS1_EviT_T9_T10_S9_lSB_S9_lSA_T11_S9_li,comdat
.Lfunc_end377:
	.size	_ZL29rocblas_internal_gemmt_kernelIiLi16ELi32ELi8ELc67ELc67ELc76ELb1ELb1E19rocblas_complex_numIfEPKS1_PKS3_PKPS1_EviT_T9_T10_S9_lSB_S9_lSA_T11_S9_li, .Lfunc_end377-_ZL29rocblas_internal_gemmt_kernelIiLi16ELi32ELi8ELc67ELc67ELc76ELb1ELb1E19rocblas_complex_numIfEPKS1_PKS3_PKPS1_EviT_T9_T10_S9_lSB_S9_lSA_T11_S9_li
                                        ; -- End function
	.set _ZL29rocblas_internal_gemmt_kernelIiLi16ELi32ELi8ELc67ELc67ELc76ELb1ELb1E19rocblas_complex_numIfEPKS1_PKS3_PKPS1_EviT_T9_T10_S9_lSB_S9_lSA_T11_S9_li.num_vgpr, 54
	.set _ZL29rocblas_internal_gemmt_kernelIiLi16ELi32ELi8ELc67ELc67ELc76ELb1ELb1E19rocblas_complex_numIfEPKS1_PKS3_PKPS1_EviT_T9_T10_S9_lSB_S9_lSA_T11_S9_li.num_agpr, 0
	.set _ZL29rocblas_internal_gemmt_kernelIiLi16ELi32ELi8ELc67ELc67ELc76ELb1ELb1E19rocblas_complex_numIfEPKS1_PKS3_PKPS1_EviT_T9_T10_S9_lSB_S9_lSA_T11_S9_li.numbered_sgpr, 30
	.set _ZL29rocblas_internal_gemmt_kernelIiLi16ELi32ELi8ELc67ELc67ELc76ELb1ELb1E19rocblas_complex_numIfEPKS1_PKS3_PKPS1_EviT_T9_T10_S9_lSB_S9_lSA_T11_S9_li.num_named_barrier, 0
	.set _ZL29rocblas_internal_gemmt_kernelIiLi16ELi32ELi8ELc67ELc67ELc76ELb1ELb1E19rocblas_complex_numIfEPKS1_PKS3_PKPS1_EviT_T9_T10_S9_lSB_S9_lSA_T11_S9_li.private_seg_size, 0
	.set _ZL29rocblas_internal_gemmt_kernelIiLi16ELi32ELi8ELc67ELc67ELc76ELb1ELb1E19rocblas_complex_numIfEPKS1_PKS3_PKPS1_EviT_T9_T10_S9_lSB_S9_lSA_T11_S9_li.uses_vcc, 1
	.set _ZL29rocblas_internal_gemmt_kernelIiLi16ELi32ELi8ELc67ELc67ELc76ELb1ELb1E19rocblas_complex_numIfEPKS1_PKS3_PKPS1_EviT_T9_T10_S9_lSB_S9_lSA_T11_S9_li.uses_flat_scratch, 0
	.set _ZL29rocblas_internal_gemmt_kernelIiLi16ELi32ELi8ELc67ELc67ELc76ELb1ELb1E19rocblas_complex_numIfEPKS1_PKS3_PKPS1_EviT_T9_T10_S9_lSB_S9_lSA_T11_S9_li.has_dyn_sized_stack, 0
	.set _ZL29rocblas_internal_gemmt_kernelIiLi16ELi32ELi8ELc67ELc67ELc76ELb1ELb1E19rocblas_complex_numIfEPKS1_PKS3_PKPS1_EviT_T9_T10_S9_lSB_S9_lSA_T11_S9_li.has_recursion, 0
	.set _ZL29rocblas_internal_gemmt_kernelIiLi16ELi32ELi8ELc67ELc67ELc76ELb1ELb1E19rocblas_complex_numIfEPKS1_PKS3_PKPS1_EviT_T9_T10_S9_lSB_S9_lSA_T11_S9_li.has_indirect_call, 0
	.section	.AMDGPU.csdata,"",@progbits
; Kernel info:
; codeLenInByte = 2544
; TotalNumSgprs: 36
; NumVgprs: 54
; NumAgprs: 0
; TotalNumVgprs: 54
; ScratchSize: 0
; MemoryBound: 0
; FloatMode: 240
; IeeeMode: 1
; LDSByteSize: 4096 bytes/workgroup (compile time only)
; SGPRBlocks: 4
; VGPRBlocks: 6
; NumSGPRsForWavesPerEU: 36
; NumVGPRsForWavesPerEU: 54
; AccumOffset: 56
; Occupancy: 8
; WaveLimiterHint : 1
; COMPUTE_PGM_RSRC2:SCRATCH_EN: 0
; COMPUTE_PGM_RSRC2:USER_SGPR: 2
; COMPUTE_PGM_RSRC2:TRAP_HANDLER: 0
; COMPUTE_PGM_RSRC2:TGID_X_EN: 1
; COMPUTE_PGM_RSRC2:TGID_Y_EN: 1
; COMPUTE_PGM_RSRC2:TGID_Z_EN: 1
; COMPUTE_PGM_RSRC2:TIDIG_COMP_CNT: 1
; COMPUTE_PGM_RSRC3_GFX90A:ACCUM_OFFSET: 13
; COMPUTE_PGM_RSRC3_GFX90A:TG_SPLIT: 0
	.section	.text._ZL29rocblas_internal_gemmt_kernelIiLi16ELi32ELi8ELc78ELc78ELc85ELb0ELb0E19rocblas_complex_numIfES1_PKPKS1_PKPS1_EviT_T9_T10_S9_lSB_S9_lSA_T11_S9_li,"axG",@progbits,_ZL29rocblas_internal_gemmt_kernelIiLi16ELi32ELi8ELc78ELc78ELc85ELb0ELb0E19rocblas_complex_numIfES1_PKPKS1_PKPS1_EviT_T9_T10_S9_lSB_S9_lSA_T11_S9_li,comdat
	.globl	_ZL29rocblas_internal_gemmt_kernelIiLi16ELi32ELi8ELc78ELc78ELc85ELb0ELb0E19rocblas_complex_numIfES1_PKPKS1_PKPS1_EviT_T9_T10_S9_lSB_S9_lSA_T11_S9_li ; -- Begin function _ZL29rocblas_internal_gemmt_kernelIiLi16ELi32ELi8ELc78ELc78ELc85ELb0ELb0E19rocblas_complex_numIfES1_PKPKS1_PKPS1_EviT_T9_T10_S9_lSB_S9_lSA_T11_S9_li
	.p2align	8
	.type	_ZL29rocblas_internal_gemmt_kernelIiLi16ELi32ELi8ELc78ELc78ELc85ELb0ELb0E19rocblas_complex_numIfES1_PKPKS1_PKPS1_EviT_T9_T10_S9_lSB_S9_lSA_T11_S9_li,@function
_ZL29rocblas_internal_gemmt_kernelIiLi16ELi32ELi8ELc78ELc78ELc85ELb0ELb0E19rocblas_complex_numIfES1_PKPKS1_PKPS1_EviT_T9_T10_S9_lSB_S9_lSA_T11_S9_li: ; @_ZL29rocblas_internal_gemmt_kernelIiLi16ELi32ELi8ELc78ELc78ELc85ELb0ELb0E19rocblas_complex_numIfES1_PKPKS1_PKPS1_EviT_T9_T10_S9_lSB_S9_lSA_T11_S9_li
; %bb.0:
	s_load_dwordx2 s[12:13], s[0:1], 0x40
	s_load_dwordx4 s[8:11], s[0:1], 0x0
	s_waitcnt lgkmcnt(0)
	s_and_b32 s5, s13, 0x7fffffff
	s_cmp_eq_u32 s5, 0
	v_cmp_eq_f32_e64 s[6:7], s12, 1.0
	s_cselect_b64 s[14:15], -1, 0
	s_and_b64 s[6:7], s[6:7], s[14:15]
	s_and_b64 vcc, exec, s[6:7]
	s_cbranch_vccnz .LBB378_2
; %bb.1:
	s_mov_b64 s[6:7], -1
	s_cbranch_execz .LBB378_3
	s_branch .LBB378_4
.LBB378_2:
	s_mov_b64 s[6:7], 0
.LBB378_3:
	s_cmp_lg_u32 s9, 0
	v_cmp_neq_f32_e64 s[16:17], s10, 0
	v_cmp_neq_f32_e64 s[18:19], s11, 0
	s_cselect_b64 s[6:7], -1, 0
	s_or_b64 s[16:17], s[16:17], s[18:19]
	s_and_b64 s[6:7], s[6:7], s[16:17]
.LBB378_4:
	s_andn2_b64 vcc, exec, s[6:7]
	s_cbranch_vccnz .LBB378_28
; %bb.5:
	s_load_dwordx2 s[16:17], s[0:1], 0x48
	s_mov_b32 s5, 0
	s_lshl_b64 s[6:7], s[4:5], 3
	v_cmp_eq_f32_e64 s[18:19], s11, 0
	v_and_b32_e32 v13, 0x3ff, v0
	s_waitcnt lgkmcnt(0)
	s_add_u32 s16, s16, s6
	s_addc_u32 s17, s17, s7
	s_lshl_b32 s4, s2, 5
	s_lshl_b32 s20, s3, 5
	v_cmp_eq_f32_e64 s[2:3], s10, 0
	s_load_dwordx2 s[16:17], s[16:17], 0x0
	s_and_b64 s[2:3], s[2:3], s[18:19]
	s_cmp_lt_i32 s9, 1
	s_cselect_b64 s[18:19], -1, 0
	s_or_b64 s[2:3], s[2:3], s[18:19]
	v_bfe_u32 v15, v0, 10, 10
	v_mov_b32_e32 v24, 0
	s_and_b64 vcc, exec, s[2:3]
	v_mov_b32_e32 v26, 0
	v_mov_b32_e32 v20, 0
	;; [unrolled: 1-line block ×7, first 2 shown]
	s_cbranch_vccnz .LBB378_12
; %bb.6:
	s_load_dwordx2 s[2:3], s[0:1], 0x10
	s_load_dword s18, s[0:1], 0x18
	s_load_dwordx4 s[24:27], s[0:1], 0x20
	s_load_dword s21, s[0:1], 0x30
	s_load_dwordx2 s[22:23], s[0:1], 0x38
	v_lshl_add_u32 v0, v15, 4, v13
	v_and_b32_e32 v4, 31, v0
	v_lshrrev_b32_e32 v19, 5, v0
	s_waitcnt lgkmcnt(0)
	s_ashr_i32 s19, s18, 31
	s_add_u32 s26, s26, s6
	s_addc_u32 s27, s27, s7
	s_add_u32 s2, s2, s6
	s_addc_u32 s3, s3, s7
	s_load_dwordx2 s[6:7], s[2:3], 0x0
	v_lshrrev_b32_e32 v1, 3, v0
	v_or_b32_e32 v0, s4, v4
	v_cmp_gt_i32_e32 vcc, s8, v0
	v_lshlrev_b32_e32 v0, 3, v4
	v_mad_i64_i32 v[2:3], s[28:29], v19, s18, 0
	s_lshl_b64 s[24:25], s[24:25], 3
	v_add_u32_e32 v4, s4, v4
	v_and_b32_e32 v17, 7, v13
	v_lshl_add_u64 v[2:3], v[2:3], 3, s[24:25]
	v_ashrrev_i32_e32 v5, 31, v4
	v_add_u32_e32 v6, s20, v1
	s_load_dwordx2 s[26:27], s[26:27], 0x0
	v_lshl_or_b32 v21, v19, 8, v0
	v_lshlrev_b32_e32 v0, 3, v17
	v_lshl_add_u64 v[2:3], v[4:5], 3, v[2:3]
	v_lshl_or_b32 v1, v1, 6, v0
	s_waitcnt lgkmcnt(0)
	v_lshl_add_u64 v[8:9], s[6:7], 0, v[2:3]
	v_mad_i64_i32 v[2:3], s[6:7], s21, v6, 0
	v_add_u32_e32 v23, 0x800, v1
	v_mov_b32_e32 v1, 0x800
	s_lshl_b64 s[6:7], s[22:23], 3
	v_lshl_add_u32 v27, v15, 6, v1
	v_lshl_add_u64 v[2:3], v[2:3], 3, s[6:7]
	v_mov_b32_e32 v1, 0
	v_lshl_add_u64 v[2:3], v[2:3], 0, v[0:1]
	v_cmp_gt_i32_e64 s[2:3], s8, v6
	v_lshlrev_b32_e32 v25, 3, v13
	s_lshl_b64 s[18:19], s[18:19], 6
	v_lshl_add_u64 v[10:11], s[26:27], 0, v[2:3]
	v_mov_b32_e32 v14, v1
	v_mov_b32_e32 v12, v1
	;; [unrolled: 1-line block ×8, first 2 shown]
	s_branch .LBB378_8
.LBB378_7:                              ;   in Loop: Header=BB378_8 Depth=1
	s_or_b64 exec, exec, s[6:7]
	s_waitcnt vmcnt(0) lgkmcnt(0)
	ds_write_b64 v23, v[0:1]
	s_waitcnt lgkmcnt(0)
	s_barrier
	ds_read2_b64 v[28:31], v25 offset1:16
	ds_read_b128 v[32:35], v27
	ds_read_b128 v[36:39], v27 offset:16
	ds_read_b128 v[4:7], v27 offset:32
	;; [unrolled: 1-line block ×3, first 2 shown]
	ds_read2_b64 v[48:51], v25 offset0:32 offset1:48
	s_waitcnt lgkmcnt(4)
	v_mul_f32_e32 v40, v33, v29
	v_fma_f32 v40, v32, v28, -v40
	v_mul_f32_e32 v41, v32, v29
	v_fmac_f32_e32 v41, v33, v28
	v_add_f32_e32 v24, v24, v40
	v_mul_f32_e32 v40, v33, v31
	v_add_f32_e32 v26, v26, v41
	v_fma_f32 v44, v32, v30, -v40
	ds_read_b128 v[40:43], v27 offset:1024
	v_mul_f32_e32 v32, v32, v31
	v_fmac_f32_e32 v32, v33, v30
	v_add_f32_e32 v20, v20, v44
	v_add_f32_e32 v22, v22, v32
	ds_read_b128 v[44:47], v27 offset:1040
	s_waitcnt lgkmcnt(1)
	v_mul_f32_e32 v32, v41, v29
	v_mul_f32_e32 v29, v40, v29
	v_fma_f32 v32, v40, v28, -v32
	v_fmac_f32_e32 v29, v41, v28
	v_mul_f32_e32 v28, v41, v31
	v_add_f32_e32 v18, v18, v29
	v_fma_f32 v28, v40, v30, -v28
	v_mul_f32_e32 v29, v40, v31
	v_fmac_f32_e32 v29, v41, v30
	v_add_f32_e32 v12, v12, v28
	v_mul_f32_e32 v28, v35, v49
	v_add_f32_e32 v14, v14, v29
	v_fma_f32 v28, v34, v48, -v28
	v_mul_f32_e32 v29, v34, v49
	v_fmac_f32_e32 v29, v35, v48
	v_add_f32_e32 v24, v24, v28
	;; [unrolled: 6-line block ×3, first 2 shown]
	v_mul_f32_e32 v28, v43, v49
	v_add_f32_e32 v16, v16, v32
	v_add_f32_e32 v22, v22, v29
	v_fma_f32 v28, v42, v48, -v28
	v_mul_f32_e32 v29, v42, v49
	v_fmac_f32_e32 v29, v43, v48
	v_add_f32_e32 v16, v16, v28
	v_mul_f32_e32 v28, v43, v51
	v_add_f32_e32 v18, v18, v29
	v_fma_f32 v32, v42, v50, -v28
	ds_read2_b64 v[28:31], v25 offset0:64 offset1:80
	v_mul_f32_e32 v33, v42, v51
	v_add_f32_e32 v12, v12, v32
	v_fmac_f32_e32 v33, v43, v50
	v_add_f32_e32 v14, v14, v33
	s_waitcnt lgkmcnt(0)
	v_mul_f32_e32 v32, v37, v29
	v_fma_f32 v32, v36, v28, -v32
	v_mul_f32_e32 v33, v36, v29
	v_add_f32_e32 v24, v24, v32
	v_mul_f32_e32 v32, v37, v31
	v_fmac_f32_e32 v33, v37, v28
	v_fma_f32 v32, v36, v30, -v32
	v_add_f32_e32 v26, v26, v33
	v_mul_f32_e32 v33, v36, v31
	v_add_f32_e32 v20, v20, v32
	v_mul_f32_e32 v32, v45, v29
	v_fmac_f32_e32 v33, v37, v30
	v_fma_f32 v32, v44, v28, -v32
	v_add_f32_e32 v22, v22, v33
	v_add_f32_e32 v16, v16, v32
	ds_read2_b64 v[32:35], v25 offset0:96 offset1:112
	v_mul_f32_e32 v29, v44, v29
	v_fmac_f32_e32 v29, v45, v28
	v_mul_f32_e32 v28, v45, v31
	v_add_f32_e32 v18, v18, v29
	v_fma_f32 v28, v44, v30, -v28
	v_mul_f32_e32 v29, v44, v31
	v_fmac_f32_e32 v29, v45, v30
	v_add_f32_e32 v12, v12, v28
	s_waitcnt lgkmcnt(0)
	v_mul_f32_e32 v28, v39, v33
	v_add_f32_e32 v14, v14, v29
	v_fma_f32 v28, v38, v32, -v28
	v_mul_f32_e32 v29, v38, v33
	v_fmac_f32_e32 v29, v39, v32
	v_add_f32_e32 v24, v24, v28
	v_mul_f32_e32 v28, v39, v35
	v_add_f32_e32 v26, v26, v29
	v_fma_f32 v28, v38, v34, -v28
	v_mul_f32_e32 v29, v38, v35
	v_fmac_f32_e32 v29, v39, v34
	v_add_f32_e32 v20, v20, v28
	;; [unrolled: 6-line block ×3, first 2 shown]
	v_mul_f32_e32 v28, v47, v35
	v_add_f32_e32 v18, v18, v29
	v_fma_f32 v32, v46, v34, -v28
	ds_read2_b64 v[28:31], v25 offset0:128 offset1:144
	v_mul_f32_e32 v33, v46, v35
	v_fmac_f32_e32 v33, v47, v34
	v_add_f32_e32 v12, v12, v32
	v_add_f32_e32 v14, v14, v33
	s_waitcnt lgkmcnt(0)
	v_mul_f32_e32 v32, v5, v29
	v_fma_f32 v32, v4, v28, -v32
	v_mul_f32_e32 v33, v4, v29
	v_fmac_f32_e32 v33, v5, v28
	v_add_f32_e32 v24, v24, v32
	v_mul_f32_e32 v32, v5, v31
	v_add_f32_e32 v26, v26, v33
	v_fma_f32 v36, v4, v30, -v32
	ds_read_b128 v[32:35], v27 offset:1056
	v_mul_f32_e32 v4, v4, v31
	ds_read2_b64 v[40:43], v25 offset0:160 offset1:176
	v_fmac_f32_e32 v4, v5, v30
	v_add_f32_e32 v5, v20, v36
	ds_read_b128 v[36:39], v27 offset:1072
	s_waitcnt lgkmcnt(2)
	v_mul_f32_e32 v20, v33, v29
	v_fma_f32 v20, v32, v28, -v20
	v_add_f32_e32 v16, v16, v20
	v_mul_f32_e32 v20, v33, v31
	v_add_f32_e32 v4, v22, v4
	v_mul_f32_e32 v22, v32, v29
	v_fma_f32 v20, v32, v30, -v20
	v_fmac_f32_e32 v22, v33, v28
	v_add_f32_e32 v12, v12, v20
	s_waitcnt lgkmcnt(1)
	v_mul_f32_e32 v20, v7, v41
	v_add_f32_e32 v18, v18, v22
	v_mul_f32_e32 v22, v32, v31
	v_fma_f32 v20, v6, v40, -v20
	v_fmac_f32_e32 v22, v33, v30
	v_add_f32_e32 v20, v24, v20
	v_mul_f32_e32 v24, v7, v43
	v_add_f32_e32 v14, v14, v22
	v_mul_f32_e32 v22, v6, v41
	v_fma_f32 v24, v6, v42, -v24
	v_mul_f32_e32 v6, v6, v43
	v_fmac_f32_e32 v22, v7, v40
	v_fmac_f32_e32 v6, v7, v42
	v_add_f32_e32 v22, v26, v22
	v_add_f32_e32 v26, v4, v6
	v_mul_f32_e32 v4, v35, v41
	v_add_f32_e32 v24, v5, v24
	v_fma_f32 v4, v34, v40, -v4
	v_mul_f32_e32 v5, v34, v41
	v_fmac_f32_e32 v5, v35, v40
	v_add_f32_e32 v16, v16, v4
	v_mul_f32_e32 v4, v35, v43
	v_add_f32_e32 v18, v18, v5
	v_fma_f32 v28, v34, v42, -v4
	ds_read2_b64 v[4:7], v25 offset0:192 offset1:208
	v_mul_f32_e32 v29, v34, v43
	v_add_f32_e32 v12, v12, v28
	v_fmac_f32_e32 v29, v35, v42
	v_add_f32_e32 v14, v14, v29
	s_waitcnt lgkmcnt(0)
	v_mul_f32_e32 v28, v1, v5
	v_fma_f32 v28, v0, v4, -v28
	v_mul_f32_e32 v29, v0, v5
	v_add_f32_e32 v20, v20, v28
	v_mul_f32_e32 v28, v1, v7
	v_fmac_f32_e32 v29, v1, v4
	v_fma_f32 v28, v0, v6, -v28
	v_mul_f32_e32 v0, v0, v7
	v_add_f32_e32 v22, v22, v29
	v_fmac_f32_e32 v0, v1, v6
	v_add_f32_e32 v1, v24, v28
	ds_read2_b64 v[28:31], v25 offset0:224 offset1:240
	v_mul_f32_e32 v24, v37, v5
	v_fma_f32 v24, v36, v4, -v24
	v_mul_f32_e32 v5, v36, v5
	v_fmac_f32_e32 v5, v37, v4
	v_add_f32_e32 v4, v16, v24
	v_mul_f32_e32 v16, v37, v7
	v_fma_f32 v16, v36, v6, -v16
	v_mul_f32_e32 v7, v36, v7
	v_fmac_f32_e32 v7, v37, v6
	v_add_f32_e32 v6, v12, v16
	s_waitcnt lgkmcnt(0)
	v_mul_f32_e32 v12, v3, v29
	v_fma_f32 v12, v2, v28, -v12
	v_add_f32_e32 v24, v20, v12
	v_mul_f32_e32 v12, v3, v31
	v_add_f32_e32 v7, v14, v7
	v_mul_f32_e32 v14, v2, v29
	v_fma_f32 v12, v2, v30, -v12
	v_mul_f32_e32 v2, v2, v31
	v_add_f32_e32 v0, v26, v0
	v_fmac_f32_e32 v14, v3, v28
	v_fmac_f32_e32 v2, v3, v30
	v_add_f32_e32 v26, v22, v14
	v_add_f32_e32 v20, v1, v12
	;; [unrolled: 1-line block ×3, first 2 shown]
	v_mul_f32_e32 v0, v39, v29
	v_mul_f32_e32 v1, v38, v29
	v_add_f32_e32 v5, v18, v5
	v_fma_f32 v0, v38, v28, -v0
	v_fmac_f32_e32 v1, v39, v28
	v_add_f32_e32 v16, v4, v0
	v_add_f32_e32 v18, v5, v1
	v_mul_f32_e32 v0, v39, v31
	v_mul_f32_e32 v1, v38, v31
	v_fma_f32 v0, v38, v30, -v0
	v_fmac_f32_e32 v1, v39, v30
	s_add_i32 s5, s5, 8
	v_add_f32_e32 v12, v6, v0
	v_add_f32_e32 v14, v7, v1
	v_lshl_add_u64 v[8:9], v[8:9], 0, s[18:19]
	s_cmp_lt_i32 s5, s9
	v_lshl_add_u64 v[10:11], v[10:11], 0, 64
	s_barrier
	s_cbranch_scc0 .LBB378_12
.LBB378_8:                              ; =>This Inner Loop Header: Depth=1
	v_add_u32_e32 v0, s5, v19
	v_cmp_gt_i32_e64 s[6:7], s9, v0
	s_and_b64 s[22:23], vcc, s[6:7]
	v_mov_b32_e32 v0, 0
	v_mov_b32_e32 v1, 0
	s_and_saveexec_b64 s[6:7], s[22:23]
	s_cbranch_execz .LBB378_10
; %bb.9:                                ;   in Loop: Header=BB378_8 Depth=1
	flat_load_dwordx2 v[0:1], v[8:9]
.LBB378_10:                             ;   in Loop: Header=BB378_8 Depth=1
	s_or_b64 exec, exec, s[6:7]
	s_waitcnt vmcnt(0) lgkmcnt(0)
	ds_write_b64 v21, v[0:1]
	v_add_u32_e32 v0, s5, v17
	v_cmp_gt_i32_e64 s[6:7], s9, v0
	s_and_b64 s[22:23], s[6:7], s[2:3]
	v_mov_b32_e32 v0, 0
	v_mov_b32_e32 v1, 0
	s_and_saveexec_b64 s[6:7], s[22:23]
	s_cbranch_execz .LBB378_7
; %bb.11:                               ;   in Loop: Header=BB378_8 Depth=1
	flat_load_dwordx2 v[0:1], v[10:11]
	s_branch .LBB378_7
.LBB378_12:
	s_load_dwordx2 s[2:3], s[0:1], 0x58
	s_load_dword s9, s[0:1], 0x50
	v_add_u32_e32 v0, s4, v13
	v_add_u32_e32 v10, s20, v15
	v_cmp_neq_f32_e64 s[0:1], s12, 0
	s_waitcnt lgkmcnt(0)
	s_lshl_b64 s[2:3], s[2:3], 3
	s_add_u32 s4, s16, s2
	s_addc_u32 s5, s17, s3
	s_xor_b64 s[6:7], s[14:15], -1
	v_mad_i64_i32 v[2:3], s[14:15], v10, s9, 0
	s_or_b64 s[0:1], s[0:1], s[6:7]
	v_cmp_gt_i32_e64 s[2:3], s8, v10
	v_lshl_add_u64 v[4:5], v[2:3], 3, s[4:5]
	v_cmp_le_i32_e32 vcc, v0, v10
	v_cndmask_b32_e64 v2, 0, 1, s[0:1]
	s_and_b64 s[14:15], s[2:3], vcc
	v_ashrrev_i32_e32 v1, 31, v0
	v_cmp_ne_u32_e64 s[0:1], 1, v2
	s_and_saveexec_b64 s[6:7], s[14:15]
	s_cbranch_execz .LBB378_16
; %bb.13:
	v_pk_mul_f32 v[6:7], v[26:27], s[10:11] op_sel:[0,1] op_sel_hi:[0,0]
	v_pk_fma_f32 v[2:3], v[24:25], s[10:11], v[6:7] op_sel_hi:[0,1,1] neg_lo:[0,0,1] neg_hi:[0,0,1]
	v_pk_fma_f32 v[8:9], v[24:25], s[10:11], v[6:7] op_sel_hi:[0,1,1]
	s_and_b64 vcc, exec, s[0:1]
	v_lshl_add_u64 v[6:7], v[0:1], 3, v[4:5]
	s_cbranch_vccnz .LBB378_15
; %bb.14:
	flat_load_dwordx2 v[24:25], v[6:7]
	s_mov_b32 s14, s13
	v_mov_b32_e32 v3, v9
	s_waitcnt vmcnt(0) lgkmcnt(0)
	v_pk_mul_f32 v[8:9], v[24:25], s[14:15] op_sel:[1,0] op_sel_hi:[0,0]
	v_pk_fma_f32 v[26:27], v[24:25], s[12:13], v[8:9] neg_lo:[0,0,1] neg_hi:[0,0,1]
	v_pk_fma_f32 v[8:9], v[24:25], s[12:13], v[8:9] op_sel_hi:[1,0,1]
	s_nop 0
	v_mov_b32_e32 v27, v9
	v_pk_add_f32 v[2:3], v[2:3], v[26:27]
	s_nop 0
	v_mov_b32_e32 v9, v3
.LBB378_15:
	v_mov_b32_e32 v3, v9
	flat_store_dwordx2 v[6:7], v[2:3]
.LBB378_16:
	s_or_b64 exec, exec, s[6:7]
	v_add_u32_e32 v2, 16, v0
	v_cmp_le_i32_e32 vcc, v2, v10
	s_and_b64 s[6:7], s[2:3], vcc
	v_ashrrev_i32_e32 v3, 31, v2
	s_and_saveexec_b64 s[2:3], s[6:7]
	s_cbranch_execz .LBB378_20
; %bb.17:
	v_pk_mul_f32 v[8:9], v[22:23], s[10:11] op_sel:[0,1] op_sel_hi:[0,0]
	v_pk_fma_f32 v[6:7], v[20:21], s[10:11], v[8:9] op_sel_hi:[0,1,1] neg_lo:[0,0,1] neg_hi:[0,0,1]
	v_pk_fma_f32 v[8:9], v[20:21], s[10:11], v[8:9] op_sel_hi:[0,1,1]
	s_and_b64 vcc, exec, s[0:1]
	v_lshl_add_u64 v[4:5], v[2:3], 3, v[4:5]
	s_cbranch_vccnz .LBB378_19
; %bb.18:
	flat_load_dwordx2 v[20:21], v[4:5]
	s_mov_b32 s6, s13
	v_mov_b32_e32 v7, v9
	s_waitcnt vmcnt(0) lgkmcnt(0)
	v_pk_mul_f32 v[8:9], v[20:21], s[6:7] op_sel:[1,0] op_sel_hi:[0,0]
	v_pk_fma_f32 v[22:23], v[20:21], s[12:13], v[8:9] neg_lo:[0,0,1] neg_hi:[0,0,1]
	v_pk_fma_f32 v[8:9], v[20:21], s[12:13], v[8:9] op_sel_hi:[1,0,1]
	s_nop 0
	v_mov_b32_e32 v23, v9
	v_pk_add_f32 v[6:7], v[6:7], v[22:23]
	s_nop 0
	v_mov_b32_e32 v9, v7
.LBB378_19:
	v_mov_b32_e32 v7, v9
	flat_store_dwordx2 v[4:5], v[6:7]
.LBB378_20:
	s_or_b64 exec, exec, s[2:3]
	v_add_u32_e32 v10, 16, v10
	v_cmp_gt_i32_e64 s[2:3], s8, v10
	v_mad_i64_i32 v[4:5], s[6:7], v10, s9, 0
	v_cmp_le_i32_e32 vcc, v0, v10
	v_lshl_add_u64 v[4:5], v[4:5], 3, s[4:5]
	s_and_b64 s[6:7], s[2:3], vcc
	s_and_saveexec_b64 s[4:5], s[6:7]
	s_cbranch_execz .LBB378_24
; %bb.21:
	v_pk_mul_f32 v[8:9], v[18:19], s[10:11] op_sel:[0,1] op_sel_hi:[0,0]
	v_pk_fma_f32 v[6:7], v[16:17], s[10:11], v[8:9] op_sel_hi:[0,1,1] neg_lo:[0,0,1] neg_hi:[0,0,1]
	v_pk_fma_f32 v[8:9], v[16:17], s[10:11], v[8:9] op_sel_hi:[0,1,1]
	s_and_b64 vcc, exec, s[0:1]
	v_lshl_add_u64 v[0:1], v[0:1], 3, v[4:5]
	s_cbranch_vccnz .LBB378_23
; %bb.22:
	flat_load_dwordx2 v[16:17], v[0:1]
	s_mov_b32 s6, s13
	v_mov_b32_e32 v7, v9
	s_waitcnt vmcnt(0) lgkmcnt(0)
	v_pk_mul_f32 v[8:9], v[16:17], s[6:7] op_sel:[1,0] op_sel_hi:[0,0]
	v_pk_fma_f32 v[18:19], v[16:17], s[12:13], v[8:9] neg_lo:[0,0,1] neg_hi:[0,0,1]
	v_pk_fma_f32 v[8:9], v[16:17], s[12:13], v[8:9] op_sel_hi:[1,0,1]
	s_nop 0
	v_mov_b32_e32 v19, v9
	v_pk_add_f32 v[6:7], v[6:7], v[18:19]
	s_nop 0
	v_mov_b32_e32 v9, v7
.LBB378_23:
	v_mov_b32_e32 v7, v9
	flat_store_dwordx2 v[0:1], v[6:7]
.LBB378_24:
	s_or_b64 exec, exec, s[4:5]
	v_cmp_le_i32_e32 vcc, v2, v10
	s_and_b64 s[2:3], s[2:3], vcc
	s_and_saveexec_b64 s[4:5], s[2:3]
	s_cbranch_execz .LBB378_28
; %bb.25:
	v_pk_mul_f32 v[6:7], v[14:15], s[10:11] op_sel:[0,1] op_sel_hi:[0,0]
	v_pk_fma_f32 v[0:1], v[12:13], s[10:11], v[6:7] op_sel_hi:[0,1,1] neg_lo:[0,0,1] neg_hi:[0,0,1]
	v_pk_fma_f32 v[6:7], v[12:13], s[10:11], v[6:7] op_sel_hi:[0,1,1]
	s_and_b64 vcc, exec, s[0:1]
	v_lshl_add_u64 v[2:3], v[2:3], 3, v[4:5]
	s_cbranch_vccnz .LBB378_27
; %bb.26:
	flat_load_dwordx2 v[4:5], v[2:3]
	s_mov_b32 s0, s13
	v_mov_b32_e32 v1, v7
	s_waitcnt vmcnt(0) lgkmcnt(0)
	v_pk_mul_f32 v[6:7], v[4:5], s[0:1] op_sel:[1,0] op_sel_hi:[0,0]
	v_pk_fma_f32 v[8:9], v[4:5], s[12:13], v[6:7] neg_lo:[0,0,1] neg_hi:[0,0,1]
	v_pk_fma_f32 v[4:5], v[4:5], s[12:13], v[6:7] op_sel_hi:[1,0,1]
	s_nop 0
	v_mov_b32_e32 v9, v5
	v_pk_add_f32 v[0:1], v[0:1], v[8:9]
	s_nop 0
	v_mov_b32_e32 v7, v1
.LBB378_27:
	v_mov_b32_e32 v1, v7
	flat_store_dwordx2 v[2:3], v[0:1]
.LBB378_28:
	s_endpgm
	.section	.rodata,"a",@progbits
	.p2align	6, 0x0
	.amdhsa_kernel _ZL29rocblas_internal_gemmt_kernelIiLi16ELi32ELi8ELc78ELc78ELc85ELb0ELb0E19rocblas_complex_numIfES1_PKPKS1_PKPS1_EviT_T9_T10_S9_lSB_S9_lSA_T11_S9_li
		.amdhsa_group_segment_fixed_size 4096
		.amdhsa_private_segment_fixed_size 0
		.amdhsa_kernarg_size 100
		.amdhsa_user_sgpr_count 2
		.amdhsa_user_sgpr_dispatch_ptr 0
		.amdhsa_user_sgpr_queue_ptr 0
		.amdhsa_user_sgpr_kernarg_segment_ptr 1
		.amdhsa_user_sgpr_dispatch_id 0
		.amdhsa_user_sgpr_kernarg_preload_length 0
		.amdhsa_user_sgpr_kernarg_preload_offset 0
		.amdhsa_user_sgpr_private_segment_size 0
		.amdhsa_uses_dynamic_stack 0
		.amdhsa_enable_private_segment 0
		.amdhsa_system_sgpr_workgroup_id_x 1
		.amdhsa_system_sgpr_workgroup_id_y 1
		.amdhsa_system_sgpr_workgroup_id_z 1
		.amdhsa_system_sgpr_workgroup_info 0
		.amdhsa_system_vgpr_workitem_id 1
		.amdhsa_next_free_vgpr 52
		.amdhsa_next_free_sgpr 30
		.amdhsa_accum_offset 52
		.amdhsa_reserve_vcc 1
		.amdhsa_float_round_mode_32 0
		.amdhsa_float_round_mode_16_64 0
		.amdhsa_float_denorm_mode_32 3
		.amdhsa_float_denorm_mode_16_64 3
		.amdhsa_dx10_clamp 1
		.amdhsa_ieee_mode 1
		.amdhsa_fp16_overflow 0
		.amdhsa_tg_split 0
		.amdhsa_exception_fp_ieee_invalid_op 0
		.amdhsa_exception_fp_denorm_src 0
		.amdhsa_exception_fp_ieee_div_zero 0
		.amdhsa_exception_fp_ieee_overflow 0
		.amdhsa_exception_fp_ieee_underflow 0
		.amdhsa_exception_fp_ieee_inexact 0
		.amdhsa_exception_int_div_zero 0
	.end_amdhsa_kernel
	.section	.text._ZL29rocblas_internal_gemmt_kernelIiLi16ELi32ELi8ELc78ELc78ELc85ELb0ELb0E19rocblas_complex_numIfES1_PKPKS1_PKPS1_EviT_T9_T10_S9_lSB_S9_lSA_T11_S9_li,"axG",@progbits,_ZL29rocblas_internal_gemmt_kernelIiLi16ELi32ELi8ELc78ELc78ELc85ELb0ELb0E19rocblas_complex_numIfES1_PKPKS1_PKPS1_EviT_T9_T10_S9_lSB_S9_lSA_T11_S9_li,comdat
.Lfunc_end378:
	.size	_ZL29rocblas_internal_gemmt_kernelIiLi16ELi32ELi8ELc78ELc78ELc85ELb0ELb0E19rocblas_complex_numIfES1_PKPKS1_PKPS1_EviT_T9_T10_S9_lSB_S9_lSA_T11_S9_li, .Lfunc_end378-_ZL29rocblas_internal_gemmt_kernelIiLi16ELi32ELi8ELc78ELc78ELc85ELb0ELb0E19rocblas_complex_numIfES1_PKPKS1_PKPS1_EviT_T9_T10_S9_lSB_S9_lSA_T11_S9_li
                                        ; -- End function
	.set _ZL29rocblas_internal_gemmt_kernelIiLi16ELi32ELi8ELc78ELc78ELc85ELb0ELb0E19rocblas_complex_numIfES1_PKPKS1_PKPS1_EviT_T9_T10_S9_lSB_S9_lSA_T11_S9_li.num_vgpr, 52
	.set _ZL29rocblas_internal_gemmt_kernelIiLi16ELi32ELi8ELc78ELc78ELc85ELb0ELb0E19rocblas_complex_numIfES1_PKPKS1_PKPS1_EviT_T9_T10_S9_lSB_S9_lSA_T11_S9_li.num_agpr, 0
	.set _ZL29rocblas_internal_gemmt_kernelIiLi16ELi32ELi8ELc78ELc78ELc85ELb0ELb0E19rocblas_complex_numIfES1_PKPKS1_PKPS1_EviT_T9_T10_S9_lSB_S9_lSA_T11_S9_li.numbered_sgpr, 30
	.set _ZL29rocblas_internal_gemmt_kernelIiLi16ELi32ELi8ELc78ELc78ELc85ELb0ELb0E19rocblas_complex_numIfES1_PKPKS1_PKPS1_EviT_T9_T10_S9_lSB_S9_lSA_T11_S9_li.num_named_barrier, 0
	.set _ZL29rocblas_internal_gemmt_kernelIiLi16ELi32ELi8ELc78ELc78ELc85ELb0ELb0E19rocblas_complex_numIfES1_PKPKS1_PKPS1_EviT_T9_T10_S9_lSB_S9_lSA_T11_S9_li.private_seg_size, 0
	.set _ZL29rocblas_internal_gemmt_kernelIiLi16ELi32ELi8ELc78ELc78ELc85ELb0ELb0E19rocblas_complex_numIfES1_PKPKS1_PKPS1_EviT_T9_T10_S9_lSB_S9_lSA_T11_S9_li.uses_vcc, 1
	.set _ZL29rocblas_internal_gemmt_kernelIiLi16ELi32ELi8ELc78ELc78ELc85ELb0ELb0E19rocblas_complex_numIfES1_PKPKS1_PKPS1_EviT_T9_T10_S9_lSB_S9_lSA_T11_S9_li.uses_flat_scratch, 0
	.set _ZL29rocblas_internal_gemmt_kernelIiLi16ELi32ELi8ELc78ELc78ELc85ELb0ELb0E19rocblas_complex_numIfES1_PKPKS1_PKPS1_EviT_T9_T10_S9_lSB_S9_lSA_T11_S9_li.has_dyn_sized_stack, 0
	.set _ZL29rocblas_internal_gemmt_kernelIiLi16ELi32ELi8ELc78ELc78ELc85ELb0ELb0E19rocblas_complex_numIfES1_PKPKS1_PKPS1_EviT_T9_T10_S9_lSB_S9_lSA_T11_S9_li.has_recursion, 0
	.set _ZL29rocblas_internal_gemmt_kernelIiLi16ELi32ELi8ELc78ELc78ELc85ELb0ELb0E19rocblas_complex_numIfES1_PKPKS1_PKPS1_EviT_T9_T10_S9_lSB_S9_lSA_T11_S9_li.has_indirect_call, 0
	.section	.AMDGPU.csdata,"",@progbits
; Kernel info:
; codeLenInByte = 2460
; TotalNumSgprs: 36
; NumVgprs: 52
; NumAgprs: 0
; TotalNumVgprs: 52
; ScratchSize: 0
; MemoryBound: 0
; FloatMode: 240
; IeeeMode: 1
; LDSByteSize: 4096 bytes/workgroup (compile time only)
; SGPRBlocks: 4
; VGPRBlocks: 6
; NumSGPRsForWavesPerEU: 36
; NumVGPRsForWavesPerEU: 52
; AccumOffset: 52
; Occupancy: 8
; WaveLimiterHint : 1
; COMPUTE_PGM_RSRC2:SCRATCH_EN: 0
; COMPUTE_PGM_RSRC2:USER_SGPR: 2
; COMPUTE_PGM_RSRC2:TRAP_HANDLER: 0
; COMPUTE_PGM_RSRC2:TGID_X_EN: 1
; COMPUTE_PGM_RSRC2:TGID_Y_EN: 1
; COMPUTE_PGM_RSRC2:TGID_Z_EN: 1
; COMPUTE_PGM_RSRC2:TIDIG_COMP_CNT: 1
; COMPUTE_PGM_RSRC3_GFX90A:ACCUM_OFFSET: 12
; COMPUTE_PGM_RSRC3_GFX90A:TG_SPLIT: 0
	.section	.text._ZL29rocblas_internal_gemmt_kernelIiLi16ELi32ELi8ELc78ELc84ELc85ELb0ELb0E19rocblas_complex_numIfES1_PKPKS1_PKPS1_EviT_T9_T10_S9_lSB_S9_lSA_T11_S9_li,"axG",@progbits,_ZL29rocblas_internal_gemmt_kernelIiLi16ELi32ELi8ELc78ELc84ELc85ELb0ELb0E19rocblas_complex_numIfES1_PKPKS1_PKPS1_EviT_T9_T10_S9_lSB_S9_lSA_T11_S9_li,comdat
	.globl	_ZL29rocblas_internal_gemmt_kernelIiLi16ELi32ELi8ELc78ELc84ELc85ELb0ELb0E19rocblas_complex_numIfES1_PKPKS1_PKPS1_EviT_T9_T10_S9_lSB_S9_lSA_T11_S9_li ; -- Begin function _ZL29rocblas_internal_gemmt_kernelIiLi16ELi32ELi8ELc78ELc84ELc85ELb0ELb0E19rocblas_complex_numIfES1_PKPKS1_PKPS1_EviT_T9_T10_S9_lSB_S9_lSA_T11_S9_li
	.p2align	8
	.type	_ZL29rocblas_internal_gemmt_kernelIiLi16ELi32ELi8ELc78ELc84ELc85ELb0ELb0E19rocblas_complex_numIfES1_PKPKS1_PKPS1_EviT_T9_T10_S9_lSB_S9_lSA_T11_S9_li,@function
_ZL29rocblas_internal_gemmt_kernelIiLi16ELi32ELi8ELc78ELc84ELc85ELb0ELb0E19rocblas_complex_numIfES1_PKPKS1_PKPS1_EviT_T9_T10_S9_lSB_S9_lSA_T11_S9_li: ; @_ZL29rocblas_internal_gemmt_kernelIiLi16ELi32ELi8ELc78ELc84ELc85ELb0ELb0E19rocblas_complex_numIfES1_PKPKS1_PKPS1_EviT_T9_T10_S9_lSB_S9_lSA_T11_S9_li
; %bb.0:
	s_load_dwordx2 s[12:13], s[0:1], 0x40
	s_load_dwordx4 s[8:11], s[0:1], 0x0
	s_waitcnt lgkmcnt(0)
	s_and_b32 s5, s13, 0x7fffffff
	s_cmp_eq_u32 s5, 0
	v_cmp_eq_f32_e64 s[6:7], s12, 1.0
	s_cselect_b64 s[14:15], -1, 0
	s_and_b64 s[6:7], s[6:7], s[14:15]
	s_and_b64 vcc, exec, s[6:7]
	s_cbranch_vccnz .LBB379_2
; %bb.1:
	s_mov_b64 s[6:7], -1
	s_cbranch_execz .LBB379_3
	s_branch .LBB379_4
.LBB379_2:
	s_mov_b64 s[6:7], 0
.LBB379_3:
	s_cmp_lg_u32 s9, 0
	v_cmp_neq_f32_e64 s[16:17], s10, 0
	v_cmp_neq_f32_e64 s[18:19], s11, 0
	s_cselect_b64 s[6:7], -1, 0
	s_or_b64 s[16:17], s[16:17], s[18:19]
	s_and_b64 s[6:7], s[6:7], s[16:17]
.LBB379_4:
	s_andn2_b64 vcc, exec, s[6:7]
	s_cbranch_vccnz .LBB379_28
; %bb.5:
	s_load_dwordx2 s[16:17], s[0:1], 0x48
	s_mov_b32 s5, 0
	s_lshl_b64 s[6:7], s[4:5], 3
	v_cmp_eq_f32_e64 s[18:19], s11, 0
	v_and_b32_e32 v13, 0x3ff, v0
	s_waitcnt lgkmcnt(0)
	s_add_u32 s16, s16, s6
	s_addc_u32 s17, s17, s7
	s_lshl_b32 s4, s2, 5
	s_lshl_b32 s22, s3, 5
	v_cmp_eq_f32_e64 s[2:3], s10, 0
	s_load_dwordx2 s[16:17], s[16:17], 0x0
	s_and_b64 s[2:3], s[2:3], s[18:19]
	s_cmp_lt_i32 s9, 1
	s_cselect_b64 s[18:19], -1, 0
	s_or_b64 s[2:3], s[2:3], s[18:19]
	v_bfe_u32 v15, v0, 10, 10
	v_mov_b32_e32 v24, 0
	s_and_b64 vcc, exec, s[2:3]
	v_mov_b32_e32 v26, 0
	v_mov_b32_e32 v20, 0
	;; [unrolled: 1-line block ×7, first 2 shown]
	s_cbranch_vccnz .LBB379_12
; %bb.6:
	s_load_dwordx2 s[2:3], s[0:1], 0x10
	s_load_dword s18, s[0:1], 0x18
	s_load_dwordx4 s[24:27], s[0:1], 0x20
	s_load_dword s20, s[0:1], 0x30
	v_lshl_add_u32 v1, v15, 4, v13
	v_and_b32_e32 v4, 31, v1
	s_waitcnt lgkmcnt(0)
	s_ashr_i32 s19, s18, 31
	v_lshrrev_b32_e32 v19, 5, v1
	s_ashr_i32 s21, s20, 31
	s_add_u32 s26, s26, s6
	s_addc_u32 s27, s27, s7
	v_lshrrev_b32_e32 v2, 3, v1
	v_or_b32_e32 v1, s4, v4
	s_add_u32 s2, s2, s6
	v_and_b32_e32 v17, 7, v13
	s_addc_u32 s3, s3, s7
	v_cmp_gt_i32_e32 vcc, s8, v1
	v_lshlrev_b32_e32 v1, 3, v4
	s_load_dwordx2 s[6:7], s[2:3], 0x0
	v_lshl_or_b32 v21, v19, 8, v1
	v_lshlrev_b32_e32 v1, 3, v17
	s_load_dwordx2 s[28:29], s[0:1], 0x38
	v_add_u32_e32 v0, s22, v2
	v_lshl_or_b32 v1, v2, 6, v1
	v_mov_b32_e32 v2, 0x800
	v_lshl_add_u32 v27, v15, 6, v2
	v_mad_i64_i32 v[2:3], s[30:31], v19, s18, 0
	s_lshl_b64 s[24:25], s[24:25], 3
	v_add_u32_e32 v4, s4, v4
	v_lshl_add_u64 v[2:3], v[2:3], 3, s[24:25]
	v_ashrrev_i32_e32 v5, 31, v4
	s_load_dwordx2 s[26:27], s[26:27], 0x0
	v_lshl_add_u64 v[2:3], v[4:5], 3, v[2:3]
	s_waitcnt lgkmcnt(0)
	v_lshl_add_u64 v[8:9], s[6:7], 0, v[2:3]
	v_mad_i64_i32 v[2:3], s[6:7], s20, v17, 0
	s_lshl_b64 s[6:7], s[28:29], 3
	v_add_u32_e32 v23, 0x800, v1
	v_ashrrev_i32_e32 v1, 31, v0
	v_lshl_add_u64 v[2:3], v[2:3], 3, s[6:7]
	v_cmp_gt_i32_e64 s[2:3], s8, v0
	v_lshl_add_u64 v[0:1], v[0:1], 3, v[2:3]
	v_lshlrev_b32_e32 v25, 3, v13
	s_lshl_b64 s[18:19], s[18:19], 6
	v_lshl_add_u64 v[10:11], s[26:27], 0, v[0:1]
	s_lshl_b64 s[20:21], s[20:21], 6
	v_mov_b32_e32 v12, 0
	v_mov_b32_e32 v14, 0
	;; [unrolled: 1-line block ×8, first 2 shown]
	s_branch .LBB379_8
.LBB379_7:                              ;   in Loop: Header=BB379_8 Depth=1
	s_or_b64 exec, exec, s[6:7]
	s_waitcnt vmcnt(0) lgkmcnt(0)
	ds_write_b64 v23, v[0:1]
	s_waitcnt lgkmcnt(0)
	s_barrier
	ds_read2_b64 v[28:31], v25 offset1:16
	ds_read_b128 v[32:35], v27
	ds_read_b128 v[36:39], v27 offset:16
	ds_read_b128 v[4:7], v27 offset:32
	;; [unrolled: 1-line block ×3, first 2 shown]
	ds_read2_b64 v[48:51], v25 offset0:32 offset1:48
	s_waitcnt lgkmcnt(4)
	v_mul_f32_e32 v40, v33, v29
	v_fma_f32 v40, v32, v28, -v40
	v_mul_f32_e32 v41, v32, v29
	v_fmac_f32_e32 v41, v33, v28
	v_add_f32_e32 v24, v24, v40
	v_mul_f32_e32 v40, v33, v31
	v_add_f32_e32 v26, v26, v41
	v_fma_f32 v44, v32, v30, -v40
	ds_read_b128 v[40:43], v27 offset:1024
	v_mul_f32_e32 v32, v32, v31
	v_fmac_f32_e32 v32, v33, v30
	v_add_f32_e32 v20, v20, v44
	v_add_f32_e32 v22, v22, v32
	ds_read_b128 v[44:47], v27 offset:1040
	s_waitcnt lgkmcnt(1)
	v_mul_f32_e32 v32, v41, v29
	v_mul_f32_e32 v29, v40, v29
	v_fma_f32 v32, v40, v28, -v32
	v_fmac_f32_e32 v29, v41, v28
	v_mul_f32_e32 v28, v41, v31
	v_add_f32_e32 v18, v18, v29
	v_fma_f32 v28, v40, v30, -v28
	v_mul_f32_e32 v29, v40, v31
	v_fmac_f32_e32 v29, v41, v30
	v_add_f32_e32 v14, v14, v28
	v_mul_f32_e32 v28, v35, v49
	v_add_f32_e32 v12, v12, v29
	v_fma_f32 v28, v34, v48, -v28
	v_mul_f32_e32 v29, v34, v49
	v_fmac_f32_e32 v29, v35, v48
	v_add_f32_e32 v24, v24, v28
	;; [unrolled: 6-line block ×3, first 2 shown]
	v_mul_f32_e32 v28, v43, v49
	v_add_f32_e32 v16, v16, v32
	v_add_f32_e32 v22, v22, v29
	v_fma_f32 v28, v42, v48, -v28
	v_mul_f32_e32 v29, v42, v49
	v_fmac_f32_e32 v29, v43, v48
	v_add_f32_e32 v16, v16, v28
	v_mul_f32_e32 v28, v43, v51
	v_add_f32_e32 v18, v18, v29
	v_fma_f32 v32, v42, v50, -v28
	ds_read2_b64 v[28:31], v25 offset0:64 offset1:80
	v_mul_f32_e32 v33, v42, v51
	v_add_f32_e32 v14, v14, v32
	v_fmac_f32_e32 v33, v43, v50
	v_add_f32_e32 v12, v12, v33
	s_waitcnt lgkmcnt(0)
	v_mul_f32_e32 v32, v37, v29
	v_fma_f32 v32, v36, v28, -v32
	v_mul_f32_e32 v33, v36, v29
	v_add_f32_e32 v24, v24, v32
	v_mul_f32_e32 v32, v37, v31
	v_fmac_f32_e32 v33, v37, v28
	v_fma_f32 v32, v36, v30, -v32
	v_add_f32_e32 v26, v26, v33
	v_mul_f32_e32 v33, v36, v31
	v_add_f32_e32 v20, v20, v32
	v_mul_f32_e32 v32, v45, v29
	v_fmac_f32_e32 v33, v37, v30
	v_fma_f32 v32, v44, v28, -v32
	v_add_f32_e32 v22, v22, v33
	v_add_f32_e32 v16, v16, v32
	ds_read2_b64 v[32:35], v25 offset0:96 offset1:112
	v_mul_f32_e32 v29, v44, v29
	v_fmac_f32_e32 v29, v45, v28
	v_mul_f32_e32 v28, v45, v31
	v_add_f32_e32 v18, v18, v29
	v_fma_f32 v28, v44, v30, -v28
	v_mul_f32_e32 v29, v44, v31
	v_fmac_f32_e32 v29, v45, v30
	v_add_f32_e32 v14, v14, v28
	s_waitcnt lgkmcnt(0)
	v_mul_f32_e32 v28, v39, v33
	v_add_f32_e32 v12, v12, v29
	v_fma_f32 v28, v38, v32, -v28
	v_mul_f32_e32 v29, v38, v33
	v_fmac_f32_e32 v29, v39, v32
	v_add_f32_e32 v24, v24, v28
	v_mul_f32_e32 v28, v39, v35
	v_add_f32_e32 v26, v26, v29
	v_fma_f32 v28, v38, v34, -v28
	v_mul_f32_e32 v29, v38, v35
	v_fmac_f32_e32 v29, v39, v34
	v_add_f32_e32 v20, v20, v28
	;; [unrolled: 6-line block ×3, first 2 shown]
	v_mul_f32_e32 v28, v47, v35
	v_add_f32_e32 v18, v18, v29
	v_fma_f32 v32, v46, v34, -v28
	ds_read2_b64 v[28:31], v25 offset0:128 offset1:144
	v_mul_f32_e32 v33, v46, v35
	v_fmac_f32_e32 v33, v47, v34
	v_add_f32_e32 v14, v14, v32
	v_add_f32_e32 v12, v12, v33
	s_waitcnt lgkmcnt(0)
	v_mul_f32_e32 v32, v5, v29
	v_fma_f32 v32, v4, v28, -v32
	v_mul_f32_e32 v33, v4, v29
	v_fmac_f32_e32 v33, v5, v28
	v_add_f32_e32 v24, v24, v32
	v_mul_f32_e32 v32, v5, v31
	v_add_f32_e32 v26, v26, v33
	v_fma_f32 v36, v4, v30, -v32
	ds_read_b128 v[32:35], v27 offset:1056
	v_mul_f32_e32 v4, v4, v31
	ds_read2_b64 v[40:43], v25 offset0:160 offset1:176
	v_fmac_f32_e32 v4, v5, v30
	v_add_f32_e32 v5, v20, v36
	ds_read_b128 v[36:39], v27 offset:1072
	s_waitcnt lgkmcnt(2)
	v_mul_f32_e32 v20, v33, v29
	v_fma_f32 v20, v32, v28, -v20
	v_add_f32_e32 v16, v16, v20
	v_mul_f32_e32 v20, v33, v31
	v_add_f32_e32 v4, v22, v4
	v_mul_f32_e32 v22, v32, v29
	v_fma_f32 v20, v32, v30, -v20
	v_fmac_f32_e32 v22, v33, v28
	v_add_f32_e32 v14, v14, v20
	s_waitcnt lgkmcnt(1)
	v_mul_f32_e32 v20, v7, v41
	v_add_f32_e32 v18, v18, v22
	v_mul_f32_e32 v22, v32, v31
	v_fma_f32 v20, v6, v40, -v20
	v_fmac_f32_e32 v22, v33, v30
	v_add_f32_e32 v20, v24, v20
	v_mul_f32_e32 v24, v7, v43
	v_add_f32_e32 v12, v12, v22
	v_mul_f32_e32 v22, v6, v41
	v_fma_f32 v24, v6, v42, -v24
	v_mul_f32_e32 v6, v6, v43
	v_fmac_f32_e32 v22, v7, v40
	v_fmac_f32_e32 v6, v7, v42
	v_add_f32_e32 v22, v26, v22
	v_add_f32_e32 v26, v4, v6
	v_mul_f32_e32 v4, v35, v41
	v_add_f32_e32 v24, v5, v24
	v_fma_f32 v4, v34, v40, -v4
	v_mul_f32_e32 v5, v34, v41
	v_fmac_f32_e32 v5, v35, v40
	v_add_f32_e32 v16, v16, v4
	v_mul_f32_e32 v4, v35, v43
	v_add_f32_e32 v18, v18, v5
	v_fma_f32 v28, v34, v42, -v4
	ds_read2_b64 v[4:7], v25 offset0:192 offset1:208
	v_mul_f32_e32 v29, v34, v43
	v_add_f32_e32 v14, v14, v28
	v_fmac_f32_e32 v29, v35, v42
	v_add_f32_e32 v12, v12, v29
	s_waitcnt lgkmcnt(0)
	v_mul_f32_e32 v28, v1, v5
	v_fma_f32 v28, v0, v4, -v28
	v_mul_f32_e32 v29, v0, v5
	v_add_f32_e32 v20, v20, v28
	v_mul_f32_e32 v28, v1, v7
	v_fmac_f32_e32 v29, v1, v4
	v_fma_f32 v28, v0, v6, -v28
	v_mul_f32_e32 v0, v0, v7
	v_add_f32_e32 v22, v22, v29
	v_fmac_f32_e32 v0, v1, v6
	v_add_f32_e32 v1, v24, v28
	ds_read2_b64 v[28:31], v25 offset0:224 offset1:240
	v_mul_f32_e32 v24, v37, v5
	v_fma_f32 v24, v36, v4, -v24
	v_mul_f32_e32 v5, v36, v5
	v_fmac_f32_e32 v5, v37, v4
	v_add_f32_e32 v4, v16, v24
	v_mul_f32_e32 v16, v37, v7
	v_mul_f32_e32 v7, v36, v7
	v_fmac_f32_e32 v7, v37, v6
	v_add_f32_e32 v7, v12, v7
	s_waitcnt lgkmcnt(0)
	v_mul_f32_e32 v12, v3, v29
	v_fma_f32 v12, v2, v28, -v12
	v_fma_f32 v16, v36, v6, -v16
	v_add_f32_e32 v24, v20, v12
	v_mul_f32_e32 v12, v3, v31
	v_add_f32_e32 v6, v14, v16
	v_mul_f32_e32 v14, v2, v29
	v_fma_f32 v12, v2, v30, -v12
	v_mul_f32_e32 v2, v2, v31
	v_add_f32_e32 v0, v26, v0
	v_fmac_f32_e32 v14, v3, v28
	v_fmac_f32_e32 v2, v3, v30
	v_add_f32_e32 v26, v22, v14
	v_add_f32_e32 v20, v1, v12
	;; [unrolled: 1-line block ×3, first 2 shown]
	v_mul_f32_e32 v0, v39, v29
	v_mul_f32_e32 v1, v38, v29
	v_add_f32_e32 v5, v18, v5
	v_fma_f32 v0, v38, v28, -v0
	v_fmac_f32_e32 v1, v39, v28
	v_add_f32_e32 v16, v4, v0
	v_add_f32_e32 v18, v5, v1
	v_mul_f32_e32 v0, v39, v31
	v_mul_f32_e32 v1, v38, v31
	v_fma_f32 v0, v38, v30, -v0
	v_fmac_f32_e32 v1, v39, v30
	s_add_i32 s5, s5, 8
	v_add_f32_e32 v14, v6, v0
	v_add_f32_e32 v12, v7, v1
	v_lshl_add_u64 v[8:9], v[8:9], 0, s[18:19]
	s_cmp_lt_i32 s5, s9
	v_lshl_add_u64 v[10:11], v[10:11], 0, s[20:21]
	s_barrier
	s_cbranch_scc0 .LBB379_12
.LBB379_8:                              ; =>This Inner Loop Header: Depth=1
	v_add_u32_e32 v0, s5, v19
	v_cmp_gt_i32_e64 s[6:7], s9, v0
	s_and_b64 s[24:25], vcc, s[6:7]
	v_mov_b32_e32 v0, 0
	v_mov_b32_e32 v1, 0
	s_and_saveexec_b64 s[6:7], s[24:25]
	s_cbranch_execz .LBB379_10
; %bb.9:                                ;   in Loop: Header=BB379_8 Depth=1
	flat_load_dwordx2 v[0:1], v[8:9]
.LBB379_10:                             ;   in Loop: Header=BB379_8 Depth=1
	s_or_b64 exec, exec, s[6:7]
	s_waitcnt vmcnt(0) lgkmcnt(0)
	ds_write_b64 v21, v[0:1]
	v_add_u32_e32 v0, s5, v17
	v_cmp_gt_i32_e64 s[6:7], s9, v0
	s_and_b64 s[24:25], s[6:7], s[2:3]
	v_mov_b32_e32 v0, 0
	v_mov_b32_e32 v1, 0
	s_and_saveexec_b64 s[6:7], s[24:25]
	s_cbranch_execz .LBB379_7
; %bb.11:                               ;   in Loop: Header=BB379_8 Depth=1
	flat_load_dwordx2 v[0:1], v[10:11]
	s_branch .LBB379_7
.LBB379_12:
	s_load_dwordx2 s[2:3], s[0:1], 0x58
	s_load_dword s9, s[0:1], 0x50
	v_add_u32_e32 v0, s4, v13
	v_add_u32_e32 v10, s22, v15
	v_cmp_neq_f32_e64 s[0:1], s12, 0
	s_waitcnt lgkmcnt(0)
	s_lshl_b64 s[2:3], s[2:3], 3
	s_add_u32 s4, s16, s2
	s_addc_u32 s5, s17, s3
	s_xor_b64 s[6:7], s[14:15], -1
	v_mad_i64_i32 v[2:3], s[14:15], v10, s9, 0
	s_or_b64 s[0:1], s[0:1], s[6:7]
	v_cmp_gt_i32_e64 s[2:3], s8, v10
	v_lshl_add_u64 v[4:5], v[2:3], 3, s[4:5]
	v_cmp_le_i32_e32 vcc, v0, v10
	v_cndmask_b32_e64 v2, 0, 1, s[0:1]
	s_and_b64 s[14:15], s[2:3], vcc
	v_ashrrev_i32_e32 v1, 31, v0
	v_cmp_ne_u32_e64 s[0:1], 1, v2
	s_and_saveexec_b64 s[6:7], s[14:15]
	s_cbranch_execz .LBB379_16
; %bb.13:
	v_pk_mul_f32 v[6:7], v[26:27], s[10:11] op_sel:[0,1] op_sel_hi:[0,0]
	v_pk_fma_f32 v[2:3], v[24:25], s[10:11], v[6:7] op_sel_hi:[0,1,1] neg_lo:[0,0,1] neg_hi:[0,0,1]
	v_pk_fma_f32 v[8:9], v[24:25], s[10:11], v[6:7] op_sel_hi:[0,1,1]
	s_and_b64 vcc, exec, s[0:1]
	v_lshl_add_u64 v[6:7], v[0:1], 3, v[4:5]
	s_cbranch_vccnz .LBB379_15
; %bb.14:
	flat_load_dwordx2 v[24:25], v[6:7]
	s_mov_b32 s14, s13
	v_mov_b32_e32 v3, v9
	s_waitcnt vmcnt(0) lgkmcnt(0)
	v_pk_mul_f32 v[8:9], v[24:25], s[14:15] op_sel:[1,0] op_sel_hi:[0,0]
	v_pk_fma_f32 v[26:27], v[24:25], s[12:13], v[8:9] neg_lo:[0,0,1] neg_hi:[0,0,1]
	v_pk_fma_f32 v[8:9], v[24:25], s[12:13], v[8:9] op_sel_hi:[1,0,1]
	s_nop 0
	v_mov_b32_e32 v27, v9
	v_pk_add_f32 v[2:3], v[2:3], v[26:27]
	s_nop 0
	v_mov_b32_e32 v9, v3
.LBB379_15:
	v_mov_b32_e32 v3, v9
	flat_store_dwordx2 v[6:7], v[2:3]
.LBB379_16:
	s_or_b64 exec, exec, s[6:7]
	v_add_u32_e32 v2, 16, v0
	v_cmp_le_i32_e32 vcc, v2, v10
	s_and_b64 s[6:7], s[2:3], vcc
	v_ashrrev_i32_e32 v3, 31, v2
	s_and_saveexec_b64 s[2:3], s[6:7]
	s_cbranch_execz .LBB379_20
; %bb.17:
	v_pk_mul_f32 v[8:9], v[22:23], s[10:11] op_sel:[0,1] op_sel_hi:[0,0]
	v_pk_fma_f32 v[6:7], v[20:21], s[10:11], v[8:9] op_sel_hi:[0,1,1] neg_lo:[0,0,1] neg_hi:[0,0,1]
	v_pk_fma_f32 v[8:9], v[20:21], s[10:11], v[8:9] op_sel_hi:[0,1,1]
	s_and_b64 vcc, exec, s[0:1]
	v_lshl_add_u64 v[4:5], v[2:3], 3, v[4:5]
	s_cbranch_vccnz .LBB379_19
; %bb.18:
	flat_load_dwordx2 v[20:21], v[4:5]
	s_mov_b32 s6, s13
	v_mov_b32_e32 v7, v9
	s_waitcnt vmcnt(0) lgkmcnt(0)
	v_pk_mul_f32 v[8:9], v[20:21], s[6:7] op_sel:[1,0] op_sel_hi:[0,0]
	v_pk_fma_f32 v[22:23], v[20:21], s[12:13], v[8:9] neg_lo:[0,0,1] neg_hi:[0,0,1]
	v_pk_fma_f32 v[8:9], v[20:21], s[12:13], v[8:9] op_sel_hi:[1,0,1]
	s_nop 0
	v_mov_b32_e32 v23, v9
	v_pk_add_f32 v[6:7], v[6:7], v[22:23]
	s_nop 0
	v_mov_b32_e32 v9, v7
.LBB379_19:
	v_mov_b32_e32 v7, v9
	flat_store_dwordx2 v[4:5], v[6:7]
.LBB379_20:
	s_or_b64 exec, exec, s[2:3]
	v_add_u32_e32 v10, 16, v10
	v_cmp_gt_i32_e64 s[2:3], s8, v10
	v_mad_i64_i32 v[4:5], s[6:7], v10, s9, 0
	v_cmp_le_i32_e32 vcc, v0, v10
	v_lshl_add_u64 v[4:5], v[4:5], 3, s[4:5]
	s_and_b64 s[6:7], s[2:3], vcc
	s_and_saveexec_b64 s[4:5], s[6:7]
	s_cbranch_execz .LBB379_24
; %bb.21:
	v_pk_mul_f32 v[8:9], v[18:19], s[10:11] op_sel:[0,1] op_sel_hi:[0,0]
	v_pk_fma_f32 v[6:7], v[16:17], s[10:11], v[8:9] op_sel_hi:[0,1,1] neg_lo:[0,0,1] neg_hi:[0,0,1]
	v_pk_fma_f32 v[8:9], v[16:17], s[10:11], v[8:9] op_sel_hi:[0,1,1]
	s_and_b64 vcc, exec, s[0:1]
	v_lshl_add_u64 v[0:1], v[0:1], 3, v[4:5]
	s_cbranch_vccnz .LBB379_23
; %bb.22:
	flat_load_dwordx2 v[16:17], v[0:1]
	s_mov_b32 s6, s13
	v_mov_b32_e32 v7, v9
	s_waitcnt vmcnt(0) lgkmcnt(0)
	v_pk_mul_f32 v[8:9], v[16:17], s[6:7] op_sel:[1,0] op_sel_hi:[0,0]
	v_pk_fma_f32 v[18:19], v[16:17], s[12:13], v[8:9] neg_lo:[0,0,1] neg_hi:[0,0,1]
	v_pk_fma_f32 v[8:9], v[16:17], s[12:13], v[8:9] op_sel_hi:[1,0,1]
	s_nop 0
	v_mov_b32_e32 v19, v9
	v_pk_add_f32 v[6:7], v[6:7], v[18:19]
	s_nop 0
	v_mov_b32_e32 v9, v7
.LBB379_23:
	v_mov_b32_e32 v7, v9
	flat_store_dwordx2 v[0:1], v[6:7]
.LBB379_24:
	s_or_b64 exec, exec, s[4:5]
	v_cmp_le_i32_e32 vcc, v2, v10
	s_and_b64 s[2:3], s[2:3], vcc
	s_and_saveexec_b64 s[4:5], s[2:3]
	s_cbranch_execz .LBB379_28
; %bb.25:
	v_pk_mul_f32 v[6:7], v[12:13], s[10:11] op_sel:[0,1] op_sel_hi:[0,0]
	v_pk_fma_f32 v[0:1], v[14:15], s[10:11], v[6:7] op_sel_hi:[0,1,1] neg_lo:[0,0,1] neg_hi:[0,0,1]
	v_pk_fma_f32 v[6:7], v[14:15], s[10:11], v[6:7] op_sel_hi:[0,1,1]
	s_and_b64 vcc, exec, s[0:1]
	v_lshl_add_u64 v[2:3], v[2:3], 3, v[4:5]
	s_cbranch_vccnz .LBB379_27
; %bb.26:
	flat_load_dwordx2 v[4:5], v[2:3]
	s_mov_b32 s0, s13
	v_mov_b32_e32 v1, v7
	s_waitcnt vmcnt(0) lgkmcnt(0)
	v_pk_mul_f32 v[6:7], v[4:5], s[0:1] op_sel:[1,0] op_sel_hi:[0,0]
	v_pk_fma_f32 v[8:9], v[4:5], s[12:13], v[6:7] neg_lo:[0,0,1] neg_hi:[0,0,1]
	v_pk_fma_f32 v[4:5], v[4:5], s[12:13], v[6:7] op_sel_hi:[1,0,1]
	s_nop 0
	v_mov_b32_e32 v9, v5
	v_pk_add_f32 v[0:1], v[0:1], v[8:9]
	s_nop 0
	v_mov_b32_e32 v7, v1
.LBB379_27:
	v_mov_b32_e32 v1, v7
	flat_store_dwordx2 v[2:3], v[0:1]
.LBB379_28:
	s_endpgm
	.section	.rodata,"a",@progbits
	.p2align	6, 0x0
	.amdhsa_kernel _ZL29rocblas_internal_gemmt_kernelIiLi16ELi32ELi8ELc78ELc84ELc85ELb0ELb0E19rocblas_complex_numIfES1_PKPKS1_PKPS1_EviT_T9_T10_S9_lSB_S9_lSA_T11_S9_li
		.amdhsa_group_segment_fixed_size 4096
		.amdhsa_private_segment_fixed_size 0
		.amdhsa_kernarg_size 100
		.amdhsa_user_sgpr_count 2
		.amdhsa_user_sgpr_dispatch_ptr 0
		.amdhsa_user_sgpr_queue_ptr 0
		.amdhsa_user_sgpr_kernarg_segment_ptr 1
		.amdhsa_user_sgpr_dispatch_id 0
		.amdhsa_user_sgpr_kernarg_preload_length 0
		.amdhsa_user_sgpr_kernarg_preload_offset 0
		.amdhsa_user_sgpr_private_segment_size 0
		.amdhsa_uses_dynamic_stack 0
		.amdhsa_enable_private_segment 0
		.amdhsa_system_sgpr_workgroup_id_x 1
		.amdhsa_system_sgpr_workgroup_id_y 1
		.amdhsa_system_sgpr_workgroup_id_z 1
		.amdhsa_system_sgpr_workgroup_info 0
		.amdhsa_system_vgpr_workitem_id 1
		.amdhsa_next_free_vgpr 52
		.amdhsa_next_free_sgpr 32
		.amdhsa_accum_offset 52
		.amdhsa_reserve_vcc 1
		.amdhsa_float_round_mode_32 0
		.amdhsa_float_round_mode_16_64 0
		.amdhsa_float_denorm_mode_32 3
		.amdhsa_float_denorm_mode_16_64 3
		.amdhsa_dx10_clamp 1
		.amdhsa_ieee_mode 1
		.amdhsa_fp16_overflow 0
		.amdhsa_tg_split 0
		.amdhsa_exception_fp_ieee_invalid_op 0
		.amdhsa_exception_fp_denorm_src 0
		.amdhsa_exception_fp_ieee_div_zero 0
		.amdhsa_exception_fp_ieee_overflow 0
		.amdhsa_exception_fp_ieee_underflow 0
		.amdhsa_exception_fp_ieee_inexact 0
		.amdhsa_exception_int_div_zero 0
	.end_amdhsa_kernel
	.section	.text._ZL29rocblas_internal_gemmt_kernelIiLi16ELi32ELi8ELc78ELc84ELc85ELb0ELb0E19rocblas_complex_numIfES1_PKPKS1_PKPS1_EviT_T9_T10_S9_lSB_S9_lSA_T11_S9_li,"axG",@progbits,_ZL29rocblas_internal_gemmt_kernelIiLi16ELi32ELi8ELc78ELc84ELc85ELb0ELb0E19rocblas_complex_numIfES1_PKPKS1_PKPS1_EviT_T9_T10_S9_lSB_S9_lSA_T11_S9_li,comdat
.Lfunc_end379:
	.size	_ZL29rocblas_internal_gemmt_kernelIiLi16ELi32ELi8ELc78ELc84ELc85ELb0ELb0E19rocblas_complex_numIfES1_PKPKS1_PKPS1_EviT_T9_T10_S9_lSB_S9_lSA_T11_S9_li, .Lfunc_end379-_ZL29rocblas_internal_gemmt_kernelIiLi16ELi32ELi8ELc78ELc84ELc85ELb0ELb0E19rocblas_complex_numIfES1_PKPKS1_PKPS1_EviT_T9_T10_S9_lSB_S9_lSA_T11_S9_li
                                        ; -- End function
	.set _ZL29rocblas_internal_gemmt_kernelIiLi16ELi32ELi8ELc78ELc84ELc85ELb0ELb0E19rocblas_complex_numIfES1_PKPKS1_PKPS1_EviT_T9_T10_S9_lSB_S9_lSA_T11_S9_li.num_vgpr, 52
	.set _ZL29rocblas_internal_gemmt_kernelIiLi16ELi32ELi8ELc78ELc84ELc85ELb0ELb0E19rocblas_complex_numIfES1_PKPKS1_PKPS1_EviT_T9_T10_S9_lSB_S9_lSA_T11_S9_li.num_agpr, 0
	.set _ZL29rocblas_internal_gemmt_kernelIiLi16ELi32ELi8ELc78ELc84ELc85ELb0ELb0E19rocblas_complex_numIfES1_PKPKS1_PKPS1_EviT_T9_T10_S9_lSB_S9_lSA_T11_S9_li.numbered_sgpr, 32
	.set _ZL29rocblas_internal_gemmt_kernelIiLi16ELi32ELi8ELc78ELc84ELc85ELb0ELb0E19rocblas_complex_numIfES1_PKPKS1_PKPS1_EviT_T9_T10_S9_lSB_S9_lSA_T11_S9_li.num_named_barrier, 0
	.set _ZL29rocblas_internal_gemmt_kernelIiLi16ELi32ELi8ELc78ELc84ELc85ELb0ELb0E19rocblas_complex_numIfES1_PKPKS1_PKPS1_EviT_T9_T10_S9_lSB_S9_lSA_T11_S9_li.private_seg_size, 0
	.set _ZL29rocblas_internal_gemmt_kernelIiLi16ELi32ELi8ELc78ELc84ELc85ELb0ELb0E19rocblas_complex_numIfES1_PKPKS1_PKPS1_EviT_T9_T10_S9_lSB_S9_lSA_T11_S9_li.uses_vcc, 1
	.set _ZL29rocblas_internal_gemmt_kernelIiLi16ELi32ELi8ELc78ELc84ELc85ELb0ELb0E19rocblas_complex_numIfES1_PKPKS1_PKPS1_EviT_T9_T10_S9_lSB_S9_lSA_T11_S9_li.uses_flat_scratch, 0
	.set _ZL29rocblas_internal_gemmt_kernelIiLi16ELi32ELi8ELc78ELc84ELc85ELb0ELb0E19rocblas_complex_numIfES1_PKPKS1_PKPS1_EviT_T9_T10_S9_lSB_S9_lSA_T11_S9_li.has_dyn_sized_stack, 0
	.set _ZL29rocblas_internal_gemmt_kernelIiLi16ELi32ELi8ELc78ELc84ELc85ELb0ELb0E19rocblas_complex_numIfES1_PKPKS1_PKPS1_EviT_T9_T10_S9_lSB_S9_lSA_T11_S9_li.has_recursion, 0
	.set _ZL29rocblas_internal_gemmt_kernelIiLi16ELi32ELi8ELc78ELc84ELc85ELb0ELb0E19rocblas_complex_numIfES1_PKPKS1_PKPS1_EviT_T9_T10_S9_lSB_S9_lSA_T11_S9_li.has_indirect_call, 0
	.section	.AMDGPU.csdata,"",@progbits
; Kernel info:
; codeLenInByte = 2468
; TotalNumSgprs: 38
; NumVgprs: 52
; NumAgprs: 0
; TotalNumVgprs: 52
; ScratchSize: 0
; MemoryBound: 0
; FloatMode: 240
; IeeeMode: 1
; LDSByteSize: 4096 bytes/workgroup (compile time only)
; SGPRBlocks: 4
; VGPRBlocks: 6
; NumSGPRsForWavesPerEU: 38
; NumVGPRsForWavesPerEU: 52
; AccumOffset: 52
; Occupancy: 8
; WaveLimiterHint : 1
; COMPUTE_PGM_RSRC2:SCRATCH_EN: 0
; COMPUTE_PGM_RSRC2:USER_SGPR: 2
; COMPUTE_PGM_RSRC2:TRAP_HANDLER: 0
; COMPUTE_PGM_RSRC2:TGID_X_EN: 1
; COMPUTE_PGM_RSRC2:TGID_Y_EN: 1
; COMPUTE_PGM_RSRC2:TGID_Z_EN: 1
; COMPUTE_PGM_RSRC2:TIDIG_COMP_CNT: 1
; COMPUTE_PGM_RSRC3_GFX90A:ACCUM_OFFSET: 12
; COMPUTE_PGM_RSRC3_GFX90A:TG_SPLIT: 0
	.section	.text._ZL29rocblas_internal_gemmt_kernelIiLi16ELi32ELi8ELc78ELc67ELc85ELb0ELb1E19rocblas_complex_numIfES1_PKPKS1_PKPS1_EviT_T9_T10_S9_lSB_S9_lSA_T11_S9_li,"axG",@progbits,_ZL29rocblas_internal_gemmt_kernelIiLi16ELi32ELi8ELc78ELc67ELc85ELb0ELb1E19rocblas_complex_numIfES1_PKPKS1_PKPS1_EviT_T9_T10_S9_lSB_S9_lSA_T11_S9_li,comdat
	.globl	_ZL29rocblas_internal_gemmt_kernelIiLi16ELi32ELi8ELc78ELc67ELc85ELb0ELb1E19rocblas_complex_numIfES1_PKPKS1_PKPS1_EviT_T9_T10_S9_lSB_S9_lSA_T11_S9_li ; -- Begin function _ZL29rocblas_internal_gemmt_kernelIiLi16ELi32ELi8ELc78ELc67ELc85ELb0ELb1E19rocblas_complex_numIfES1_PKPKS1_PKPS1_EviT_T9_T10_S9_lSB_S9_lSA_T11_S9_li
	.p2align	8
	.type	_ZL29rocblas_internal_gemmt_kernelIiLi16ELi32ELi8ELc78ELc67ELc85ELb0ELb1E19rocblas_complex_numIfES1_PKPKS1_PKPS1_EviT_T9_T10_S9_lSB_S9_lSA_T11_S9_li,@function
_ZL29rocblas_internal_gemmt_kernelIiLi16ELi32ELi8ELc78ELc67ELc85ELb0ELb1E19rocblas_complex_numIfES1_PKPKS1_PKPS1_EviT_T9_T10_S9_lSB_S9_lSA_T11_S9_li: ; @_ZL29rocblas_internal_gemmt_kernelIiLi16ELi32ELi8ELc78ELc67ELc85ELb0ELb1E19rocblas_complex_numIfES1_PKPKS1_PKPS1_EviT_T9_T10_S9_lSB_S9_lSA_T11_S9_li
; %bb.0:
	s_load_dwordx2 s[6:7], s[0:1], 0x40
	s_load_dwordx4 s[8:11], s[0:1], 0x0
	s_waitcnt lgkmcnt(0)
	s_and_b32 s5, s7, 0x7fffffff
	s_cmp_eq_u32 s5, 0
	v_cmp_eq_f32_e64 s[14:15], s6, 1.0
	s_cselect_b64 s[12:13], -1, 0
	s_and_b64 s[14:15], s[14:15], s[12:13]
	s_and_b64 vcc, exec, s[14:15]
	s_cbranch_vccnz .LBB380_2
; %bb.1:
	s_mov_b64 s[14:15], -1
	s_cbranch_execz .LBB380_3
	s_branch .LBB380_4
.LBB380_2:
	s_mov_b64 s[14:15], 0
.LBB380_3:
	s_cmp_lg_u32 s9, 0
	v_cmp_neq_f32_e64 s[16:17], s10, 0
	v_cmp_neq_f32_e64 s[18:19], s11, 0
	s_cselect_b64 s[14:15], -1, 0
	s_or_b64 s[16:17], s[16:17], s[18:19]
	s_and_b64 s[14:15], s[14:15], s[16:17]
.LBB380_4:
	s_andn2_b64 vcc, exec, s[14:15]
	s_cbranch_vccnz .LBB380_30
; %bb.5:
	s_load_dwordx2 s[14:15], s[0:1], 0x48
	s_mov_b32 s5, 0
	s_lshl_b64 s[16:17], s[4:5], 3
	v_cmp_eq_f32_e64 s[18:19], s11, 0
	v_and_b32_e32 v13, 0x3ff, v0
	s_waitcnt lgkmcnt(0)
	s_add_u32 s14, s14, s16
	s_addc_u32 s15, s15, s17
	s_lshl_b32 s4, s2, 5
	s_lshl_b32 s22, s3, 5
	v_cmp_eq_f32_e64 s[2:3], s10, 0
	s_load_dwordx2 s[14:15], s[14:15], 0x0
	s_and_b64 s[2:3], s[2:3], s[18:19]
	s_cmp_lt_i32 s9, 1
	s_cselect_b64 s[18:19], -1, 0
	s_or_b64 s[2:3], s[2:3], s[18:19]
	v_bfe_u32 v15, v0, 10, 10
	v_mov_b32_e32 v24, 0
	s_and_b64 vcc, exec, s[2:3]
	v_mov_b32_e32 v26, 0
	v_mov_b32_e32 v20, 0
	;; [unrolled: 1-line block ×7, first 2 shown]
	s_cbranch_vccnz .LBB380_14
; %bb.6:
	s_load_dwordx2 s[2:3], s[0:1], 0x10
	s_load_dword s18, s[0:1], 0x18
	s_load_dwordx4 s[24:27], s[0:1], 0x20
	s_load_dword s20, s[0:1], 0x30
	v_lshl_add_u32 v1, v15, 4, v13
	v_and_b32_e32 v4, 31, v1
	s_waitcnt lgkmcnt(0)
	s_ashr_i32 s19, s18, 31
	v_lshrrev_b32_e32 v19, 5, v1
	s_ashr_i32 s21, s20, 31
	s_add_u32 s26, s26, s16
	s_addc_u32 s27, s27, s17
	v_lshrrev_b32_e32 v2, 3, v1
	v_or_b32_e32 v1, s4, v4
	s_add_u32 s2, s2, s16
	v_and_b32_e32 v17, 7, v13
	s_addc_u32 s3, s3, s17
	v_cmp_gt_i32_e32 vcc, s8, v1
	v_lshlrev_b32_e32 v1, 3, v4
	s_load_dwordx2 s[16:17], s[2:3], 0x0
	v_lshl_or_b32 v21, v19, 8, v1
	v_lshlrev_b32_e32 v1, 3, v17
	s_load_dwordx2 s[28:29], s[0:1], 0x38
	v_add_u32_e32 v0, s22, v2
	v_lshl_or_b32 v1, v2, 6, v1
	v_mov_b32_e32 v2, 0x800
	v_lshl_add_u32 v27, v15, 6, v2
	v_mad_i64_i32 v[2:3], s[30:31], v19, s18, 0
	s_lshl_b64 s[24:25], s[24:25], 3
	v_add_u32_e32 v4, s4, v4
	v_lshl_add_u64 v[2:3], v[2:3], 3, s[24:25]
	v_ashrrev_i32_e32 v5, 31, v4
	s_load_dwordx2 s[26:27], s[26:27], 0x0
	v_lshl_add_u64 v[2:3], v[4:5], 3, v[2:3]
	s_waitcnt lgkmcnt(0)
	v_lshl_add_u64 v[8:9], s[16:17], 0, v[2:3]
	s_lshl_b64 s[16:17], s[18:19], 6
	v_mad_i64_i32 v[2:3], s[18:19], s20, v17, 0
	s_lshl_b64 s[18:19], s[28:29], 3
	v_add_u32_e32 v23, 0x800, v1
	v_ashrrev_i32_e32 v1, 31, v0
	v_lshl_add_u64 v[2:3], v[2:3], 3, s[18:19]
	v_cmp_gt_i32_e64 s[2:3], s8, v0
	v_lshl_add_u64 v[0:1], v[0:1], 3, v[2:3]
	v_lshlrev_b32_e32 v25, 3, v13
	v_lshl_add_u64 v[10:11], s[26:27], 0, v[0:1]
	s_lshl_b64 s[18:19], s[20:21], 6
	v_mov_b32_e32 v28, 0
	s_xor_b64 s[20:21], s[2:3], -1
	v_mov_b32_e32 v14, 0
	v_mov_b32_e32 v12, 0
	;; [unrolled: 1-line block ×8, first 2 shown]
	s_branch .LBB380_8
.LBB380_7:                              ;   in Loop: Header=BB380_8 Depth=1
	s_or_b64 exec, exec, s[2:3]
	ds_write_b32 v23, v0 offset:4
	s_waitcnt lgkmcnt(0)
	s_barrier
	ds_read2_b64 v[30:33], v25 offset1:16
	ds_read_b128 v[34:37], v27
	ds_read_b128 v[38:41], v27 offset:16
	ds_read_b128 v[4:7], v27 offset:32
	ds_read_b128 v[0:3], v27 offset:48
	ds_read2_b64 v[50:53], v25 offset0:32 offset1:48
	s_waitcnt lgkmcnt(4)
	v_mul_f32_e32 v42, v34, v31
	v_fmac_f32_e32 v42, v35, v30
	v_add_f32_e32 v26, v26, v42
	ds_read_b128 v[42:45], v27 offset:1024
	ds_read_b128 v[46:49], v27 offset:1040
	v_mul_f32_e32 v29, v35, v31
	v_fma_f32 v29, v34, v30, -v29
	v_add_f32_e32 v24, v24, v29
	v_mul_f32_e32 v29, v35, v33
	v_fma_f32 v29, v34, v32, -v29
	v_add_f32_e32 v20, v20, v29
	s_waitcnt lgkmcnt(1)
	v_mul_f32_e32 v29, v43, v31
	v_mul_f32_e32 v31, v42, v31
	v_fma_f32 v29, v42, v30, -v29
	v_fmac_f32_e32 v31, v43, v30
	v_mul_f32_e32 v30, v42, v33
	v_fmac_f32_e32 v30, v43, v32
	v_add_f32_e32 v14, v14, v30
	v_mul_f32_e32 v30, v36, v51
	v_mul_f32_e32 v34, v34, v33
	v_fmac_f32_e32 v30, v37, v50
	v_fmac_f32_e32 v34, v35, v32
	v_add_f32_e32 v26, v26, v30
	v_mul_f32_e32 v30, v36, v53
	v_add_f32_e32 v22, v22, v34
	v_add_f32_e32 v16, v16, v29
	v_mul_f32_e32 v29, v43, v33
	v_fmac_f32_e32 v30, v37, v52
	v_fma_f32 v29, v42, v32, -v29
	v_add_f32_e32 v22, v22, v30
	v_mul_f32_e32 v30, v44, v51
	v_add_f32_e32 v18, v18, v31
	v_add_f32_e32 v12, v12, v29
	v_mul_f32_e32 v29, v37, v51
	v_fmac_f32_e32 v30, v45, v50
	v_fma_f32 v29, v36, v50, -v29
	v_add_f32_e32 v18, v18, v30
	ds_read2_b64 v[30:33], v25 offset0:64 offset1:80
	v_add_f32_e32 v24, v24, v29
	v_mul_f32_e32 v29, v37, v53
	v_fma_f32 v29, v36, v52, -v29
	v_add_f32_e32 v20, v20, v29
	v_mul_f32_e32 v29, v45, v51
	v_mul_f32_e32 v34, v44, v53
	v_fma_f32 v29, v44, v50, -v29
	v_fmac_f32_e32 v34, v45, v52
	v_add_f32_e32 v16, v16, v29
	v_mul_f32_e32 v29, v45, v53
	v_add_f32_e32 v14, v14, v34
	s_waitcnt lgkmcnt(0)
	v_mul_f32_e32 v34, v38, v31
	v_fma_f32 v29, v44, v52, -v29
	v_fmac_f32_e32 v34, v39, v30
	v_add_f32_e32 v12, v12, v29
	v_mul_f32_e32 v29, v39, v31
	v_add_f32_e32 v26, v26, v34
	v_mul_f32_e32 v34, v38, v33
	v_fma_f32 v29, v38, v30, -v29
	v_fmac_f32_e32 v34, v39, v32
	v_add_f32_e32 v24, v24, v29
	v_mul_f32_e32 v29, v39, v33
	v_add_f32_e32 v22, v22, v34
	ds_read2_b64 v[34:37], v25 offset0:96 offset1:112
	v_fma_f32 v29, v38, v32, -v29
	v_add_f32_e32 v20, v20, v29
	v_mul_f32_e32 v29, v47, v31
	v_mul_f32_e32 v31, v46, v31
	v_fma_f32 v29, v46, v30, -v29
	v_fmac_f32_e32 v31, v47, v30
	v_mul_f32_e32 v30, v46, v33
	v_fmac_f32_e32 v30, v47, v32
	v_add_f32_e32 v14, v14, v30
	s_waitcnt lgkmcnt(0)
	v_mul_f32_e32 v30, v40, v35
	v_fmac_f32_e32 v30, v41, v34
	v_add_f32_e32 v16, v16, v29
	v_mul_f32_e32 v29, v47, v33
	v_add_f32_e32 v26, v26, v30
	v_mul_f32_e32 v30, v40, v37
	v_fma_f32 v29, v46, v32, -v29
	v_fmac_f32_e32 v30, v41, v36
	v_add_f32_e32 v12, v12, v29
	v_mul_f32_e32 v29, v41, v35
	v_add_f32_e32 v22, v22, v30
	v_mul_f32_e32 v30, v48, v35
	v_add_f32_e32 v18, v18, v31
	v_fma_f32 v29, v40, v34, -v29
	v_fmac_f32_e32 v30, v49, v34
	v_add_f32_e32 v24, v24, v29
	v_mul_f32_e32 v29, v41, v37
	v_add_f32_e32 v18, v18, v30
	ds_read2_b64 v[30:33], v25 offset0:128 offset1:144
	v_fma_f32 v29, v40, v36, -v29
	v_add_f32_e32 v20, v20, v29
	v_mul_f32_e32 v29, v49, v35
	v_fma_f32 v29, v48, v34, -v29
	v_mul_f32_e32 v34, v48, v37
	v_fmac_f32_e32 v34, v49, v36
	v_add_f32_e32 v14, v14, v34
	s_waitcnt lgkmcnt(0)
	v_mul_f32_e32 v34, v4, v31
	v_add_f32_e32 v16, v16, v29
	v_mul_f32_e32 v29, v49, v37
	v_fmac_f32_e32 v34, v5, v30
	v_fma_f32 v29, v48, v36, -v29
	v_add_f32_e32 v26, v26, v34
	ds_read_b128 v[34:37], v27 offset:1056
	ds_read_b128 v[38:41], v27 offset:1072
	v_add_f32_e32 v12, v12, v29
	v_mul_f32_e32 v29, v5, v31
	v_fma_f32 v29, v4, v30, -v29
	v_add_f32_e32 v24, v24, v29
	v_mul_f32_e32 v29, v5, v33
	v_fma_f32 v29, v4, v32, -v29
	v_mul_f32_e32 v4, v4, v33
	ds_read2_b64 v[42:45], v25 offset0:160 offset1:176
	v_fmac_f32_e32 v4, v5, v32
	v_add_f32_e32 v5, v20, v29
	s_waitcnt lgkmcnt(2)
	v_mul_f32_e32 v20, v35, v31
	v_fma_f32 v20, v34, v30, -v20
	v_add_f32_e32 v16, v16, v20
	v_mul_f32_e32 v20, v35, v33
	v_add_f32_e32 v4, v22, v4
	v_mul_f32_e32 v22, v34, v31
	v_fma_f32 v20, v34, v32, -v20
	v_fmac_f32_e32 v22, v35, v30
	v_add_f32_e32 v12, v12, v20
	s_waitcnt lgkmcnt(0)
	v_mul_f32_e32 v20, v7, v43
	v_add_f32_e32 v18, v18, v22
	v_mul_f32_e32 v22, v34, v33
	v_fma_f32 v20, v6, v42, -v20
	v_fmac_f32_e32 v22, v35, v32
	v_add_f32_e32 v20, v24, v20
	v_mul_f32_e32 v24, v7, v45
	v_add_f32_e32 v14, v14, v22
	v_mul_f32_e32 v22, v6, v43
	v_fma_f32 v24, v6, v44, -v24
	v_mul_f32_e32 v6, v6, v45
	v_fmac_f32_e32 v22, v7, v42
	v_fmac_f32_e32 v6, v7, v44
	v_add_f32_e32 v22, v26, v22
	v_add_f32_e32 v26, v4, v6
	v_mul_f32_e32 v4, v37, v43
	v_add_f32_e32 v24, v5, v24
	v_fma_f32 v4, v36, v42, -v4
	v_mul_f32_e32 v5, v36, v43
	v_fmac_f32_e32 v5, v37, v42
	v_add_f32_e32 v16, v16, v4
	v_mul_f32_e32 v4, v37, v45
	v_add_f32_e32 v18, v18, v5
	v_fma_f32 v29, v36, v44, -v4
	ds_read2_b64 v[4:7], v25 offset0:192 offset1:208
	v_mul_f32_e32 v30, v36, v45
	v_fmac_f32_e32 v30, v37, v44
	v_add_f32_e32 v12, v12, v29
	v_add_f32_e32 v14, v14, v30
	s_waitcnt lgkmcnt(0)
	v_mul_f32_e32 v29, v1, v5
	v_fma_f32 v29, v0, v4, -v29
	v_mul_f32_e32 v30, v0, v5
	v_fmac_f32_e32 v30, v1, v4
	v_add_f32_e32 v20, v20, v29
	v_mul_f32_e32 v29, v1, v7
	v_add_f32_e32 v22, v22, v30
	v_fma_f32 v29, v0, v6, -v29
	v_mul_f32_e32 v0, v0, v7
	ds_read2_b64 v[30:33], v25 offset0:224 offset1:240
	v_fmac_f32_e32 v0, v1, v6
	v_add_f32_e32 v1, v24, v29
	v_mul_f32_e32 v24, v39, v5
	v_fma_f32 v24, v38, v4, -v24
	v_mul_f32_e32 v5, v38, v5
	v_fmac_f32_e32 v5, v39, v4
	v_add_f32_e32 v4, v16, v24
	v_mul_f32_e32 v16, v39, v7
	v_fma_f32 v16, v38, v6, -v16
	v_mul_f32_e32 v7, v38, v7
	v_fmac_f32_e32 v7, v39, v6
	v_add_f32_e32 v6, v12, v16
	s_waitcnt lgkmcnt(0)
	v_mul_f32_e32 v12, v3, v31
	v_fma_f32 v12, v2, v30, -v12
	v_add_f32_e32 v24, v20, v12
	v_mul_f32_e32 v12, v3, v33
	v_add_f32_e32 v7, v14, v7
	v_mul_f32_e32 v14, v2, v31
	v_fma_f32 v12, v2, v32, -v12
	v_mul_f32_e32 v2, v2, v33
	v_add_f32_e32 v0, v26, v0
	v_fmac_f32_e32 v14, v3, v30
	v_fmac_f32_e32 v2, v3, v32
	v_add_f32_e32 v26, v22, v14
	v_add_f32_e32 v20, v1, v12
	;; [unrolled: 1-line block ×3, first 2 shown]
	v_mul_f32_e32 v0, v41, v31
	v_mul_f32_e32 v1, v40, v31
	v_add_f32_e32 v5, v18, v5
	v_fma_f32 v0, v40, v30, -v0
	v_fmac_f32_e32 v1, v41, v30
	v_add_f32_e32 v16, v4, v0
	v_add_f32_e32 v18, v5, v1
	v_mul_f32_e32 v0, v41, v33
	v_mul_f32_e32 v1, v40, v33
	v_fma_f32 v0, v40, v32, -v0
	v_fmac_f32_e32 v1, v41, v32
	s_add_i32 s5, s5, 8
	v_add_f32_e32 v12, v6, v0
	v_add_f32_e32 v14, v7, v1
	v_lshl_add_u64 v[8:9], v[8:9], 0, s[16:17]
	s_cmp_lt_i32 s5, s9
	v_lshl_add_u64 v[10:11], v[10:11], 0, s[18:19]
	s_barrier
	s_cbranch_scc0 .LBB380_14
.LBB380_8:                              ; =>This Inner Loop Header: Depth=1
	v_add_u32_e32 v0, s5, v19
	v_cmp_gt_i32_e64 s[2:3], s9, v0
	s_and_b64 s[24:25], vcc, s[2:3]
	v_mov_b32_e32 v0, 0
	v_mov_b32_e32 v1, 0
	s_and_saveexec_b64 s[2:3], s[24:25]
	s_cbranch_execz .LBB380_10
; %bb.9:                                ;   in Loop: Header=BB380_8 Depth=1
	flat_load_dwordx2 v[0:1], v[8:9]
.LBB380_10:                             ;   in Loop: Header=BB380_8 Depth=1
	s_or_b64 exec, exec, s[2:3]
	s_waitcnt vmcnt(0) lgkmcnt(0)
	ds_write_b64 v21, v[0:1]
	v_add_u32_e32 v0, s5, v17
	v_cmp_le_i32_e64 s[2:3], s9, v0
	s_or_b64 s[2:3], s[2:3], s[20:21]
	s_and_saveexec_b64 s[24:25], s[2:3]
	s_xor_b64 s[2:3], exec, s[24:25]
; %bb.11:                               ;   in Loop: Header=BB380_8 Depth=1
	ds_write_b32 v23, v28
; %bb.12:                               ;   in Loop: Header=BB380_8 Depth=1
	s_or_saveexec_b64 s[2:3], s[2:3]
	v_mov_b32_e32 v0, 0
	s_xor_b64 exec, exec, s[2:3]
	s_cbranch_execz .LBB380_7
; %bb.13:                               ;   in Loop: Header=BB380_8 Depth=1
	flat_load_dwordx2 v[2:3], v[10:11]
	s_waitcnt vmcnt(0) lgkmcnt(0)
	v_xor_b32_e32 v0, 0x80000000, v3
	ds_write_b32 v23, v2
	s_branch .LBB380_7
.LBB380_14:
	s_load_dwordx2 s[2:3], s[0:1], 0x58
	s_load_dword s9, s[0:1], 0x50
	v_add_u32_e32 v0, s4, v13
	v_add_u32_e32 v10, s22, v15
	v_cmp_neq_f32_e64 s[0:1], s6, 0
	s_waitcnt lgkmcnt(0)
	s_lshl_b64 s[2:3], s[2:3], 3
	s_add_u32 s4, s14, s2
	s_addc_u32 s5, s15, s3
	s_xor_b64 s[12:13], s[12:13], -1
	v_mad_i64_i32 v[2:3], s[14:15], v10, s9, 0
	s_or_b64 s[0:1], s[0:1], s[12:13]
	v_cmp_gt_i32_e64 s[2:3], s8, v10
	v_lshl_add_u64 v[4:5], v[2:3], 3, s[4:5]
	v_cmp_le_i32_e32 vcc, v0, v10
	v_cndmask_b32_e64 v2, 0, 1, s[0:1]
	s_and_b64 s[14:15], s[2:3], vcc
	v_ashrrev_i32_e32 v1, 31, v0
	v_cmp_ne_u32_e64 s[0:1], 1, v2
	s_and_saveexec_b64 s[12:13], s[14:15]
	s_cbranch_execz .LBB380_18
; %bb.15:
	v_pk_mul_f32 v[6:7], v[26:27], s[10:11] op_sel:[0,1] op_sel_hi:[0,0]
	v_pk_fma_f32 v[2:3], v[24:25], s[10:11], v[6:7] op_sel_hi:[0,1,1] neg_lo:[0,0,1] neg_hi:[0,0,1]
	v_pk_fma_f32 v[8:9], v[24:25], s[10:11], v[6:7] op_sel_hi:[0,1,1]
	s_and_b64 vcc, exec, s[0:1]
	v_lshl_add_u64 v[6:7], v[0:1], 3, v[4:5]
	s_cbranch_vccnz .LBB380_17
; %bb.16:
	flat_load_dwordx2 v[24:25], v[6:7]
	s_mov_b32 s14, s7
	v_mov_b32_e32 v3, v9
	s_waitcnt vmcnt(0) lgkmcnt(0)
	v_pk_mul_f32 v[8:9], v[24:25], s[14:15] op_sel:[1,0] op_sel_hi:[0,0]
	v_pk_fma_f32 v[26:27], v[24:25], s[6:7], v[8:9] neg_lo:[0,0,1] neg_hi:[0,0,1]
	v_pk_fma_f32 v[8:9], v[24:25], s[6:7], v[8:9] op_sel_hi:[1,0,1]
	s_nop 0
	v_mov_b32_e32 v27, v9
	v_pk_add_f32 v[2:3], v[2:3], v[26:27]
	s_nop 0
	v_mov_b32_e32 v9, v3
.LBB380_17:
	v_mov_b32_e32 v3, v9
	flat_store_dwordx2 v[6:7], v[2:3]
.LBB380_18:
	s_or_b64 exec, exec, s[12:13]
	v_add_u32_e32 v2, 16, v0
	v_cmp_le_i32_e32 vcc, v2, v10
	s_and_b64 s[12:13], s[2:3], vcc
	v_ashrrev_i32_e32 v3, 31, v2
	s_and_saveexec_b64 s[2:3], s[12:13]
	s_cbranch_execz .LBB380_22
; %bb.19:
	v_pk_mul_f32 v[8:9], v[22:23], s[10:11] op_sel:[0,1] op_sel_hi:[0,0]
	v_pk_fma_f32 v[6:7], v[20:21], s[10:11], v[8:9] op_sel_hi:[0,1,1] neg_lo:[0,0,1] neg_hi:[0,0,1]
	v_pk_fma_f32 v[8:9], v[20:21], s[10:11], v[8:9] op_sel_hi:[0,1,1]
	s_and_b64 vcc, exec, s[0:1]
	v_lshl_add_u64 v[4:5], v[2:3], 3, v[4:5]
	s_cbranch_vccnz .LBB380_21
; %bb.20:
	flat_load_dwordx2 v[20:21], v[4:5]
	s_mov_b32 s12, s7
	v_mov_b32_e32 v7, v9
	s_waitcnt vmcnt(0) lgkmcnt(0)
	v_pk_mul_f32 v[8:9], v[20:21], s[12:13] op_sel:[1,0] op_sel_hi:[0,0]
	v_pk_fma_f32 v[22:23], v[20:21], s[6:7], v[8:9] neg_lo:[0,0,1] neg_hi:[0,0,1]
	v_pk_fma_f32 v[8:9], v[20:21], s[6:7], v[8:9] op_sel_hi:[1,0,1]
	s_nop 0
	v_mov_b32_e32 v23, v9
	v_pk_add_f32 v[6:7], v[6:7], v[22:23]
	s_nop 0
	v_mov_b32_e32 v9, v7
.LBB380_21:
	v_mov_b32_e32 v7, v9
	flat_store_dwordx2 v[4:5], v[6:7]
.LBB380_22:
	s_or_b64 exec, exec, s[2:3]
	v_add_u32_e32 v10, 16, v10
	v_cmp_gt_i32_e64 s[2:3], s8, v10
	v_mad_i64_i32 v[4:5], s[8:9], v10, s9, 0
	v_cmp_le_i32_e32 vcc, v0, v10
	v_lshl_add_u64 v[4:5], v[4:5], 3, s[4:5]
	s_and_b64 s[8:9], s[2:3], vcc
	s_and_saveexec_b64 s[4:5], s[8:9]
	s_cbranch_execz .LBB380_26
; %bb.23:
	v_pk_mul_f32 v[8:9], v[18:19], s[10:11] op_sel:[0,1] op_sel_hi:[0,0]
	v_pk_fma_f32 v[6:7], v[16:17], s[10:11], v[8:9] op_sel_hi:[0,1,1] neg_lo:[0,0,1] neg_hi:[0,0,1]
	v_pk_fma_f32 v[8:9], v[16:17], s[10:11], v[8:9] op_sel_hi:[0,1,1]
	s_and_b64 vcc, exec, s[0:1]
	v_lshl_add_u64 v[0:1], v[0:1], 3, v[4:5]
	s_cbranch_vccnz .LBB380_25
; %bb.24:
	flat_load_dwordx2 v[16:17], v[0:1]
	s_mov_b32 s8, s7
	v_mov_b32_e32 v7, v9
	s_waitcnt vmcnt(0) lgkmcnt(0)
	v_pk_mul_f32 v[8:9], v[16:17], s[8:9] op_sel:[1,0] op_sel_hi:[0,0]
	v_pk_fma_f32 v[18:19], v[16:17], s[6:7], v[8:9] neg_lo:[0,0,1] neg_hi:[0,0,1]
	v_pk_fma_f32 v[8:9], v[16:17], s[6:7], v[8:9] op_sel_hi:[1,0,1]
	s_nop 0
	v_mov_b32_e32 v19, v9
	v_pk_add_f32 v[6:7], v[6:7], v[18:19]
	s_nop 0
	v_mov_b32_e32 v9, v7
.LBB380_25:
	v_mov_b32_e32 v7, v9
	flat_store_dwordx2 v[0:1], v[6:7]
.LBB380_26:
	s_or_b64 exec, exec, s[4:5]
	v_cmp_le_i32_e32 vcc, v2, v10
	s_and_b64 s[2:3], s[2:3], vcc
	s_and_saveexec_b64 s[4:5], s[2:3]
	s_cbranch_execz .LBB380_30
; %bb.27:
	v_pk_mul_f32 v[6:7], v[14:15], s[10:11] op_sel:[0,1] op_sel_hi:[0,0]
	v_pk_fma_f32 v[0:1], v[12:13], s[10:11], v[6:7] op_sel_hi:[0,1,1] neg_lo:[0,0,1] neg_hi:[0,0,1]
	v_pk_fma_f32 v[6:7], v[12:13], s[10:11], v[6:7] op_sel_hi:[0,1,1]
	s_and_b64 vcc, exec, s[0:1]
	v_lshl_add_u64 v[2:3], v[2:3], 3, v[4:5]
	s_cbranch_vccnz .LBB380_29
; %bb.28:
	flat_load_dwordx2 v[4:5], v[2:3]
	s_mov_b32 s0, s7
	v_mov_b32_e32 v1, v7
	s_waitcnt vmcnt(0) lgkmcnt(0)
	v_pk_mul_f32 v[6:7], v[4:5], s[0:1] op_sel:[1,0] op_sel_hi:[0,0]
	v_pk_fma_f32 v[8:9], v[4:5], s[6:7], v[6:7] neg_lo:[0,0,1] neg_hi:[0,0,1]
	v_pk_fma_f32 v[4:5], v[4:5], s[6:7], v[6:7] op_sel_hi:[1,0,1]
	s_nop 0
	v_mov_b32_e32 v9, v5
	v_pk_add_f32 v[0:1], v[0:1], v[8:9]
	s_nop 0
	v_mov_b32_e32 v7, v1
.LBB380_29:
	v_mov_b32_e32 v1, v7
	flat_store_dwordx2 v[2:3], v[0:1]
.LBB380_30:
	s_endpgm
	.section	.rodata,"a",@progbits
	.p2align	6, 0x0
	.amdhsa_kernel _ZL29rocblas_internal_gemmt_kernelIiLi16ELi32ELi8ELc78ELc67ELc85ELb0ELb1E19rocblas_complex_numIfES1_PKPKS1_PKPS1_EviT_T9_T10_S9_lSB_S9_lSA_T11_S9_li
		.amdhsa_group_segment_fixed_size 4096
		.amdhsa_private_segment_fixed_size 0
		.amdhsa_kernarg_size 100
		.amdhsa_user_sgpr_count 2
		.amdhsa_user_sgpr_dispatch_ptr 0
		.amdhsa_user_sgpr_queue_ptr 0
		.amdhsa_user_sgpr_kernarg_segment_ptr 1
		.amdhsa_user_sgpr_dispatch_id 0
		.amdhsa_user_sgpr_kernarg_preload_length 0
		.amdhsa_user_sgpr_kernarg_preload_offset 0
		.amdhsa_user_sgpr_private_segment_size 0
		.amdhsa_uses_dynamic_stack 0
		.amdhsa_enable_private_segment 0
		.amdhsa_system_sgpr_workgroup_id_x 1
		.amdhsa_system_sgpr_workgroup_id_y 1
		.amdhsa_system_sgpr_workgroup_id_z 1
		.amdhsa_system_sgpr_workgroup_info 0
		.amdhsa_system_vgpr_workitem_id 1
		.amdhsa_next_free_vgpr 54
		.amdhsa_next_free_sgpr 32
		.amdhsa_accum_offset 56
		.amdhsa_reserve_vcc 1
		.amdhsa_float_round_mode_32 0
		.amdhsa_float_round_mode_16_64 0
		.amdhsa_float_denorm_mode_32 3
		.amdhsa_float_denorm_mode_16_64 3
		.amdhsa_dx10_clamp 1
		.amdhsa_ieee_mode 1
		.amdhsa_fp16_overflow 0
		.amdhsa_tg_split 0
		.amdhsa_exception_fp_ieee_invalid_op 0
		.amdhsa_exception_fp_denorm_src 0
		.amdhsa_exception_fp_ieee_div_zero 0
		.amdhsa_exception_fp_ieee_overflow 0
		.amdhsa_exception_fp_ieee_underflow 0
		.amdhsa_exception_fp_ieee_inexact 0
		.amdhsa_exception_int_div_zero 0
	.end_amdhsa_kernel
	.section	.text._ZL29rocblas_internal_gemmt_kernelIiLi16ELi32ELi8ELc78ELc67ELc85ELb0ELb1E19rocblas_complex_numIfES1_PKPKS1_PKPS1_EviT_T9_T10_S9_lSB_S9_lSA_T11_S9_li,"axG",@progbits,_ZL29rocblas_internal_gemmt_kernelIiLi16ELi32ELi8ELc78ELc67ELc85ELb0ELb1E19rocblas_complex_numIfES1_PKPKS1_PKPS1_EviT_T9_T10_S9_lSB_S9_lSA_T11_S9_li,comdat
.Lfunc_end380:
	.size	_ZL29rocblas_internal_gemmt_kernelIiLi16ELi32ELi8ELc78ELc67ELc85ELb0ELb1E19rocblas_complex_numIfES1_PKPKS1_PKPS1_EviT_T9_T10_S9_lSB_S9_lSA_T11_S9_li, .Lfunc_end380-_ZL29rocblas_internal_gemmt_kernelIiLi16ELi32ELi8ELc78ELc67ELc85ELb0ELb1E19rocblas_complex_numIfES1_PKPKS1_PKPS1_EviT_T9_T10_S9_lSB_S9_lSA_T11_S9_li
                                        ; -- End function
	.set _ZL29rocblas_internal_gemmt_kernelIiLi16ELi32ELi8ELc78ELc67ELc85ELb0ELb1E19rocblas_complex_numIfES1_PKPKS1_PKPS1_EviT_T9_T10_S9_lSB_S9_lSA_T11_S9_li.num_vgpr, 54
	.set _ZL29rocblas_internal_gemmt_kernelIiLi16ELi32ELi8ELc78ELc67ELc85ELb0ELb1E19rocblas_complex_numIfES1_PKPKS1_PKPS1_EviT_T9_T10_S9_lSB_S9_lSA_T11_S9_li.num_agpr, 0
	.set _ZL29rocblas_internal_gemmt_kernelIiLi16ELi32ELi8ELc78ELc67ELc85ELb0ELb1E19rocblas_complex_numIfES1_PKPKS1_PKPS1_EviT_T9_T10_S9_lSB_S9_lSA_T11_S9_li.numbered_sgpr, 32
	.set _ZL29rocblas_internal_gemmt_kernelIiLi16ELi32ELi8ELc78ELc67ELc85ELb0ELb1E19rocblas_complex_numIfES1_PKPKS1_PKPS1_EviT_T9_T10_S9_lSB_S9_lSA_T11_S9_li.num_named_barrier, 0
	.set _ZL29rocblas_internal_gemmt_kernelIiLi16ELi32ELi8ELc78ELc67ELc85ELb0ELb1E19rocblas_complex_numIfES1_PKPKS1_PKPS1_EviT_T9_T10_S9_lSB_S9_lSA_T11_S9_li.private_seg_size, 0
	.set _ZL29rocblas_internal_gemmt_kernelIiLi16ELi32ELi8ELc78ELc67ELc85ELb0ELb1E19rocblas_complex_numIfES1_PKPKS1_PKPS1_EviT_T9_T10_S9_lSB_S9_lSA_T11_S9_li.uses_vcc, 1
	.set _ZL29rocblas_internal_gemmt_kernelIiLi16ELi32ELi8ELc78ELc67ELc85ELb0ELb1E19rocblas_complex_numIfES1_PKPKS1_PKPS1_EviT_T9_T10_S9_lSB_S9_lSA_T11_S9_li.uses_flat_scratch, 0
	.set _ZL29rocblas_internal_gemmt_kernelIiLi16ELi32ELi8ELc78ELc67ELc85ELb0ELb1E19rocblas_complex_numIfES1_PKPKS1_PKPS1_EviT_T9_T10_S9_lSB_S9_lSA_T11_S9_li.has_dyn_sized_stack, 0
	.set _ZL29rocblas_internal_gemmt_kernelIiLi16ELi32ELi8ELc78ELc67ELc85ELb0ELb1E19rocblas_complex_numIfES1_PKPKS1_PKPS1_EviT_T9_T10_S9_lSB_S9_lSA_T11_S9_li.has_recursion, 0
	.set _ZL29rocblas_internal_gemmt_kernelIiLi16ELi32ELi8ELc78ELc67ELc85ELb0ELb1E19rocblas_complex_numIfES1_PKPKS1_PKPS1_EviT_T9_T10_S9_lSB_S9_lSA_T11_S9_li.has_indirect_call, 0
	.section	.AMDGPU.csdata,"",@progbits
; Kernel info:
; codeLenInByte = 2508
; TotalNumSgprs: 38
; NumVgprs: 54
; NumAgprs: 0
; TotalNumVgprs: 54
; ScratchSize: 0
; MemoryBound: 0
; FloatMode: 240
; IeeeMode: 1
; LDSByteSize: 4096 bytes/workgroup (compile time only)
; SGPRBlocks: 4
; VGPRBlocks: 6
; NumSGPRsForWavesPerEU: 38
; NumVGPRsForWavesPerEU: 54
; AccumOffset: 56
; Occupancy: 8
; WaveLimiterHint : 1
; COMPUTE_PGM_RSRC2:SCRATCH_EN: 0
; COMPUTE_PGM_RSRC2:USER_SGPR: 2
; COMPUTE_PGM_RSRC2:TRAP_HANDLER: 0
; COMPUTE_PGM_RSRC2:TGID_X_EN: 1
; COMPUTE_PGM_RSRC2:TGID_Y_EN: 1
; COMPUTE_PGM_RSRC2:TGID_Z_EN: 1
; COMPUTE_PGM_RSRC2:TIDIG_COMP_CNT: 1
; COMPUTE_PGM_RSRC3_GFX90A:ACCUM_OFFSET: 13
; COMPUTE_PGM_RSRC3_GFX90A:TG_SPLIT: 0
	.section	.text._ZL29rocblas_internal_gemmt_kernelIiLi16ELi32ELi8ELc84ELc78ELc85ELb0ELb0E19rocblas_complex_numIfES1_PKPKS1_PKPS1_EviT_T9_T10_S9_lSB_S9_lSA_T11_S9_li,"axG",@progbits,_ZL29rocblas_internal_gemmt_kernelIiLi16ELi32ELi8ELc84ELc78ELc85ELb0ELb0E19rocblas_complex_numIfES1_PKPKS1_PKPS1_EviT_T9_T10_S9_lSB_S9_lSA_T11_S9_li,comdat
	.globl	_ZL29rocblas_internal_gemmt_kernelIiLi16ELi32ELi8ELc84ELc78ELc85ELb0ELb0E19rocblas_complex_numIfES1_PKPKS1_PKPS1_EviT_T9_T10_S9_lSB_S9_lSA_T11_S9_li ; -- Begin function _ZL29rocblas_internal_gemmt_kernelIiLi16ELi32ELi8ELc84ELc78ELc85ELb0ELb0E19rocblas_complex_numIfES1_PKPKS1_PKPS1_EviT_T9_T10_S9_lSB_S9_lSA_T11_S9_li
	.p2align	8
	.type	_ZL29rocblas_internal_gemmt_kernelIiLi16ELi32ELi8ELc84ELc78ELc85ELb0ELb0E19rocblas_complex_numIfES1_PKPKS1_PKPS1_EviT_T9_T10_S9_lSB_S9_lSA_T11_S9_li,@function
_ZL29rocblas_internal_gemmt_kernelIiLi16ELi32ELi8ELc84ELc78ELc85ELb0ELb0E19rocblas_complex_numIfES1_PKPKS1_PKPS1_EviT_T9_T10_S9_lSB_S9_lSA_T11_S9_li: ; @_ZL29rocblas_internal_gemmt_kernelIiLi16ELi32ELi8ELc84ELc78ELc85ELb0ELb0E19rocblas_complex_numIfES1_PKPKS1_PKPS1_EviT_T9_T10_S9_lSB_S9_lSA_T11_S9_li
; %bb.0:
	s_load_dwordx2 s[12:13], s[0:1], 0x40
	s_load_dwordx4 s[8:11], s[0:1], 0x0
	s_waitcnt lgkmcnt(0)
	s_and_b32 s5, s13, 0x7fffffff
	s_cmp_eq_u32 s5, 0
	v_cmp_eq_f32_e64 s[6:7], s12, 1.0
	s_cselect_b64 s[14:15], -1, 0
	s_and_b64 s[6:7], s[6:7], s[14:15]
	s_and_b64 vcc, exec, s[6:7]
	s_cbranch_vccnz .LBB381_2
; %bb.1:
	s_mov_b64 s[6:7], -1
	s_cbranch_execz .LBB381_3
	s_branch .LBB381_4
.LBB381_2:
	s_mov_b64 s[6:7], 0
.LBB381_3:
	s_cmp_lg_u32 s9, 0
	v_cmp_neq_f32_e64 s[16:17], s10, 0
	v_cmp_neq_f32_e64 s[18:19], s11, 0
	s_cselect_b64 s[6:7], -1, 0
	s_or_b64 s[16:17], s[16:17], s[18:19]
	s_and_b64 s[6:7], s[6:7], s[16:17]
.LBB381_4:
	s_andn2_b64 vcc, exec, s[6:7]
	s_cbranch_vccnz .LBB381_28
; %bb.5:
	s_load_dwordx2 s[16:17], s[0:1], 0x48
	s_mov_b32 s5, 0
	s_lshl_b64 s[6:7], s[4:5], 3
	v_cmp_eq_f32_e64 s[20:21], s11, 0
	v_and_b32_e32 v13, 0x3ff, v0
	s_waitcnt lgkmcnt(0)
	s_add_u32 s16, s16, s6
	s_addc_u32 s17, s17, s7
	s_lshl_b32 s4, s2, 5
	s_lshl_b32 s18, s3, 5
	v_cmp_eq_f32_e64 s[2:3], s10, 0
	s_load_dwordx2 s[16:17], s[16:17], 0x0
	s_and_b64 s[2:3], s[2:3], s[20:21]
	s_cmp_lt_i32 s9, 1
	s_cselect_b64 s[20:21], -1, 0
	s_or_b64 s[2:3], s[2:3], s[20:21]
	v_bfe_u32 v15, v0, 10, 10
	v_mov_b32_e32 v24, 0
	s_and_b64 vcc, exec, s[2:3]
	v_mov_b32_e32 v26, 0
	v_mov_b32_e32 v20, 0
	;; [unrolled: 1-line block ×7, first 2 shown]
	s_cbranch_vccnz .LBB381_12
; %bb.6:
	s_load_dwordx2 s[2:3], s[0:1], 0x10
	s_load_dword s19, s[0:1], 0x18
	s_load_dwordx4 s[20:23], s[0:1], 0x20
	s_load_dword s28, s[0:1], 0x30
	s_load_dwordx2 s[24:25], s[0:1], 0x38
	v_lshl_add_u32 v0, v15, 4, v13
	v_and_b32_e32 v2, 31, v0
	v_lshrrev_b32_e32 v19, 5, v0
	v_lshrrev_b32_e32 v1, 3, v0
	v_or_b32_e32 v0, s4, v2
	s_waitcnt lgkmcnt(0)
	s_add_u32 s22, s22, s6
	v_and_b32_e32 v17, 7, v13
	s_addc_u32 s23, s23, s7
	v_cmp_gt_i32_e32 vcc, s8, v0
	v_lshlrev_b32_e32 v0, 3, v2
	s_add_u32 s2, s2, s6
	v_lshl_or_b32 v21, v19, 8, v0
	v_lshlrev_b32_e32 v0, 3, v17
	v_add_u32_e32 v6, s18, v1
	s_addc_u32 s3, s3, s7
	v_lshl_or_b32 v1, v1, 6, v0
	s_load_dwordx2 s[6:7], s[2:3], 0x0
	v_add_u32_e32 v23, 0x800, v1
	v_mov_b32_e32 v1, 0x800
	v_lshl_add_u32 v27, v15, 6, v1
	v_add_u32_e32 v1, s4, v2
	v_mad_i64_i32 v[2:3], s[26:27], s19, v1, 0
	s_lshl_b64 s[20:21], s[20:21], 3
	v_lshl_add_u64 v[2:3], v[2:3], 3, s[20:21]
	v_lshlrev_b32_e32 v4, 3, v19
	v_mov_b32_e32 v5, 0
	s_load_dwordx2 s[22:23], s[22:23], 0x0
	v_lshl_add_u64 v[2:3], v[2:3], 0, v[4:5]
	s_waitcnt lgkmcnt(0)
	v_lshl_add_u64 v[8:9], s[6:7], 0, v[2:3]
	v_mad_i64_i32 v[2:3], s[6:7], s28, v6, 0
	s_lshl_b64 s[6:7], s[24:25], 3
	s_nop 0
	v_lshl_add_u64 v[2:3], v[2:3], 3, s[6:7]
	v_mov_b32_e32 v1, v5
	v_lshl_add_u64 v[0:1], v[2:3], 0, v[0:1]
	v_cmp_gt_i32_e64 s[2:3], s8, v6
	v_lshlrev_b32_e32 v25, 3, v13
	v_lshl_add_u64 v[10:11], s[22:23], 0, v[0:1]
	v_mov_b32_e32 v14, v5
	v_mov_b32_e32 v12, v5
	;; [unrolled: 1-line block ×8, first 2 shown]
	s_branch .LBB381_8
.LBB381_7:                              ;   in Loop: Header=BB381_8 Depth=1
	s_or_b64 exec, exec, s[6:7]
	s_waitcnt vmcnt(0) lgkmcnt(0)
	ds_write_b64 v23, v[0:1]
	s_waitcnt lgkmcnt(0)
	s_barrier
	ds_read2_b64 v[28:31], v25 offset1:16
	ds_read_b128 v[32:35], v27
	ds_read_b128 v[36:39], v27 offset:16
	ds_read_b128 v[4:7], v27 offset:32
	;; [unrolled: 1-line block ×3, first 2 shown]
	ds_read2_b64 v[48:51], v25 offset0:32 offset1:48
	s_waitcnt lgkmcnt(4)
	v_mul_f32_e32 v40, v33, v29
	v_fma_f32 v40, v32, v28, -v40
	v_mul_f32_e32 v41, v32, v29
	v_fmac_f32_e32 v41, v33, v28
	v_add_f32_e32 v24, v24, v40
	v_mul_f32_e32 v40, v33, v31
	v_add_f32_e32 v26, v26, v41
	v_fma_f32 v44, v32, v30, -v40
	ds_read_b128 v[40:43], v27 offset:1024
	v_mul_f32_e32 v32, v32, v31
	v_fmac_f32_e32 v32, v33, v30
	v_add_f32_e32 v20, v20, v44
	v_add_f32_e32 v22, v22, v32
	ds_read_b128 v[44:47], v27 offset:1040
	s_waitcnt lgkmcnt(1)
	v_mul_f32_e32 v32, v41, v29
	v_mul_f32_e32 v29, v40, v29
	v_fma_f32 v32, v40, v28, -v32
	v_fmac_f32_e32 v29, v41, v28
	v_mul_f32_e32 v28, v41, v31
	v_add_f32_e32 v18, v18, v29
	v_fma_f32 v28, v40, v30, -v28
	v_mul_f32_e32 v29, v40, v31
	v_fmac_f32_e32 v29, v41, v30
	v_add_f32_e32 v12, v12, v28
	v_mul_f32_e32 v28, v35, v49
	v_add_f32_e32 v14, v14, v29
	v_fma_f32 v28, v34, v48, -v28
	v_mul_f32_e32 v29, v34, v49
	v_fmac_f32_e32 v29, v35, v48
	v_add_f32_e32 v24, v24, v28
	v_mul_f32_e32 v28, v35, v51
	v_add_f32_e32 v26, v26, v29
	v_fma_f32 v28, v34, v50, -v28
	v_mul_f32_e32 v29, v34, v51
	v_fmac_f32_e32 v29, v35, v50
	v_add_f32_e32 v20, v20, v28
	v_mul_f32_e32 v28, v43, v49
	v_add_f32_e32 v16, v16, v32
	v_add_f32_e32 v22, v22, v29
	v_fma_f32 v28, v42, v48, -v28
	v_mul_f32_e32 v29, v42, v49
	v_fmac_f32_e32 v29, v43, v48
	v_add_f32_e32 v16, v16, v28
	v_mul_f32_e32 v28, v43, v51
	v_add_f32_e32 v18, v18, v29
	v_fma_f32 v32, v42, v50, -v28
	ds_read2_b64 v[28:31], v25 offset0:64 offset1:80
	v_mul_f32_e32 v33, v42, v51
	v_add_f32_e32 v12, v12, v32
	v_fmac_f32_e32 v33, v43, v50
	v_add_f32_e32 v14, v14, v33
	s_waitcnt lgkmcnt(0)
	v_mul_f32_e32 v32, v37, v29
	v_fma_f32 v32, v36, v28, -v32
	v_mul_f32_e32 v33, v36, v29
	v_add_f32_e32 v24, v24, v32
	v_mul_f32_e32 v32, v37, v31
	v_fmac_f32_e32 v33, v37, v28
	v_fma_f32 v32, v36, v30, -v32
	v_add_f32_e32 v26, v26, v33
	v_mul_f32_e32 v33, v36, v31
	v_add_f32_e32 v20, v20, v32
	v_mul_f32_e32 v32, v45, v29
	v_fmac_f32_e32 v33, v37, v30
	v_fma_f32 v32, v44, v28, -v32
	v_add_f32_e32 v22, v22, v33
	v_add_f32_e32 v16, v16, v32
	ds_read2_b64 v[32:35], v25 offset0:96 offset1:112
	v_mul_f32_e32 v29, v44, v29
	v_fmac_f32_e32 v29, v45, v28
	v_mul_f32_e32 v28, v45, v31
	v_add_f32_e32 v18, v18, v29
	v_fma_f32 v28, v44, v30, -v28
	v_mul_f32_e32 v29, v44, v31
	v_fmac_f32_e32 v29, v45, v30
	v_add_f32_e32 v12, v12, v28
	s_waitcnt lgkmcnt(0)
	v_mul_f32_e32 v28, v39, v33
	v_add_f32_e32 v14, v14, v29
	v_fma_f32 v28, v38, v32, -v28
	v_mul_f32_e32 v29, v38, v33
	v_fmac_f32_e32 v29, v39, v32
	v_add_f32_e32 v24, v24, v28
	v_mul_f32_e32 v28, v39, v35
	v_add_f32_e32 v26, v26, v29
	v_fma_f32 v28, v38, v34, -v28
	v_mul_f32_e32 v29, v38, v35
	v_fmac_f32_e32 v29, v39, v34
	v_add_f32_e32 v20, v20, v28
	;; [unrolled: 6-line block ×3, first 2 shown]
	v_mul_f32_e32 v28, v47, v35
	v_add_f32_e32 v18, v18, v29
	v_fma_f32 v32, v46, v34, -v28
	ds_read2_b64 v[28:31], v25 offset0:128 offset1:144
	v_mul_f32_e32 v33, v46, v35
	v_fmac_f32_e32 v33, v47, v34
	v_add_f32_e32 v12, v12, v32
	v_add_f32_e32 v14, v14, v33
	s_waitcnt lgkmcnt(0)
	v_mul_f32_e32 v32, v5, v29
	v_fma_f32 v32, v4, v28, -v32
	v_mul_f32_e32 v33, v4, v29
	v_fmac_f32_e32 v33, v5, v28
	v_add_f32_e32 v24, v24, v32
	v_mul_f32_e32 v32, v5, v31
	v_add_f32_e32 v26, v26, v33
	v_fma_f32 v36, v4, v30, -v32
	ds_read_b128 v[32:35], v27 offset:1056
	v_mul_f32_e32 v4, v4, v31
	ds_read2_b64 v[40:43], v25 offset0:160 offset1:176
	v_fmac_f32_e32 v4, v5, v30
	v_add_f32_e32 v5, v20, v36
	ds_read_b128 v[36:39], v27 offset:1072
	s_waitcnt lgkmcnt(2)
	v_mul_f32_e32 v20, v33, v29
	v_fma_f32 v20, v32, v28, -v20
	v_add_f32_e32 v16, v16, v20
	v_mul_f32_e32 v20, v33, v31
	v_add_f32_e32 v4, v22, v4
	v_mul_f32_e32 v22, v32, v29
	v_fma_f32 v20, v32, v30, -v20
	v_fmac_f32_e32 v22, v33, v28
	v_add_f32_e32 v12, v12, v20
	s_waitcnt lgkmcnt(1)
	v_mul_f32_e32 v20, v7, v41
	v_add_f32_e32 v18, v18, v22
	v_mul_f32_e32 v22, v32, v31
	v_fma_f32 v20, v6, v40, -v20
	v_fmac_f32_e32 v22, v33, v30
	v_add_f32_e32 v20, v24, v20
	v_mul_f32_e32 v24, v7, v43
	v_add_f32_e32 v14, v14, v22
	v_mul_f32_e32 v22, v6, v41
	v_fma_f32 v24, v6, v42, -v24
	v_mul_f32_e32 v6, v6, v43
	v_fmac_f32_e32 v22, v7, v40
	v_fmac_f32_e32 v6, v7, v42
	v_add_f32_e32 v22, v26, v22
	v_add_f32_e32 v26, v4, v6
	v_mul_f32_e32 v4, v35, v41
	v_add_f32_e32 v24, v5, v24
	v_fma_f32 v4, v34, v40, -v4
	v_mul_f32_e32 v5, v34, v41
	v_fmac_f32_e32 v5, v35, v40
	v_add_f32_e32 v16, v16, v4
	v_mul_f32_e32 v4, v35, v43
	v_add_f32_e32 v18, v18, v5
	v_fma_f32 v28, v34, v42, -v4
	ds_read2_b64 v[4:7], v25 offset0:192 offset1:208
	v_mul_f32_e32 v29, v34, v43
	v_add_f32_e32 v12, v12, v28
	v_fmac_f32_e32 v29, v35, v42
	v_add_f32_e32 v14, v14, v29
	s_waitcnt lgkmcnt(0)
	v_mul_f32_e32 v28, v1, v5
	v_fma_f32 v28, v0, v4, -v28
	v_mul_f32_e32 v29, v0, v5
	v_add_f32_e32 v20, v20, v28
	v_mul_f32_e32 v28, v1, v7
	v_fmac_f32_e32 v29, v1, v4
	v_fma_f32 v28, v0, v6, -v28
	v_mul_f32_e32 v0, v0, v7
	v_add_f32_e32 v22, v22, v29
	v_fmac_f32_e32 v0, v1, v6
	v_add_f32_e32 v1, v24, v28
	ds_read2_b64 v[28:31], v25 offset0:224 offset1:240
	v_mul_f32_e32 v24, v37, v5
	v_fma_f32 v24, v36, v4, -v24
	v_mul_f32_e32 v5, v36, v5
	v_fmac_f32_e32 v5, v37, v4
	v_add_f32_e32 v4, v16, v24
	v_mul_f32_e32 v16, v37, v7
	v_fma_f32 v16, v36, v6, -v16
	v_mul_f32_e32 v7, v36, v7
	v_fmac_f32_e32 v7, v37, v6
	v_add_f32_e32 v6, v12, v16
	s_waitcnt lgkmcnt(0)
	v_mul_f32_e32 v12, v3, v29
	v_fma_f32 v12, v2, v28, -v12
	v_add_f32_e32 v24, v20, v12
	v_mul_f32_e32 v12, v3, v31
	v_add_f32_e32 v7, v14, v7
	v_mul_f32_e32 v14, v2, v29
	v_fma_f32 v12, v2, v30, -v12
	v_mul_f32_e32 v2, v2, v31
	v_add_f32_e32 v0, v26, v0
	v_fmac_f32_e32 v14, v3, v28
	v_fmac_f32_e32 v2, v3, v30
	v_add_f32_e32 v26, v22, v14
	v_add_f32_e32 v20, v1, v12
	;; [unrolled: 1-line block ×3, first 2 shown]
	v_mul_f32_e32 v0, v39, v29
	v_mul_f32_e32 v1, v38, v29
	v_add_f32_e32 v5, v18, v5
	v_fma_f32 v0, v38, v28, -v0
	v_fmac_f32_e32 v1, v39, v28
	v_add_f32_e32 v16, v4, v0
	v_add_f32_e32 v18, v5, v1
	v_mul_f32_e32 v0, v39, v31
	v_mul_f32_e32 v1, v38, v31
	v_fma_f32 v0, v38, v30, -v0
	v_fmac_f32_e32 v1, v39, v30
	s_add_i32 s5, s5, 8
	v_add_f32_e32 v12, v6, v0
	v_add_f32_e32 v14, v7, v1
	v_lshl_add_u64 v[8:9], v[8:9], 0, 64
	s_cmp_lt_i32 s5, s9
	v_lshl_add_u64 v[10:11], v[10:11], 0, 64
	s_barrier
	s_cbranch_scc0 .LBB381_12
.LBB381_8:                              ; =>This Inner Loop Header: Depth=1
	v_add_u32_e32 v0, s5, v19
	v_cmp_gt_i32_e64 s[6:7], s9, v0
	s_and_b64 s[20:21], vcc, s[6:7]
	v_mov_b32_e32 v0, 0
	v_mov_b32_e32 v1, 0
	s_and_saveexec_b64 s[6:7], s[20:21]
	s_cbranch_execz .LBB381_10
; %bb.9:                                ;   in Loop: Header=BB381_8 Depth=1
	flat_load_dwordx2 v[0:1], v[8:9]
.LBB381_10:                             ;   in Loop: Header=BB381_8 Depth=1
	s_or_b64 exec, exec, s[6:7]
	s_waitcnt vmcnt(0) lgkmcnt(0)
	ds_write_b64 v21, v[0:1]
	v_add_u32_e32 v0, s5, v17
	v_cmp_gt_i32_e64 s[6:7], s9, v0
	s_and_b64 s[20:21], s[6:7], s[2:3]
	v_mov_b32_e32 v0, 0
	v_mov_b32_e32 v1, 0
	s_and_saveexec_b64 s[6:7], s[20:21]
	s_cbranch_execz .LBB381_7
; %bb.11:                               ;   in Loop: Header=BB381_8 Depth=1
	flat_load_dwordx2 v[0:1], v[10:11]
	s_branch .LBB381_7
.LBB381_12:
	s_load_dwordx2 s[2:3], s[0:1], 0x58
	s_load_dword s9, s[0:1], 0x50
	v_add_u32_e32 v0, s4, v13
	v_add_u32_e32 v10, s18, v15
	v_cmp_neq_f32_e64 s[0:1], s12, 0
	s_waitcnt lgkmcnt(0)
	s_lshl_b64 s[2:3], s[2:3], 3
	s_add_u32 s4, s16, s2
	s_addc_u32 s5, s17, s3
	s_xor_b64 s[6:7], s[14:15], -1
	v_mad_i64_i32 v[2:3], s[14:15], v10, s9, 0
	s_or_b64 s[0:1], s[0:1], s[6:7]
	v_cmp_gt_i32_e64 s[2:3], s8, v10
	v_lshl_add_u64 v[4:5], v[2:3], 3, s[4:5]
	v_cmp_le_i32_e32 vcc, v0, v10
	v_cndmask_b32_e64 v2, 0, 1, s[0:1]
	s_and_b64 s[14:15], s[2:3], vcc
	v_ashrrev_i32_e32 v1, 31, v0
	v_cmp_ne_u32_e64 s[0:1], 1, v2
	s_and_saveexec_b64 s[6:7], s[14:15]
	s_cbranch_execz .LBB381_16
; %bb.13:
	v_pk_mul_f32 v[6:7], v[26:27], s[10:11] op_sel:[0,1] op_sel_hi:[0,0]
	v_pk_fma_f32 v[2:3], v[24:25], s[10:11], v[6:7] op_sel_hi:[0,1,1] neg_lo:[0,0,1] neg_hi:[0,0,1]
	v_pk_fma_f32 v[8:9], v[24:25], s[10:11], v[6:7] op_sel_hi:[0,1,1]
	s_and_b64 vcc, exec, s[0:1]
	v_lshl_add_u64 v[6:7], v[0:1], 3, v[4:5]
	s_cbranch_vccnz .LBB381_15
; %bb.14:
	flat_load_dwordx2 v[24:25], v[6:7]
	s_mov_b32 s14, s13
	v_mov_b32_e32 v3, v9
	s_waitcnt vmcnt(0) lgkmcnt(0)
	v_pk_mul_f32 v[8:9], v[24:25], s[14:15] op_sel:[1,0] op_sel_hi:[0,0]
	v_pk_fma_f32 v[26:27], v[24:25], s[12:13], v[8:9] neg_lo:[0,0,1] neg_hi:[0,0,1]
	v_pk_fma_f32 v[8:9], v[24:25], s[12:13], v[8:9] op_sel_hi:[1,0,1]
	s_nop 0
	v_mov_b32_e32 v27, v9
	v_pk_add_f32 v[2:3], v[2:3], v[26:27]
	s_nop 0
	v_mov_b32_e32 v9, v3
.LBB381_15:
	v_mov_b32_e32 v3, v9
	flat_store_dwordx2 v[6:7], v[2:3]
.LBB381_16:
	s_or_b64 exec, exec, s[6:7]
	v_add_u32_e32 v2, 16, v0
	v_cmp_le_i32_e32 vcc, v2, v10
	s_and_b64 s[6:7], s[2:3], vcc
	v_ashrrev_i32_e32 v3, 31, v2
	s_and_saveexec_b64 s[2:3], s[6:7]
	s_cbranch_execz .LBB381_20
; %bb.17:
	v_pk_mul_f32 v[8:9], v[22:23], s[10:11] op_sel:[0,1] op_sel_hi:[0,0]
	v_pk_fma_f32 v[6:7], v[20:21], s[10:11], v[8:9] op_sel_hi:[0,1,1] neg_lo:[0,0,1] neg_hi:[0,0,1]
	v_pk_fma_f32 v[8:9], v[20:21], s[10:11], v[8:9] op_sel_hi:[0,1,1]
	s_and_b64 vcc, exec, s[0:1]
	v_lshl_add_u64 v[4:5], v[2:3], 3, v[4:5]
	s_cbranch_vccnz .LBB381_19
; %bb.18:
	flat_load_dwordx2 v[20:21], v[4:5]
	s_mov_b32 s6, s13
	v_mov_b32_e32 v7, v9
	s_waitcnt vmcnt(0) lgkmcnt(0)
	v_pk_mul_f32 v[8:9], v[20:21], s[6:7] op_sel:[1,0] op_sel_hi:[0,0]
	v_pk_fma_f32 v[22:23], v[20:21], s[12:13], v[8:9] neg_lo:[0,0,1] neg_hi:[0,0,1]
	v_pk_fma_f32 v[8:9], v[20:21], s[12:13], v[8:9] op_sel_hi:[1,0,1]
	s_nop 0
	v_mov_b32_e32 v23, v9
	v_pk_add_f32 v[6:7], v[6:7], v[22:23]
	s_nop 0
	v_mov_b32_e32 v9, v7
.LBB381_19:
	v_mov_b32_e32 v7, v9
	flat_store_dwordx2 v[4:5], v[6:7]
.LBB381_20:
	s_or_b64 exec, exec, s[2:3]
	v_add_u32_e32 v10, 16, v10
	v_cmp_gt_i32_e64 s[2:3], s8, v10
	v_mad_i64_i32 v[4:5], s[6:7], v10, s9, 0
	v_cmp_le_i32_e32 vcc, v0, v10
	v_lshl_add_u64 v[4:5], v[4:5], 3, s[4:5]
	s_and_b64 s[6:7], s[2:3], vcc
	s_and_saveexec_b64 s[4:5], s[6:7]
	s_cbranch_execz .LBB381_24
; %bb.21:
	v_pk_mul_f32 v[8:9], v[18:19], s[10:11] op_sel:[0,1] op_sel_hi:[0,0]
	v_pk_fma_f32 v[6:7], v[16:17], s[10:11], v[8:9] op_sel_hi:[0,1,1] neg_lo:[0,0,1] neg_hi:[0,0,1]
	v_pk_fma_f32 v[8:9], v[16:17], s[10:11], v[8:9] op_sel_hi:[0,1,1]
	s_and_b64 vcc, exec, s[0:1]
	v_lshl_add_u64 v[0:1], v[0:1], 3, v[4:5]
	s_cbranch_vccnz .LBB381_23
; %bb.22:
	flat_load_dwordx2 v[16:17], v[0:1]
	s_mov_b32 s6, s13
	v_mov_b32_e32 v7, v9
	s_waitcnt vmcnt(0) lgkmcnt(0)
	v_pk_mul_f32 v[8:9], v[16:17], s[6:7] op_sel:[1,0] op_sel_hi:[0,0]
	v_pk_fma_f32 v[18:19], v[16:17], s[12:13], v[8:9] neg_lo:[0,0,1] neg_hi:[0,0,1]
	v_pk_fma_f32 v[8:9], v[16:17], s[12:13], v[8:9] op_sel_hi:[1,0,1]
	s_nop 0
	v_mov_b32_e32 v19, v9
	v_pk_add_f32 v[6:7], v[6:7], v[18:19]
	s_nop 0
	v_mov_b32_e32 v9, v7
.LBB381_23:
	v_mov_b32_e32 v7, v9
	flat_store_dwordx2 v[0:1], v[6:7]
.LBB381_24:
	s_or_b64 exec, exec, s[4:5]
	v_cmp_le_i32_e32 vcc, v2, v10
	s_and_b64 s[2:3], s[2:3], vcc
	s_and_saveexec_b64 s[4:5], s[2:3]
	s_cbranch_execz .LBB381_28
; %bb.25:
	v_pk_mul_f32 v[6:7], v[14:15], s[10:11] op_sel:[0,1] op_sel_hi:[0,0]
	v_pk_fma_f32 v[0:1], v[12:13], s[10:11], v[6:7] op_sel_hi:[0,1,1] neg_lo:[0,0,1] neg_hi:[0,0,1]
	v_pk_fma_f32 v[6:7], v[12:13], s[10:11], v[6:7] op_sel_hi:[0,1,1]
	s_and_b64 vcc, exec, s[0:1]
	v_lshl_add_u64 v[2:3], v[2:3], 3, v[4:5]
	s_cbranch_vccnz .LBB381_27
; %bb.26:
	flat_load_dwordx2 v[4:5], v[2:3]
	s_mov_b32 s0, s13
	v_mov_b32_e32 v1, v7
	s_waitcnt vmcnt(0) lgkmcnt(0)
	v_pk_mul_f32 v[6:7], v[4:5], s[0:1] op_sel:[1,0] op_sel_hi:[0,0]
	v_pk_fma_f32 v[8:9], v[4:5], s[12:13], v[6:7] neg_lo:[0,0,1] neg_hi:[0,0,1]
	v_pk_fma_f32 v[4:5], v[4:5], s[12:13], v[6:7] op_sel_hi:[1,0,1]
	s_nop 0
	v_mov_b32_e32 v9, v5
	v_pk_add_f32 v[0:1], v[0:1], v[8:9]
	s_nop 0
	v_mov_b32_e32 v7, v1
.LBB381_27:
	v_mov_b32_e32 v1, v7
	flat_store_dwordx2 v[2:3], v[0:1]
.LBB381_28:
	s_endpgm
	.section	.rodata,"a",@progbits
	.p2align	6, 0x0
	.amdhsa_kernel _ZL29rocblas_internal_gemmt_kernelIiLi16ELi32ELi8ELc84ELc78ELc85ELb0ELb0E19rocblas_complex_numIfES1_PKPKS1_PKPS1_EviT_T9_T10_S9_lSB_S9_lSA_T11_S9_li
		.amdhsa_group_segment_fixed_size 4096
		.amdhsa_private_segment_fixed_size 0
		.amdhsa_kernarg_size 100
		.amdhsa_user_sgpr_count 2
		.amdhsa_user_sgpr_dispatch_ptr 0
		.amdhsa_user_sgpr_queue_ptr 0
		.amdhsa_user_sgpr_kernarg_segment_ptr 1
		.amdhsa_user_sgpr_dispatch_id 0
		.amdhsa_user_sgpr_kernarg_preload_length 0
		.amdhsa_user_sgpr_kernarg_preload_offset 0
		.amdhsa_user_sgpr_private_segment_size 0
		.amdhsa_uses_dynamic_stack 0
		.amdhsa_enable_private_segment 0
		.amdhsa_system_sgpr_workgroup_id_x 1
		.amdhsa_system_sgpr_workgroup_id_y 1
		.amdhsa_system_sgpr_workgroup_id_z 1
		.amdhsa_system_sgpr_workgroup_info 0
		.amdhsa_system_vgpr_workitem_id 1
		.amdhsa_next_free_vgpr 52
		.amdhsa_next_free_sgpr 29
		.amdhsa_accum_offset 52
		.amdhsa_reserve_vcc 1
		.amdhsa_float_round_mode_32 0
		.amdhsa_float_round_mode_16_64 0
		.amdhsa_float_denorm_mode_32 3
		.amdhsa_float_denorm_mode_16_64 3
		.amdhsa_dx10_clamp 1
		.amdhsa_ieee_mode 1
		.amdhsa_fp16_overflow 0
		.amdhsa_tg_split 0
		.amdhsa_exception_fp_ieee_invalid_op 0
		.amdhsa_exception_fp_denorm_src 0
		.amdhsa_exception_fp_ieee_div_zero 0
		.amdhsa_exception_fp_ieee_overflow 0
		.amdhsa_exception_fp_ieee_underflow 0
		.amdhsa_exception_fp_ieee_inexact 0
		.amdhsa_exception_int_div_zero 0
	.end_amdhsa_kernel
	.section	.text._ZL29rocblas_internal_gemmt_kernelIiLi16ELi32ELi8ELc84ELc78ELc85ELb0ELb0E19rocblas_complex_numIfES1_PKPKS1_PKPS1_EviT_T9_T10_S9_lSB_S9_lSA_T11_S9_li,"axG",@progbits,_ZL29rocblas_internal_gemmt_kernelIiLi16ELi32ELi8ELc84ELc78ELc85ELb0ELb0E19rocblas_complex_numIfES1_PKPKS1_PKPS1_EviT_T9_T10_S9_lSB_S9_lSA_T11_S9_li,comdat
.Lfunc_end381:
	.size	_ZL29rocblas_internal_gemmt_kernelIiLi16ELi32ELi8ELc84ELc78ELc85ELb0ELb0E19rocblas_complex_numIfES1_PKPKS1_PKPS1_EviT_T9_T10_S9_lSB_S9_lSA_T11_S9_li, .Lfunc_end381-_ZL29rocblas_internal_gemmt_kernelIiLi16ELi32ELi8ELc84ELc78ELc85ELb0ELb0E19rocblas_complex_numIfES1_PKPKS1_PKPS1_EviT_T9_T10_S9_lSB_S9_lSA_T11_S9_li
                                        ; -- End function
	.set _ZL29rocblas_internal_gemmt_kernelIiLi16ELi32ELi8ELc84ELc78ELc85ELb0ELb0E19rocblas_complex_numIfES1_PKPKS1_PKPS1_EviT_T9_T10_S9_lSB_S9_lSA_T11_S9_li.num_vgpr, 52
	.set _ZL29rocblas_internal_gemmt_kernelIiLi16ELi32ELi8ELc84ELc78ELc85ELb0ELb0E19rocblas_complex_numIfES1_PKPKS1_PKPS1_EviT_T9_T10_S9_lSB_S9_lSA_T11_S9_li.num_agpr, 0
	.set _ZL29rocblas_internal_gemmt_kernelIiLi16ELi32ELi8ELc84ELc78ELc85ELb0ELb0E19rocblas_complex_numIfES1_PKPKS1_PKPS1_EviT_T9_T10_S9_lSB_S9_lSA_T11_S9_li.numbered_sgpr, 29
	.set _ZL29rocblas_internal_gemmt_kernelIiLi16ELi32ELi8ELc84ELc78ELc85ELb0ELb0E19rocblas_complex_numIfES1_PKPKS1_PKPS1_EviT_T9_T10_S9_lSB_S9_lSA_T11_S9_li.num_named_barrier, 0
	.set _ZL29rocblas_internal_gemmt_kernelIiLi16ELi32ELi8ELc84ELc78ELc85ELb0ELb0E19rocblas_complex_numIfES1_PKPKS1_PKPS1_EviT_T9_T10_S9_lSB_S9_lSA_T11_S9_li.private_seg_size, 0
	.set _ZL29rocblas_internal_gemmt_kernelIiLi16ELi32ELi8ELc84ELc78ELc85ELb0ELb0E19rocblas_complex_numIfES1_PKPKS1_PKPS1_EviT_T9_T10_S9_lSB_S9_lSA_T11_S9_li.uses_vcc, 1
	.set _ZL29rocblas_internal_gemmt_kernelIiLi16ELi32ELi8ELc84ELc78ELc85ELb0ELb0E19rocblas_complex_numIfES1_PKPKS1_PKPS1_EviT_T9_T10_S9_lSB_S9_lSA_T11_S9_li.uses_flat_scratch, 0
	.set _ZL29rocblas_internal_gemmt_kernelIiLi16ELi32ELi8ELc84ELc78ELc85ELb0ELb0E19rocblas_complex_numIfES1_PKPKS1_PKPS1_EviT_T9_T10_S9_lSB_S9_lSA_T11_S9_li.has_dyn_sized_stack, 0
	.set _ZL29rocblas_internal_gemmt_kernelIiLi16ELi32ELi8ELc84ELc78ELc85ELb0ELb0E19rocblas_complex_numIfES1_PKPKS1_PKPS1_EviT_T9_T10_S9_lSB_S9_lSA_T11_S9_li.has_recursion, 0
	.set _ZL29rocblas_internal_gemmt_kernelIiLi16ELi32ELi8ELc84ELc78ELc85ELb0ELb0E19rocblas_complex_numIfES1_PKPKS1_PKPS1_EviT_T9_T10_S9_lSB_S9_lSA_T11_S9_li.has_indirect_call, 0
	.section	.AMDGPU.csdata,"",@progbits
; Kernel info:
; codeLenInByte = 2460
; TotalNumSgprs: 35
; NumVgprs: 52
; NumAgprs: 0
; TotalNumVgprs: 52
; ScratchSize: 0
; MemoryBound: 0
; FloatMode: 240
; IeeeMode: 1
; LDSByteSize: 4096 bytes/workgroup (compile time only)
; SGPRBlocks: 4
; VGPRBlocks: 6
; NumSGPRsForWavesPerEU: 35
; NumVGPRsForWavesPerEU: 52
; AccumOffset: 52
; Occupancy: 8
; WaveLimiterHint : 1
; COMPUTE_PGM_RSRC2:SCRATCH_EN: 0
; COMPUTE_PGM_RSRC2:USER_SGPR: 2
; COMPUTE_PGM_RSRC2:TRAP_HANDLER: 0
; COMPUTE_PGM_RSRC2:TGID_X_EN: 1
; COMPUTE_PGM_RSRC2:TGID_Y_EN: 1
; COMPUTE_PGM_RSRC2:TGID_Z_EN: 1
; COMPUTE_PGM_RSRC2:TIDIG_COMP_CNT: 1
; COMPUTE_PGM_RSRC3_GFX90A:ACCUM_OFFSET: 12
; COMPUTE_PGM_RSRC3_GFX90A:TG_SPLIT: 0
	.section	.text._ZL29rocblas_internal_gemmt_kernelIiLi16ELi32ELi8ELc84ELc84ELc85ELb0ELb0E19rocblas_complex_numIfES1_PKPKS1_PKPS1_EviT_T9_T10_S9_lSB_S9_lSA_T11_S9_li,"axG",@progbits,_ZL29rocblas_internal_gemmt_kernelIiLi16ELi32ELi8ELc84ELc84ELc85ELb0ELb0E19rocblas_complex_numIfES1_PKPKS1_PKPS1_EviT_T9_T10_S9_lSB_S9_lSA_T11_S9_li,comdat
	.globl	_ZL29rocblas_internal_gemmt_kernelIiLi16ELi32ELi8ELc84ELc84ELc85ELb0ELb0E19rocblas_complex_numIfES1_PKPKS1_PKPS1_EviT_T9_T10_S9_lSB_S9_lSA_T11_S9_li ; -- Begin function _ZL29rocblas_internal_gemmt_kernelIiLi16ELi32ELi8ELc84ELc84ELc85ELb0ELb0E19rocblas_complex_numIfES1_PKPKS1_PKPS1_EviT_T9_T10_S9_lSB_S9_lSA_T11_S9_li
	.p2align	8
	.type	_ZL29rocblas_internal_gemmt_kernelIiLi16ELi32ELi8ELc84ELc84ELc85ELb0ELb0E19rocblas_complex_numIfES1_PKPKS1_PKPS1_EviT_T9_T10_S9_lSB_S9_lSA_T11_S9_li,@function
_ZL29rocblas_internal_gemmt_kernelIiLi16ELi32ELi8ELc84ELc84ELc85ELb0ELb0E19rocblas_complex_numIfES1_PKPKS1_PKPS1_EviT_T9_T10_S9_lSB_S9_lSA_T11_S9_li: ; @_ZL29rocblas_internal_gemmt_kernelIiLi16ELi32ELi8ELc84ELc84ELc85ELb0ELb0E19rocblas_complex_numIfES1_PKPKS1_PKPS1_EviT_T9_T10_S9_lSB_S9_lSA_T11_S9_li
; %bb.0:
	s_load_dwordx2 s[12:13], s[0:1], 0x40
	s_load_dwordx4 s[8:11], s[0:1], 0x0
	s_waitcnt lgkmcnt(0)
	s_and_b32 s5, s13, 0x7fffffff
	s_cmp_eq_u32 s5, 0
	v_cmp_eq_f32_e64 s[6:7], s12, 1.0
	s_cselect_b64 s[14:15], -1, 0
	s_and_b64 s[6:7], s[6:7], s[14:15]
	s_and_b64 vcc, exec, s[6:7]
	s_cbranch_vccnz .LBB382_2
; %bb.1:
	s_mov_b64 s[6:7], -1
	s_cbranch_execz .LBB382_3
	s_branch .LBB382_4
.LBB382_2:
	s_mov_b64 s[6:7], 0
.LBB382_3:
	s_cmp_lg_u32 s9, 0
	v_cmp_neq_f32_e64 s[16:17], s10, 0
	v_cmp_neq_f32_e64 s[18:19], s11, 0
	s_cselect_b64 s[6:7], -1, 0
	s_or_b64 s[16:17], s[16:17], s[18:19]
	s_and_b64 s[6:7], s[6:7], s[16:17]
.LBB382_4:
	s_andn2_b64 vcc, exec, s[6:7]
	s_cbranch_vccnz .LBB382_28
; %bb.5:
	s_load_dwordx2 s[16:17], s[0:1], 0x48
	s_mov_b32 s5, 0
	s_lshl_b64 s[6:7], s[4:5], 3
	v_cmp_eq_f32_e64 s[18:19], s11, 0
	v_and_b32_e32 v13, 0x3ff, v0
	s_waitcnt lgkmcnt(0)
	s_add_u32 s16, s16, s6
	s_addc_u32 s17, s17, s7
	s_lshl_b32 s4, s2, 5
	s_lshl_b32 s20, s3, 5
	v_cmp_eq_f32_e64 s[2:3], s10, 0
	s_load_dwordx2 s[16:17], s[16:17], 0x0
	s_and_b64 s[2:3], s[2:3], s[18:19]
	s_cmp_lt_i32 s9, 1
	s_cselect_b64 s[18:19], -1, 0
	s_or_b64 s[2:3], s[2:3], s[18:19]
	v_bfe_u32 v15, v0, 10, 10
	v_mov_b32_e32 v24, 0
	s_and_b64 vcc, exec, s[2:3]
	v_mov_b32_e32 v26, 0
	v_mov_b32_e32 v20, 0
	;; [unrolled: 1-line block ×7, first 2 shown]
	s_cbranch_vccnz .LBB382_12
; %bb.6:
	s_load_dwordx4 s[24:27], s[0:1], 0x20
	s_load_dword s18, s[0:1], 0x30
	v_lshl_add_u32 v1, v15, 4, v13
	s_load_dwordx2 s[2:3], s[0:1], 0x10
	s_load_dword s21, s[0:1], 0x18
	s_load_dwordx2 s[22:23], s[0:1], 0x38
	v_and_b32_e32 v3, 31, v1
	v_lshrrev_b32_e32 v19, 5, v1
	s_waitcnt lgkmcnt(0)
	s_ashr_i32 s19, s18, 31
	s_add_u32 s26, s26, s6
	v_lshrrev_b32_e32 v2, 3, v1
	v_or_b32_e32 v1, s4, v3
	s_addc_u32 s27, s27, s7
	v_and_b32_e32 v17, 7, v13
	s_add_u32 s2, s2, s6
	v_cmp_gt_i32_e32 vcc, s8, v1
	v_lshlrev_b32_e32 v1, 3, v3
	s_addc_u32 s3, s3, s7
	v_lshl_or_b32 v21, v19, 8, v1
	v_lshlrev_b32_e32 v1, 3, v17
	v_add_u32_e32 v0, s20, v2
	s_load_dwordx2 s[6:7], s[2:3], 0x0
	v_lshl_or_b32 v1, v2, 6, v1
	v_mov_b32_e32 v2, 0x800
	v_lshl_add_u32 v27, v15, 6, v2
	v_add_u32_e32 v2, s4, v3
	v_mad_i64_i32 v[2:3], s[28:29], s21, v2, 0
	s_lshl_b64 s[24:25], s[24:25], 3
	v_lshl_add_u64 v[2:3], v[2:3], 3, s[24:25]
	v_lshlrev_b32_e32 v4, 3, v19
	v_mov_b32_e32 v5, 0
	s_load_dwordx2 s[26:27], s[26:27], 0x0
	v_lshl_add_u64 v[2:3], v[2:3], 0, v[4:5]
	s_waitcnt lgkmcnt(0)
	v_lshl_add_u64 v[8:9], s[6:7], 0, v[2:3]
	v_mad_i64_i32 v[2:3], s[6:7], s18, v17, 0
	s_lshl_b64 s[6:7], s[22:23], 3
	v_add_u32_e32 v23, 0x800, v1
	v_ashrrev_i32_e32 v1, 31, v0
	v_lshl_add_u64 v[2:3], v[2:3], 3, s[6:7]
	v_cmp_gt_i32_e64 s[2:3], s8, v0
	v_lshl_add_u64 v[0:1], v[0:1], 3, v[2:3]
	v_lshlrev_b32_e32 v25, 3, v13
	v_lshl_add_u64 v[10:11], s[26:27], 0, v[0:1]
	s_lshl_b64 s[18:19], s[18:19], 6
	v_mov_b32_e32 v14, v5
	v_mov_b32_e32 v12, v5
	;; [unrolled: 1-line block ×8, first 2 shown]
	s_branch .LBB382_8
.LBB382_7:                              ;   in Loop: Header=BB382_8 Depth=1
	s_or_b64 exec, exec, s[6:7]
	s_waitcnt vmcnt(0) lgkmcnt(0)
	ds_write_b64 v23, v[0:1]
	s_waitcnt lgkmcnt(0)
	s_barrier
	ds_read2_b64 v[28:31], v25 offset1:16
	ds_read_b128 v[32:35], v27
	ds_read_b128 v[36:39], v27 offset:16
	ds_read_b128 v[4:7], v27 offset:32
	;; [unrolled: 1-line block ×3, first 2 shown]
	ds_read2_b64 v[48:51], v25 offset0:32 offset1:48
	s_waitcnt lgkmcnt(4)
	v_mul_f32_e32 v40, v33, v29
	v_fma_f32 v40, v32, v28, -v40
	v_mul_f32_e32 v41, v32, v29
	v_fmac_f32_e32 v41, v33, v28
	v_add_f32_e32 v24, v24, v40
	v_mul_f32_e32 v40, v33, v31
	v_add_f32_e32 v26, v26, v41
	v_fma_f32 v44, v32, v30, -v40
	ds_read_b128 v[40:43], v27 offset:1024
	v_mul_f32_e32 v32, v32, v31
	v_fmac_f32_e32 v32, v33, v30
	v_add_f32_e32 v20, v20, v44
	v_add_f32_e32 v22, v22, v32
	ds_read_b128 v[44:47], v27 offset:1040
	s_waitcnt lgkmcnt(1)
	v_mul_f32_e32 v32, v41, v29
	v_mul_f32_e32 v29, v40, v29
	v_fma_f32 v32, v40, v28, -v32
	v_fmac_f32_e32 v29, v41, v28
	v_mul_f32_e32 v28, v41, v31
	v_add_f32_e32 v18, v18, v29
	v_fma_f32 v28, v40, v30, -v28
	v_mul_f32_e32 v29, v40, v31
	v_fmac_f32_e32 v29, v41, v30
	v_add_f32_e32 v12, v12, v28
	v_mul_f32_e32 v28, v35, v49
	v_add_f32_e32 v14, v14, v29
	v_fma_f32 v28, v34, v48, -v28
	v_mul_f32_e32 v29, v34, v49
	v_fmac_f32_e32 v29, v35, v48
	v_add_f32_e32 v24, v24, v28
	;; [unrolled: 6-line block ×3, first 2 shown]
	v_mul_f32_e32 v28, v43, v49
	v_add_f32_e32 v16, v16, v32
	v_add_f32_e32 v22, v22, v29
	v_fma_f32 v28, v42, v48, -v28
	v_mul_f32_e32 v29, v42, v49
	v_fmac_f32_e32 v29, v43, v48
	v_add_f32_e32 v16, v16, v28
	v_mul_f32_e32 v28, v43, v51
	v_add_f32_e32 v18, v18, v29
	v_fma_f32 v32, v42, v50, -v28
	ds_read2_b64 v[28:31], v25 offset0:64 offset1:80
	v_mul_f32_e32 v33, v42, v51
	v_add_f32_e32 v12, v12, v32
	v_fmac_f32_e32 v33, v43, v50
	v_add_f32_e32 v14, v14, v33
	s_waitcnt lgkmcnt(0)
	v_mul_f32_e32 v32, v37, v29
	v_fma_f32 v32, v36, v28, -v32
	v_mul_f32_e32 v33, v36, v29
	v_add_f32_e32 v24, v24, v32
	v_mul_f32_e32 v32, v37, v31
	v_fmac_f32_e32 v33, v37, v28
	v_fma_f32 v32, v36, v30, -v32
	v_add_f32_e32 v26, v26, v33
	v_mul_f32_e32 v33, v36, v31
	v_add_f32_e32 v20, v20, v32
	v_mul_f32_e32 v32, v45, v29
	v_fmac_f32_e32 v33, v37, v30
	v_fma_f32 v32, v44, v28, -v32
	v_add_f32_e32 v22, v22, v33
	v_add_f32_e32 v16, v16, v32
	ds_read2_b64 v[32:35], v25 offset0:96 offset1:112
	v_mul_f32_e32 v29, v44, v29
	v_fmac_f32_e32 v29, v45, v28
	v_mul_f32_e32 v28, v45, v31
	v_add_f32_e32 v18, v18, v29
	v_fma_f32 v28, v44, v30, -v28
	v_mul_f32_e32 v29, v44, v31
	v_fmac_f32_e32 v29, v45, v30
	v_add_f32_e32 v12, v12, v28
	s_waitcnt lgkmcnt(0)
	v_mul_f32_e32 v28, v39, v33
	v_add_f32_e32 v14, v14, v29
	v_fma_f32 v28, v38, v32, -v28
	v_mul_f32_e32 v29, v38, v33
	v_fmac_f32_e32 v29, v39, v32
	v_add_f32_e32 v24, v24, v28
	v_mul_f32_e32 v28, v39, v35
	v_add_f32_e32 v26, v26, v29
	v_fma_f32 v28, v38, v34, -v28
	v_mul_f32_e32 v29, v38, v35
	v_fmac_f32_e32 v29, v39, v34
	v_add_f32_e32 v20, v20, v28
	;; [unrolled: 6-line block ×3, first 2 shown]
	v_mul_f32_e32 v28, v47, v35
	v_add_f32_e32 v18, v18, v29
	v_fma_f32 v32, v46, v34, -v28
	ds_read2_b64 v[28:31], v25 offset0:128 offset1:144
	v_mul_f32_e32 v33, v46, v35
	v_fmac_f32_e32 v33, v47, v34
	v_add_f32_e32 v12, v12, v32
	v_add_f32_e32 v14, v14, v33
	s_waitcnt lgkmcnt(0)
	v_mul_f32_e32 v32, v5, v29
	v_fma_f32 v32, v4, v28, -v32
	v_mul_f32_e32 v33, v4, v29
	v_fmac_f32_e32 v33, v5, v28
	v_add_f32_e32 v24, v24, v32
	v_mul_f32_e32 v32, v5, v31
	v_add_f32_e32 v26, v26, v33
	v_fma_f32 v36, v4, v30, -v32
	ds_read_b128 v[32:35], v27 offset:1056
	v_mul_f32_e32 v4, v4, v31
	ds_read2_b64 v[40:43], v25 offset0:160 offset1:176
	v_fmac_f32_e32 v4, v5, v30
	v_add_f32_e32 v5, v20, v36
	ds_read_b128 v[36:39], v27 offset:1072
	s_waitcnt lgkmcnt(2)
	v_mul_f32_e32 v20, v33, v29
	v_fma_f32 v20, v32, v28, -v20
	v_add_f32_e32 v16, v16, v20
	v_mul_f32_e32 v20, v33, v31
	v_add_f32_e32 v4, v22, v4
	v_mul_f32_e32 v22, v32, v29
	v_fma_f32 v20, v32, v30, -v20
	v_fmac_f32_e32 v22, v33, v28
	v_add_f32_e32 v12, v12, v20
	s_waitcnt lgkmcnt(1)
	v_mul_f32_e32 v20, v7, v41
	v_add_f32_e32 v18, v18, v22
	v_mul_f32_e32 v22, v32, v31
	v_fma_f32 v20, v6, v40, -v20
	v_fmac_f32_e32 v22, v33, v30
	v_add_f32_e32 v20, v24, v20
	v_mul_f32_e32 v24, v7, v43
	v_add_f32_e32 v14, v14, v22
	v_mul_f32_e32 v22, v6, v41
	v_fma_f32 v24, v6, v42, -v24
	v_mul_f32_e32 v6, v6, v43
	v_fmac_f32_e32 v22, v7, v40
	v_fmac_f32_e32 v6, v7, v42
	v_add_f32_e32 v22, v26, v22
	v_add_f32_e32 v26, v4, v6
	v_mul_f32_e32 v4, v35, v41
	v_add_f32_e32 v24, v5, v24
	v_fma_f32 v4, v34, v40, -v4
	v_mul_f32_e32 v5, v34, v41
	v_fmac_f32_e32 v5, v35, v40
	v_add_f32_e32 v16, v16, v4
	v_mul_f32_e32 v4, v35, v43
	v_add_f32_e32 v18, v18, v5
	v_fma_f32 v28, v34, v42, -v4
	ds_read2_b64 v[4:7], v25 offset0:192 offset1:208
	v_mul_f32_e32 v29, v34, v43
	v_add_f32_e32 v12, v12, v28
	v_fmac_f32_e32 v29, v35, v42
	v_add_f32_e32 v14, v14, v29
	s_waitcnt lgkmcnt(0)
	v_mul_f32_e32 v28, v1, v5
	v_fma_f32 v28, v0, v4, -v28
	v_mul_f32_e32 v29, v0, v5
	v_add_f32_e32 v20, v20, v28
	v_mul_f32_e32 v28, v1, v7
	v_fmac_f32_e32 v29, v1, v4
	v_fma_f32 v28, v0, v6, -v28
	v_mul_f32_e32 v0, v0, v7
	v_add_f32_e32 v22, v22, v29
	v_fmac_f32_e32 v0, v1, v6
	v_add_f32_e32 v1, v24, v28
	ds_read2_b64 v[28:31], v25 offset0:224 offset1:240
	v_mul_f32_e32 v24, v37, v5
	v_fma_f32 v24, v36, v4, -v24
	v_mul_f32_e32 v5, v36, v5
	v_fmac_f32_e32 v5, v37, v4
	v_add_f32_e32 v4, v16, v24
	v_mul_f32_e32 v16, v37, v7
	v_fma_f32 v16, v36, v6, -v16
	v_mul_f32_e32 v7, v36, v7
	v_fmac_f32_e32 v7, v37, v6
	v_add_f32_e32 v6, v12, v16
	s_waitcnt lgkmcnt(0)
	v_mul_f32_e32 v12, v3, v29
	v_fma_f32 v12, v2, v28, -v12
	v_add_f32_e32 v24, v20, v12
	v_mul_f32_e32 v12, v3, v31
	v_add_f32_e32 v7, v14, v7
	v_mul_f32_e32 v14, v2, v29
	v_fma_f32 v12, v2, v30, -v12
	v_mul_f32_e32 v2, v2, v31
	v_add_f32_e32 v0, v26, v0
	v_fmac_f32_e32 v14, v3, v28
	v_fmac_f32_e32 v2, v3, v30
	v_add_f32_e32 v26, v22, v14
	v_add_f32_e32 v20, v1, v12
	;; [unrolled: 1-line block ×3, first 2 shown]
	v_mul_f32_e32 v0, v39, v29
	v_mul_f32_e32 v1, v38, v29
	v_add_f32_e32 v5, v18, v5
	v_fma_f32 v0, v38, v28, -v0
	v_fmac_f32_e32 v1, v39, v28
	v_add_f32_e32 v16, v4, v0
	v_add_f32_e32 v18, v5, v1
	v_mul_f32_e32 v0, v39, v31
	v_mul_f32_e32 v1, v38, v31
	v_fma_f32 v0, v38, v30, -v0
	v_fmac_f32_e32 v1, v39, v30
	s_add_i32 s5, s5, 8
	v_add_f32_e32 v12, v6, v0
	v_add_f32_e32 v14, v7, v1
	v_lshl_add_u64 v[8:9], v[8:9], 0, 64
	s_cmp_lt_i32 s5, s9
	v_lshl_add_u64 v[10:11], v[10:11], 0, s[18:19]
	s_barrier
	s_cbranch_scc0 .LBB382_12
.LBB382_8:                              ; =>This Inner Loop Header: Depth=1
	v_add_u32_e32 v0, s5, v19
	v_cmp_gt_i32_e64 s[6:7], s9, v0
	s_and_b64 s[22:23], vcc, s[6:7]
	v_mov_b32_e32 v0, 0
	v_mov_b32_e32 v1, 0
	s_and_saveexec_b64 s[6:7], s[22:23]
	s_cbranch_execz .LBB382_10
; %bb.9:                                ;   in Loop: Header=BB382_8 Depth=1
	flat_load_dwordx2 v[0:1], v[8:9]
.LBB382_10:                             ;   in Loop: Header=BB382_8 Depth=1
	s_or_b64 exec, exec, s[6:7]
	s_waitcnt vmcnt(0) lgkmcnt(0)
	ds_write_b64 v21, v[0:1]
	v_add_u32_e32 v0, s5, v17
	v_cmp_gt_i32_e64 s[6:7], s9, v0
	s_and_b64 s[22:23], s[6:7], s[2:3]
	v_mov_b32_e32 v0, 0
	v_mov_b32_e32 v1, 0
	s_and_saveexec_b64 s[6:7], s[22:23]
	s_cbranch_execz .LBB382_7
; %bb.11:                               ;   in Loop: Header=BB382_8 Depth=1
	flat_load_dwordx2 v[0:1], v[10:11]
	s_branch .LBB382_7
.LBB382_12:
	s_load_dwordx2 s[2:3], s[0:1], 0x58
	s_load_dword s9, s[0:1], 0x50
	v_add_u32_e32 v0, s4, v13
	v_add_u32_e32 v10, s20, v15
	v_cmp_neq_f32_e64 s[0:1], s12, 0
	s_waitcnt lgkmcnt(0)
	s_lshl_b64 s[2:3], s[2:3], 3
	s_add_u32 s4, s16, s2
	s_addc_u32 s5, s17, s3
	s_xor_b64 s[6:7], s[14:15], -1
	v_mad_i64_i32 v[2:3], s[14:15], v10, s9, 0
	s_or_b64 s[0:1], s[0:1], s[6:7]
	v_cmp_gt_i32_e64 s[2:3], s8, v10
	v_lshl_add_u64 v[4:5], v[2:3], 3, s[4:5]
	v_cmp_le_i32_e32 vcc, v0, v10
	v_cndmask_b32_e64 v2, 0, 1, s[0:1]
	s_and_b64 s[14:15], s[2:3], vcc
	v_ashrrev_i32_e32 v1, 31, v0
	v_cmp_ne_u32_e64 s[0:1], 1, v2
	s_and_saveexec_b64 s[6:7], s[14:15]
	s_cbranch_execz .LBB382_16
; %bb.13:
	v_pk_mul_f32 v[6:7], v[26:27], s[10:11] op_sel:[0,1] op_sel_hi:[0,0]
	v_pk_fma_f32 v[2:3], v[24:25], s[10:11], v[6:7] op_sel_hi:[0,1,1] neg_lo:[0,0,1] neg_hi:[0,0,1]
	v_pk_fma_f32 v[8:9], v[24:25], s[10:11], v[6:7] op_sel_hi:[0,1,1]
	s_and_b64 vcc, exec, s[0:1]
	v_lshl_add_u64 v[6:7], v[0:1], 3, v[4:5]
	s_cbranch_vccnz .LBB382_15
; %bb.14:
	flat_load_dwordx2 v[24:25], v[6:7]
	s_mov_b32 s14, s13
	v_mov_b32_e32 v3, v9
	s_waitcnt vmcnt(0) lgkmcnt(0)
	v_pk_mul_f32 v[8:9], v[24:25], s[14:15] op_sel:[1,0] op_sel_hi:[0,0]
	v_pk_fma_f32 v[26:27], v[24:25], s[12:13], v[8:9] neg_lo:[0,0,1] neg_hi:[0,0,1]
	v_pk_fma_f32 v[8:9], v[24:25], s[12:13], v[8:9] op_sel_hi:[1,0,1]
	s_nop 0
	v_mov_b32_e32 v27, v9
	v_pk_add_f32 v[2:3], v[2:3], v[26:27]
	s_nop 0
	v_mov_b32_e32 v9, v3
.LBB382_15:
	v_mov_b32_e32 v3, v9
	flat_store_dwordx2 v[6:7], v[2:3]
.LBB382_16:
	s_or_b64 exec, exec, s[6:7]
	v_add_u32_e32 v2, 16, v0
	v_cmp_le_i32_e32 vcc, v2, v10
	s_and_b64 s[6:7], s[2:3], vcc
	v_ashrrev_i32_e32 v3, 31, v2
	s_and_saveexec_b64 s[2:3], s[6:7]
	s_cbranch_execz .LBB382_20
; %bb.17:
	v_pk_mul_f32 v[8:9], v[22:23], s[10:11] op_sel:[0,1] op_sel_hi:[0,0]
	v_pk_fma_f32 v[6:7], v[20:21], s[10:11], v[8:9] op_sel_hi:[0,1,1] neg_lo:[0,0,1] neg_hi:[0,0,1]
	v_pk_fma_f32 v[8:9], v[20:21], s[10:11], v[8:9] op_sel_hi:[0,1,1]
	s_and_b64 vcc, exec, s[0:1]
	v_lshl_add_u64 v[4:5], v[2:3], 3, v[4:5]
	s_cbranch_vccnz .LBB382_19
; %bb.18:
	flat_load_dwordx2 v[20:21], v[4:5]
	s_mov_b32 s6, s13
	v_mov_b32_e32 v7, v9
	s_waitcnt vmcnt(0) lgkmcnt(0)
	v_pk_mul_f32 v[8:9], v[20:21], s[6:7] op_sel:[1,0] op_sel_hi:[0,0]
	v_pk_fma_f32 v[22:23], v[20:21], s[12:13], v[8:9] neg_lo:[0,0,1] neg_hi:[0,0,1]
	v_pk_fma_f32 v[8:9], v[20:21], s[12:13], v[8:9] op_sel_hi:[1,0,1]
	s_nop 0
	v_mov_b32_e32 v23, v9
	v_pk_add_f32 v[6:7], v[6:7], v[22:23]
	s_nop 0
	v_mov_b32_e32 v9, v7
.LBB382_19:
	v_mov_b32_e32 v7, v9
	flat_store_dwordx2 v[4:5], v[6:7]
.LBB382_20:
	s_or_b64 exec, exec, s[2:3]
	v_add_u32_e32 v10, 16, v10
	v_cmp_gt_i32_e64 s[2:3], s8, v10
	v_mad_i64_i32 v[4:5], s[6:7], v10, s9, 0
	v_cmp_le_i32_e32 vcc, v0, v10
	v_lshl_add_u64 v[4:5], v[4:5], 3, s[4:5]
	s_and_b64 s[6:7], s[2:3], vcc
	s_and_saveexec_b64 s[4:5], s[6:7]
	s_cbranch_execz .LBB382_24
; %bb.21:
	v_pk_mul_f32 v[8:9], v[18:19], s[10:11] op_sel:[0,1] op_sel_hi:[0,0]
	v_pk_fma_f32 v[6:7], v[16:17], s[10:11], v[8:9] op_sel_hi:[0,1,1] neg_lo:[0,0,1] neg_hi:[0,0,1]
	v_pk_fma_f32 v[8:9], v[16:17], s[10:11], v[8:9] op_sel_hi:[0,1,1]
	s_and_b64 vcc, exec, s[0:1]
	v_lshl_add_u64 v[0:1], v[0:1], 3, v[4:5]
	s_cbranch_vccnz .LBB382_23
; %bb.22:
	flat_load_dwordx2 v[16:17], v[0:1]
	s_mov_b32 s6, s13
	v_mov_b32_e32 v7, v9
	s_waitcnt vmcnt(0) lgkmcnt(0)
	v_pk_mul_f32 v[8:9], v[16:17], s[6:7] op_sel:[1,0] op_sel_hi:[0,0]
	v_pk_fma_f32 v[18:19], v[16:17], s[12:13], v[8:9] neg_lo:[0,0,1] neg_hi:[0,0,1]
	v_pk_fma_f32 v[8:9], v[16:17], s[12:13], v[8:9] op_sel_hi:[1,0,1]
	s_nop 0
	v_mov_b32_e32 v19, v9
	v_pk_add_f32 v[6:7], v[6:7], v[18:19]
	s_nop 0
	v_mov_b32_e32 v9, v7
.LBB382_23:
	v_mov_b32_e32 v7, v9
	flat_store_dwordx2 v[0:1], v[6:7]
.LBB382_24:
	s_or_b64 exec, exec, s[4:5]
	v_cmp_le_i32_e32 vcc, v2, v10
	s_and_b64 s[2:3], s[2:3], vcc
	s_and_saveexec_b64 s[4:5], s[2:3]
	s_cbranch_execz .LBB382_28
; %bb.25:
	v_pk_mul_f32 v[6:7], v[14:15], s[10:11] op_sel:[0,1] op_sel_hi:[0,0]
	v_pk_fma_f32 v[0:1], v[12:13], s[10:11], v[6:7] op_sel_hi:[0,1,1] neg_lo:[0,0,1] neg_hi:[0,0,1]
	v_pk_fma_f32 v[6:7], v[12:13], s[10:11], v[6:7] op_sel_hi:[0,1,1]
	s_and_b64 vcc, exec, s[0:1]
	v_lshl_add_u64 v[2:3], v[2:3], 3, v[4:5]
	s_cbranch_vccnz .LBB382_27
; %bb.26:
	flat_load_dwordx2 v[4:5], v[2:3]
	s_mov_b32 s0, s13
	v_mov_b32_e32 v1, v7
	s_waitcnt vmcnt(0) lgkmcnt(0)
	v_pk_mul_f32 v[6:7], v[4:5], s[0:1] op_sel:[1,0] op_sel_hi:[0,0]
	v_pk_fma_f32 v[8:9], v[4:5], s[12:13], v[6:7] neg_lo:[0,0,1] neg_hi:[0,0,1]
	v_pk_fma_f32 v[4:5], v[4:5], s[12:13], v[6:7] op_sel_hi:[1,0,1]
	s_nop 0
	v_mov_b32_e32 v9, v5
	v_pk_add_f32 v[0:1], v[0:1], v[8:9]
	s_nop 0
	v_mov_b32_e32 v7, v1
.LBB382_27:
	v_mov_b32_e32 v1, v7
	flat_store_dwordx2 v[2:3], v[0:1]
.LBB382_28:
	s_endpgm
	.section	.rodata,"a",@progbits
	.p2align	6, 0x0
	.amdhsa_kernel _ZL29rocblas_internal_gemmt_kernelIiLi16ELi32ELi8ELc84ELc84ELc85ELb0ELb0E19rocblas_complex_numIfES1_PKPKS1_PKPS1_EviT_T9_T10_S9_lSB_S9_lSA_T11_S9_li
		.amdhsa_group_segment_fixed_size 4096
		.amdhsa_private_segment_fixed_size 0
		.amdhsa_kernarg_size 100
		.amdhsa_user_sgpr_count 2
		.amdhsa_user_sgpr_dispatch_ptr 0
		.amdhsa_user_sgpr_queue_ptr 0
		.amdhsa_user_sgpr_kernarg_segment_ptr 1
		.amdhsa_user_sgpr_dispatch_id 0
		.amdhsa_user_sgpr_kernarg_preload_length 0
		.amdhsa_user_sgpr_kernarg_preload_offset 0
		.amdhsa_user_sgpr_private_segment_size 0
		.amdhsa_uses_dynamic_stack 0
		.amdhsa_enable_private_segment 0
		.amdhsa_system_sgpr_workgroup_id_x 1
		.amdhsa_system_sgpr_workgroup_id_y 1
		.amdhsa_system_sgpr_workgroup_id_z 1
		.amdhsa_system_sgpr_workgroup_info 0
		.amdhsa_system_vgpr_workitem_id 1
		.amdhsa_next_free_vgpr 52
		.amdhsa_next_free_sgpr 30
		.amdhsa_accum_offset 52
		.amdhsa_reserve_vcc 1
		.amdhsa_float_round_mode_32 0
		.amdhsa_float_round_mode_16_64 0
		.amdhsa_float_denorm_mode_32 3
		.amdhsa_float_denorm_mode_16_64 3
		.amdhsa_dx10_clamp 1
		.amdhsa_ieee_mode 1
		.amdhsa_fp16_overflow 0
		.amdhsa_tg_split 0
		.amdhsa_exception_fp_ieee_invalid_op 0
		.amdhsa_exception_fp_denorm_src 0
		.amdhsa_exception_fp_ieee_div_zero 0
		.amdhsa_exception_fp_ieee_overflow 0
		.amdhsa_exception_fp_ieee_underflow 0
		.amdhsa_exception_fp_ieee_inexact 0
		.amdhsa_exception_int_div_zero 0
	.end_amdhsa_kernel
	.section	.text._ZL29rocblas_internal_gemmt_kernelIiLi16ELi32ELi8ELc84ELc84ELc85ELb0ELb0E19rocblas_complex_numIfES1_PKPKS1_PKPS1_EviT_T9_T10_S9_lSB_S9_lSA_T11_S9_li,"axG",@progbits,_ZL29rocblas_internal_gemmt_kernelIiLi16ELi32ELi8ELc84ELc84ELc85ELb0ELb0E19rocblas_complex_numIfES1_PKPKS1_PKPS1_EviT_T9_T10_S9_lSB_S9_lSA_T11_S9_li,comdat
.Lfunc_end382:
	.size	_ZL29rocblas_internal_gemmt_kernelIiLi16ELi32ELi8ELc84ELc84ELc85ELb0ELb0E19rocblas_complex_numIfES1_PKPKS1_PKPS1_EviT_T9_T10_S9_lSB_S9_lSA_T11_S9_li, .Lfunc_end382-_ZL29rocblas_internal_gemmt_kernelIiLi16ELi32ELi8ELc84ELc84ELc85ELb0ELb0E19rocblas_complex_numIfES1_PKPKS1_PKPS1_EviT_T9_T10_S9_lSB_S9_lSA_T11_S9_li
                                        ; -- End function
	.set _ZL29rocblas_internal_gemmt_kernelIiLi16ELi32ELi8ELc84ELc84ELc85ELb0ELb0E19rocblas_complex_numIfES1_PKPKS1_PKPS1_EviT_T9_T10_S9_lSB_S9_lSA_T11_S9_li.num_vgpr, 52
	.set _ZL29rocblas_internal_gemmt_kernelIiLi16ELi32ELi8ELc84ELc84ELc85ELb0ELb0E19rocblas_complex_numIfES1_PKPKS1_PKPS1_EviT_T9_T10_S9_lSB_S9_lSA_T11_S9_li.num_agpr, 0
	.set _ZL29rocblas_internal_gemmt_kernelIiLi16ELi32ELi8ELc84ELc84ELc85ELb0ELb0E19rocblas_complex_numIfES1_PKPKS1_PKPS1_EviT_T9_T10_S9_lSB_S9_lSA_T11_S9_li.numbered_sgpr, 30
	.set _ZL29rocblas_internal_gemmt_kernelIiLi16ELi32ELi8ELc84ELc84ELc85ELb0ELb0E19rocblas_complex_numIfES1_PKPKS1_PKPS1_EviT_T9_T10_S9_lSB_S9_lSA_T11_S9_li.num_named_barrier, 0
	.set _ZL29rocblas_internal_gemmt_kernelIiLi16ELi32ELi8ELc84ELc84ELc85ELb0ELb0E19rocblas_complex_numIfES1_PKPKS1_PKPS1_EviT_T9_T10_S9_lSB_S9_lSA_T11_S9_li.private_seg_size, 0
	.set _ZL29rocblas_internal_gemmt_kernelIiLi16ELi32ELi8ELc84ELc84ELc85ELb0ELb0E19rocblas_complex_numIfES1_PKPKS1_PKPS1_EviT_T9_T10_S9_lSB_S9_lSA_T11_S9_li.uses_vcc, 1
	.set _ZL29rocblas_internal_gemmt_kernelIiLi16ELi32ELi8ELc84ELc84ELc85ELb0ELb0E19rocblas_complex_numIfES1_PKPKS1_PKPS1_EviT_T9_T10_S9_lSB_S9_lSA_T11_S9_li.uses_flat_scratch, 0
	.set _ZL29rocblas_internal_gemmt_kernelIiLi16ELi32ELi8ELc84ELc84ELc85ELb0ELb0E19rocblas_complex_numIfES1_PKPKS1_PKPS1_EviT_T9_T10_S9_lSB_S9_lSA_T11_S9_li.has_dyn_sized_stack, 0
	.set _ZL29rocblas_internal_gemmt_kernelIiLi16ELi32ELi8ELc84ELc84ELc85ELb0ELb0E19rocblas_complex_numIfES1_PKPKS1_PKPS1_EviT_T9_T10_S9_lSB_S9_lSA_T11_S9_li.has_recursion, 0
	.set _ZL29rocblas_internal_gemmt_kernelIiLi16ELi32ELi8ELc84ELc84ELc85ELb0ELb0E19rocblas_complex_numIfES1_PKPKS1_PKPS1_EviT_T9_T10_S9_lSB_S9_lSA_T11_S9_li.has_indirect_call, 0
	.section	.AMDGPU.csdata,"",@progbits
; Kernel info:
; codeLenInByte = 2464
; TotalNumSgprs: 36
; NumVgprs: 52
; NumAgprs: 0
; TotalNumVgprs: 52
; ScratchSize: 0
; MemoryBound: 0
; FloatMode: 240
; IeeeMode: 1
; LDSByteSize: 4096 bytes/workgroup (compile time only)
; SGPRBlocks: 4
; VGPRBlocks: 6
; NumSGPRsForWavesPerEU: 36
; NumVGPRsForWavesPerEU: 52
; AccumOffset: 52
; Occupancy: 8
; WaveLimiterHint : 1
; COMPUTE_PGM_RSRC2:SCRATCH_EN: 0
; COMPUTE_PGM_RSRC2:USER_SGPR: 2
; COMPUTE_PGM_RSRC2:TRAP_HANDLER: 0
; COMPUTE_PGM_RSRC2:TGID_X_EN: 1
; COMPUTE_PGM_RSRC2:TGID_Y_EN: 1
; COMPUTE_PGM_RSRC2:TGID_Z_EN: 1
; COMPUTE_PGM_RSRC2:TIDIG_COMP_CNT: 1
; COMPUTE_PGM_RSRC3_GFX90A:ACCUM_OFFSET: 12
; COMPUTE_PGM_RSRC3_GFX90A:TG_SPLIT: 0
	.section	.text._ZL29rocblas_internal_gemmt_kernelIiLi16ELi32ELi8ELc84ELc67ELc85ELb0ELb1E19rocblas_complex_numIfES1_PKPKS1_PKPS1_EviT_T9_T10_S9_lSB_S9_lSA_T11_S9_li,"axG",@progbits,_ZL29rocblas_internal_gemmt_kernelIiLi16ELi32ELi8ELc84ELc67ELc85ELb0ELb1E19rocblas_complex_numIfES1_PKPKS1_PKPS1_EviT_T9_T10_S9_lSB_S9_lSA_T11_S9_li,comdat
	.globl	_ZL29rocblas_internal_gemmt_kernelIiLi16ELi32ELi8ELc84ELc67ELc85ELb0ELb1E19rocblas_complex_numIfES1_PKPKS1_PKPS1_EviT_T9_T10_S9_lSB_S9_lSA_T11_S9_li ; -- Begin function _ZL29rocblas_internal_gemmt_kernelIiLi16ELi32ELi8ELc84ELc67ELc85ELb0ELb1E19rocblas_complex_numIfES1_PKPKS1_PKPS1_EviT_T9_T10_S9_lSB_S9_lSA_T11_S9_li
	.p2align	8
	.type	_ZL29rocblas_internal_gemmt_kernelIiLi16ELi32ELi8ELc84ELc67ELc85ELb0ELb1E19rocblas_complex_numIfES1_PKPKS1_PKPS1_EviT_T9_T10_S9_lSB_S9_lSA_T11_S9_li,@function
_ZL29rocblas_internal_gemmt_kernelIiLi16ELi32ELi8ELc84ELc67ELc85ELb0ELb1E19rocblas_complex_numIfES1_PKPKS1_PKPS1_EviT_T9_T10_S9_lSB_S9_lSA_T11_S9_li: ; @_ZL29rocblas_internal_gemmt_kernelIiLi16ELi32ELi8ELc84ELc67ELc85ELb0ELb1E19rocblas_complex_numIfES1_PKPKS1_PKPS1_EviT_T9_T10_S9_lSB_S9_lSA_T11_S9_li
; %bb.0:
	s_load_dwordx2 s[6:7], s[0:1], 0x40
	s_load_dwordx4 s[8:11], s[0:1], 0x0
	s_waitcnt lgkmcnt(0)
	s_and_b32 s5, s7, 0x7fffffff
	s_cmp_eq_u32 s5, 0
	v_cmp_eq_f32_e64 s[14:15], s6, 1.0
	s_cselect_b64 s[12:13], -1, 0
	s_and_b64 s[14:15], s[14:15], s[12:13]
	s_and_b64 vcc, exec, s[14:15]
	s_cbranch_vccnz .LBB383_2
; %bb.1:
	s_mov_b64 s[14:15], -1
	s_cbranch_execz .LBB383_3
	s_branch .LBB383_4
.LBB383_2:
	s_mov_b64 s[14:15], 0
.LBB383_3:
	s_cmp_lg_u32 s9, 0
	v_cmp_neq_f32_e64 s[16:17], s10, 0
	v_cmp_neq_f32_e64 s[18:19], s11, 0
	s_cselect_b64 s[14:15], -1, 0
	s_or_b64 s[16:17], s[16:17], s[18:19]
	s_and_b64 s[14:15], s[14:15], s[16:17]
.LBB383_4:
	s_andn2_b64 vcc, exec, s[14:15]
	s_cbranch_vccnz .LBB383_30
; %bb.5:
	s_load_dwordx2 s[14:15], s[0:1], 0x48
	s_mov_b32 s5, 0
	s_lshl_b64 s[16:17], s[4:5], 3
	v_cmp_eq_f32_e64 s[18:19], s11, 0
	v_and_b32_e32 v15, 0x3ff, v0
	s_waitcnt lgkmcnt(0)
	s_add_u32 s14, s14, s16
	s_addc_u32 s15, s15, s17
	s_lshl_b32 s4, s2, 5
	s_lshl_b32 s20, s3, 5
	v_cmp_eq_f32_e64 s[2:3], s10, 0
	s_load_dwordx2 s[14:15], s[14:15], 0x0
	s_and_b64 s[2:3], s[2:3], s[18:19]
	s_cmp_lt_i32 s9, 1
	s_cselect_b64 s[18:19], -1, 0
	s_or_b64 s[2:3], s[2:3], s[18:19]
	v_bfe_u32 v17, v0, 10, 10
	v_mov_b32_e32 v24, 0
	s_and_b64 vcc, exec, s[2:3]
	v_mov_b32_e32 v26, 0
	v_mov_b32_e32 v20, 0
	;; [unrolled: 1-line block ×7, first 2 shown]
	s_cbranch_vccnz .LBB383_14
; %bb.6:
	s_load_dwordx4 s[24:27], s[0:1], 0x20
	s_load_dword s18, s[0:1], 0x30
	v_lshl_add_u32 v1, v17, 4, v15
	s_load_dwordx2 s[2:3], s[0:1], 0x10
	s_load_dword s21, s[0:1], 0x18
	s_load_dwordx2 s[22:23], s[0:1], 0x38
	v_and_b32_e32 v3, 31, v1
	v_lshrrev_b32_e32 v21, 5, v1
	s_waitcnt lgkmcnt(0)
	s_ashr_i32 s19, s18, 31
	s_add_u32 s26, s26, s16
	v_lshrrev_b32_e32 v2, 3, v1
	v_or_b32_e32 v1, s4, v3
	s_addc_u32 s27, s27, s17
	v_and_b32_e32 v19, 7, v15
	s_add_u32 s2, s2, s16
	v_cmp_gt_i32_e32 vcc, s8, v1
	v_lshlrev_b32_e32 v1, 3, v3
	s_addc_u32 s3, s3, s17
	v_lshl_or_b32 v23, v21, 8, v1
	v_lshlrev_b32_e32 v1, 3, v19
	v_add_u32_e32 v0, s20, v2
	s_load_dwordx2 s[16:17], s[2:3], 0x0
	v_lshl_or_b32 v1, v2, 6, v1
	v_mov_b32_e32 v2, 0x800
	v_lshl_add_u32 v28, v17, 6, v2
	v_add_u32_e32 v2, s4, v3
	v_mad_i64_i32 v[2:3], s[28:29], s21, v2, 0
	s_lshl_b64 s[24:25], s[24:25], 3
	v_lshl_add_u64 v[2:3], v[2:3], 3, s[24:25]
	v_lshlrev_b32_e32 v8, 3, v21
	v_mov_b32_e32 v9, 0
	s_load_dwordx2 s[26:27], s[26:27], 0x0
	v_lshl_add_u64 v[2:3], v[2:3], 0, v[8:9]
	s_waitcnt lgkmcnt(0)
	v_lshl_add_u64 v[10:11], s[16:17], 0, v[2:3]
	v_mad_i64_i32 v[2:3], s[16:17], s18, v19, 0
	s_lshl_b64 s[16:17], s[22:23], 3
	v_add_u32_e32 v25, 0x800, v1
	v_ashrrev_i32_e32 v1, 31, v0
	v_lshl_add_u64 v[2:3], v[2:3], 3, s[16:17]
	v_cmp_gt_i32_e64 s[2:3], s8, v0
	v_lshl_add_u64 v[0:1], v[0:1], 3, v[2:3]
	v_lshlrev_b32_e32 v27, 3, v15
	v_lshl_add_u64 v[12:13], s[26:27], 0, v[0:1]
	s_lshl_b64 s[16:17], s[18:19], 6
	s_xor_b64 s[18:19], s[2:3], -1
	v_mov_b32_e32 v14, 0
	v_mov_b32_e32 v8, 0
	;; [unrolled: 1-line block ×8, first 2 shown]
	s_branch .LBB383_8
.LBB383_7:                              ;   in Loop: Header=BB383_8 Depth=1
	s_or_b64 exec, exec, s[2:3]
	ds_write_b32 v25, v0 offset:4
	s_waitcnt lgkmcnt(0)
	s_barrier
	ds_read2_b64 v[30:33], v27 offset1:16
	ds_read_b128 v[34:37], v28
	ds_read_b128 v[38:41], v28 offset:16
	ds_read_b128 v[4:7], v28 offset:32
	;; [unrolled: 1-line block ×3, first 2 shown]
	ds_read2_b64 v[50:53], v27 offset0:32 offset1:48
	s_waitcnt lgkmcnt(4)
	v_mul_f32_e32 v42, v34, v31
	v_fmac_f32_e32 v42, v35, v30
	v_add_f32_e32 v26, v26, v42
	ds_read_b128 v[42:45], v28 offset:1024
	ds_read_b128 v[46:49], v28 offset:1040
	v_mul_f32_e32 v29, v35, v31
	v_fma_f32 v29, v34, v30, -v29
	v_add_f32_e32 v24, v24, v29
	v_mul_f32_e32 v29, v35, v33
	v_fma_f32 v29, v34, v32, -v29
	v_add_f32_e32 v20, v20, v29
	s_waitcnt lgkmcnt(1)
	v_mul_f32_e32 v29, v43, v31
	v_mul_f32_e32 v31, v42, v31
	v_fma_f32 v29, v42, v30, -v29
	v_fmac_f32_e32 v31, v43, v30
	v_mul_f32_e32 v30, v42, v33
	v_fmac_f32_e32 v30, v43, v32
	v_add_f32_e32 v14, v14, v30
	v_mul_f32_e32 v30, v36, v51
	v_mul_f32_e32 v34, v34, v33
	v_fmac_f32_e32 v30, v37, v50
	v_fmac_f32_e32 v34, v35, v32
	v_add_f32_e32 v26, v26, v30
	v_mul_f32_e32 v30, v36, v53
	v_add_f32_e32 v22, v22, v34
	v_add_f32_e32 v16, v16, v29
	v_mul_f32_e32 v29, v43, v33
	v_fmac_f32_e32 v30, v37, v52
	v_fma_f32 v29, v42, v32, -v29
	v_add_f32_e32 v22, v22, v30
	v_mul_f32_e32 v30, v44, v51
	v_add_f32_e32 v18, v18, v31
	v_add_f32_e32 v8, v8, v29
	v_mul_f32_e32 v29, v37, v51
	v_fmac_f32_e32 v30, v45, v50
	v_fma_f32 v29, v36, v50, -v29
	v_add_f32_e32 v18, v18, v30
	ds_read2_b64 v[30:33], v27 offset0:64 offset1:80
	v_add_f32_e32 v24, v24, v29
	v_mul_f32_e32 v29, v37, v53
	v_fma_f32 v29, v36, v52, -v29
	v_add_f32_e32 v20, v20, v29
	v_mul_f32_e32 v29, v45, v51
	v_mul_f32_e32 v34, v44, v53
	v_fma_f32 v29, v44, v50, -v29
	v_fmac_f32_e32 v34, v45, v52
	v_add_f32_e32 v16, v16, v29
	v_mul_f32_e32 v29, v45, v53
	v_add_f32_e32 v14, v14, v34
	s_waitcnt lgkmcnt(0)
	v_mul_f32_e32 v34, v38, v31
	v_fma_f32 v29, v44, v52, -v29
	v_fmac_f32_e32 v34, v39, v30
	v_add_f32_e32 v8, v8, v29
	v_mul_f32_e32 v29, v39, v31
	v_add_f32_e32 v26, v26, v34
	v_mul_f32_e32 v34, v38, v33
	v_fma_f32 v29, v38, v30, -v29
	v_fmac_f32_e32 v34, v39, v32
	v_add_f32_e32 v24, v24, v29
	v_mul_f32_e32 v29, v39, v33
	v_add_f32_e32 v22, v22, v34
	ds_read2_b64 v[34:37], v27 offset0:96 offset1:112
	v_fma_f32 v29, v38, v32, -v29
	v_add_f32_e32 v20, v20, v29
	v_mul_f32_e32 v29, v47, v31
	v_mul_f32_e32 v31, v46, v31
	v_fma_f32 v29, v46, v30, -v29
	v_fmac_f32_e32 v31, v47, v30
	v_mul_f32_e32 v30, v46, v33
	v_fmac_f32_e32 v30, v47, v32
	v_add_f32_e32 v14, v14, v30
	s_waitcnt lgkmcnt(0)
	v_mul_f32_e32 v30, v40, v35
	v_fmac_f32_e32 v30, v41, v34
	v_add_f32_e32 v16, v16, v29
	v_mul_f32_e32 v29, v47, v33
	v_add_f32_e32 v26, v26, v30
	v_mul_f32_e32 v30, v40, v37
	v_fma_f32 v29, v46, v32, -v29
	v_fmac_f32_e32 v30, v41, v36
	v_add_f32_e32 v8, v8, v29
	v_mul_f32_e32 v29, v41, v35
	v_add_f32_e32 v22, v22, v30
	v_mul_f32_e32 v30, v48, v35
	v_add_f32_e32 v18, v18, v31
	v_fma_f32 v29, v40, v34, -v29
	v_fmac_f32_e32 v30, v49, v34
	v_add_f32_e32 v24, v24, v29
	v_mul_f32_e32 v29, v41, v37
	v_add_f32_e32 v18, v18, v30
	ds_read2_b64 v[30:33], v27 offset0:128 offset1:144
	v_fma_f32 v29, v40, v36, -v29
	v_add_f32_e32 v20, v20, v29
	v_mul_f32_e32 v29, v49, v35
	v_fma_f32 v29, v48, v34, -v29
	v_mul_f32_e32 v34, v48, v37
	v_fmac_f32_e32 v34, v49, v36
	v_add_f32_e32 v14, v14, v34
	s_waitcnt lgkmcnt(0)
	v_mul_f32_e32 v34, v4, v31
	v_add_f32_e32 v16, v16, v29
	v_mul_f32_e32 v29, v49, v37
	v_fmac_f32_e32 v34, v5, v30
	v_fma_f32 v29, v48, v36, -v29
	v_add_f32_e32 v26, v26, v34
	ds_read_b128 v[34:37], v28 offset:1056
	ds_read_b128 v[38:41], v28 offset:1072
	v_add_f32_e32 v8, v8, v29
	v_mul_f32_e32 v29, v5, v31
	v_fma_f32 v29, v4, v30, -v29
	v_add_f32_e32 v24, v24, v29
	v_mul_f32_e32 v29, v5, v33
	v_fma_f32 v29, v4, v32, -v29
	v_mul_f32_e32 v4, v4, v33
	ds_read2_b64 v[42:45], v27 offset0:160 offset1:176
	v_fmac_f32_e32 v4, v5, v32
	v_add_f32_e32 v5, v20, v29
	s_waitcnt lgkmcnt(2)
	v_mul_f32_e32 v20, v35, v31
	v_fma_f32 v20, v34, v30, -v20
	v_add_f32_e32 v16, v16, v20
	v_mul_f32_e32 v20, v35, v33
	v_add_f32_e32 v4, v22, v4
	v_mul_f32_e32 v22, v34, v31
	v_fma_f32 v20, v34, v32, -v20
	v_fmac_f32_e32 v22, v35, v30
	v_add_f32_e32 v8, v8, v20
	s_waitcnt lgkmcnt(0)
	v_mul_f32_e32 v20, v7, v43
	v_add_f32_e32 v18, v18, v22
	v_mul_f32_e32 v22, v34, v33
	v_fma_f32 v20, v6, v42, -v20
	v_fmac_f32_e32 v22, v35, v32
	v_add_f32_e32 v20, v24, v20
	v_mul_f32_e32 v24, v7, v45
	v_add_f32_e32 v14, v14, v22
	v_mul_f32_e32 v22, v6, v43
	v_fma_f32 v24, v6, v44, -v24
	v_mul_f32_e32 v6, v6, v45
	v_fmac_f32_e32 v22, v7, v42
	v_fmac_f32_e32 v6, v7, v44
	v_add_f32_e32 v22, v26, v22
	v_add_f32_e32 v26, v4, v6
	v_mul_f32_e32 v4, v37, v43
	v_add_f32_e32 v24, v5, v24
	v_fma_f32 v4, v36, v42, -v4
	v_mul_f32_e32 v5, v36, v43
	v_fmac_f32_e32 v5, v37, v42
	v_add_f32_e32 v16, v16, v4
	v_mul_f32_e32 v4, v37, v45
	v_add_f32_e32 v18, v18, v5
	v_fma_f32 v29, v36, v44, -v4
	ds_read2_b64 v[4:7], v27 offset0:192 offset1:208
	v_mul_f32_e32 v30, v36, v45
	v_fmac_f32_e32 v30, v37, v44
	v_add_f32_e32 v8, v8, v29
	v_add_f32_e32 v14, v14, v30
	s_waitcnt lgkmcnt(0)
	v_mul_f32_e32 v29, v1, v5
	v_fma_f32 v29, v0, v4, -v29
	v_mul_f32_e32 v30, v0, v5
	v_fmac_f32_e32 v30, v1, v4
	v_add_f32_e32 v20, v20, v29
	v_mul_f32_e32 v29, v1, v7
	v_add_f32_e32 v22, v22, v30
	v_fma_f32 v29, v0, v6, -v29
	v_mul_f32_e32 v0, v0, v7
	ds_read2_b64 v[30:33], v27 offset0:224 offset1:240
	v_fmac_f32_e32 v0, v1, v6
	v_add_f32_e32 v1, v24, v29
	v_mul_f32_e32 v24, v39, v5
	v_fma_f32 v24, v38, v4, -v24
	v_mul_f32_e32 v5, v38, v5
	v_fmac_f32_e32 v5, v39, v4
	v_add_f32_e32 v4, v16, v24
	v_mul_f32_e32 v16, v39, v7
	v_fma_f32 v16, v38, v6, -v16
	v_mul_f32_e32 v7, v38, v7
	v_fmac_f32_e32 v7, v39, v6
	v_add_f32_e32 v6, v8, v16
	s_waitcnt lgkmcnt(0)
	v_mul_f32_e32 v8, v3, v31
	v_fma_f32 v8, v2, v30, -v8
	v_add_f32_e32 v24, v20, v8
	v_mul_f32_e32 v8, v3, v33
	v_add_f32_e32 v7, v14, v7
	v_mul_f32_e32 v14, v2, v31
	v_fma_f32 v8, v2, v32, -v8
	v_mul_f32_e32 v2, v2, v33
	v_add_f32_e32 v0, v26, v0
	v_fmac_f32_e32 v14, v3, v30
	v_fmac_f32_e32 v2, v3, v32
	v_add_f32_e32 v26, v22, v14
	v_add_f32_e32 v20, v1, v8
	;; [unrolled: 1-line block ×3, first 2 shown]
	v_mul_f32_e32 v0, v41, v31
	v_mul_f32_e32 v1, v40, v31
	v_add_f32_e32 v5, v18, v5
	v_fma_f32 v0, v40, v30, -v0
	v_fmac_f32_e32 v1, v41, v30
	v_add_f32_e32 v16, v4, v0
	v_add_f32_e32 v18, v5, v1
	v_mul_f32_e32 v0, v41, v33
	v_mul_f32_e32 v1, v40, v33
	v_fma_f32 v0, v40, v32, -v0
	v_fmac_f32_e32 v1, v41, v32
	s_add_i32 s5, s5, 8
	v_add_f32_e32 v8, v6, v0
	v_add_f32_e32 v14, v7, v1
	v_lshl_add_u64 v[10:11], v[10:11], 0, 64
	s_cmp_lt_i32 s5, s9
	v_lshl_add_u64 v[12:13], v[12:13], 0, s[16:17]
	s_barrier
	s_cbranch_scc0 .LBB383_14
.LBB383_8:                              ; =>This Inner Loop Header: Depth=1
	v_add_u32_e32 v0, s5, v21
	v_cmp_gt_i32_e64 s[2:3], s9, v0
	s_and_b64 s[22:23], vcc, s[2:3]
	v_mov_b32_e32 v0, 0
	v_mov_b32_e32 v1, 0
	s_and_saveexec_b64 s[2:3], s[22:23]
	s_cbranch_execz .LBB383_10
; %bb.9:                                ;   in Loop: Header=BB383_8 Depth=1
	flat_load_dwordx2 v[0:1], v[10:11]
.LBB383_10:                             ;   in Loop: Header=BB383_8 Depth=1
	s_or_b64 exec, exec, s[2:3]
	s_waitcnt vmcnt(0) lgkmcnt(0)
	ds_write_b64 v23, v[0:1]
	v_add_u32_e32 v0, s5, v19
	v_cmp_le_i32_e64 s[2:3], s9, v0
	s_or_b64 s[2:3], s[2:3], s[18:19]
	s_and_saveexec_b64 s[22:23], s[2:3]
	s_xor_b64 s[2:3], exec, s[22:23]
; %bb.11:                               ;   in Loop: Header=BB383_8 Depth=1
	ds_write_b32 v25, v9
; %bb.12:                               ;   in Loop: Header=BB383_8 Depth=1
	s_or_saveexec_b64 s[2:3], s[2:3]
	v_mov_b32_e32 v0, 0
	s_xor_b64 exec, exec, s[2:3]
	s_cbranch_execz .LBB383_7
; %bb.13:                               ;   in Loop: Header=BB383_8 Depth=1
	flat_load_dwordx2 v[2:3], v[12:13]
	s_waitcnt vmcnt(0) lgkmcnt(0)
	v_xor_b32_e32 v0, 0x80000000, v3
	ds_write_b32 v25, v2
	s_branch .LBB383_7
.LBB383_14:
	s_load_dwordx2 s[2:3], s[0:1], 0x58
	s_load_dword s9, s[0:1], 0x50
	v_add_u32_e32 v0, s4, v15
	v_add_u32_e32 v9, s20, v17
	v_cmp_neq_f32_e64 s[0:1], s6, 0
	s_waitcnt lgkmcnt(0)
	s_lshl_b64 s[2:3], s[2:3], 3
	s_add_u32 s4, s14, s2
	s_addc_u32 s5, s15, s3
	s_xor_b64 s[12:13], s[12:13], -1
	v_mad_i64_i32 v[2:3], s[14:15], v9, s9, 0
	s_or_b64 s[0:1], s[0:1], s[12:13]
	v_cmp_gt_i32_e64 s[2:3], s8, v9
	v_lshl_add_u64 v[4:5], v[2:3], 3, s[4:5]
	v_cmp_le_i32_e32 vcc, v0, v9
	v_cndmask_b32_e64 v2, 0, 1, s[0:1]
	s_and_b64 s[14:15], s[2:3], vcc
	v_ashrrev_i32_e32 v1, 31, v0
	v_cmp_ne_u32_e64 s[0:1], 1, v2
	s_and_saveexec_b64 s[12:13], s[14:15]
	s_cbranch_execz .LBB383_18
; %bb.15:
	v_pk_mul_f32 v[6:7], v[26:27], s[10:11] op_sel:[0,1] op_sel_hi:[0,0]
	v_pk_fma_f32 v[2:3], v[24:25], s[10:11], v[6:7] op_sel_hi:[0,1,1] neg_lo:[0,0,1] neg_hi:[0,0,1]
	v_pk_fma_f32 v[10:11], v[24:25], s[10:11], v[6:7] op_sel_hi:[0,1,1]
	s_and_b64 vcc, exec, s[0:1]
	v_lshl_add_u64 v[6:7], v[0:1], 3, v[4:5]
	s_cbranch_vccnz .LBB383_17
; %bb.16:
	flat_load_dwordx2 v[12:13], v[6:7]
	s_mov_b32 s14, s7
	v_mov_b32_e32 v3, v11
	s_waitcnt vmcnt(0) lgkmcnt(0)
	v_pk_mul_f32 v[10:11], v[12:13], s[14:15] op_sel:[1,0] op_sel_hi:[0,0]
	v_pk_fma_f32 v[24:25], v[12:13], s[6:7], v[10:11] neg_lo:[0,0,1] neg_hi:[0,0,1]
	v_pk_fma_f32 v[10:11], v[12:13], s[6:7], v[10:11] op_sel_hi:[1,0,1]
	s_nop 0
	v_mov_b32_e32 v25, v11
	v_pk_add_f32 v[2:3], v[2:3], v[24:25]
	s_nop 0
	v_mov_b32_e32 v11, v3
.LBB383_17:
	v_mov_b32_e32 v3, v11
	flat_store_dwordx2 v[6:7], v[2:3]
.LBB383_18:
	s_or_b64 exec, exec, s[12:13]
	v_add_u32_e32 v2, 16, v0
	v_cmp_le_i32_e32 vcc, v2, v9
	s_and_b64 s[12:13], s[2:3], vcc
	v_ashrrev_i32_e32 v3, 31, v2
	s_and_saveexec_b64 s[2:3], s[12:13]
	s_cbranch_execz .LBB383_22
; %bb.19:
	v_pk_mul_f32 v[10:11], v[22:23], s[10:11] op_sel:[0,1] op_sel_hi:[0,0]
	v_pk_fma_f32 v[6:7], v[20:21], s[10:11], v[10:11] op_sel_hi:[0,1,1] neg_lo:[0,0,1] neg_hi:[0,0,1]
	v_pk_fma_f32 v[10:11], v[20:21], s[10:11], v[10:11] op_sel_hi:[0,1,1]
	s_and_b64 vcc, exec, s[0:1]
	v_lshl_add_u64 v[4:5], v[2:3], 3, v[4:5]
	s_cbranch_vccnz .LBB383_21
; %bb.20:
	flat_load_dwordx2 v[12:13], v[4:5]
	s_mov_b32 s12, s7
	v_mov_b32_e32 v7, v11
	s_waitcnt vmcnt(0) lgkmcnt(0)
	v_pk_mul_f32 v[10:11], v[12:13], s[12:13] op_sel:[1,0] op_sel_hi:[0,0]
	v_pk_fma_f32 v[20:21], v[12:13], s[6:7], v[10:11] neg_lo:[0,0,1] neg_hi:[0,0,1]
	v_pk_fma_f32 v[10:11], v[12:13], s[6:7], v[10:11] op_sel_hi:[1,0,1]
	s_nop 0
	v_mov_b32_e32 v21, v11
	v_pk_add_f32 v[6:7], v[6:7], v[20:21]
	s_nop 0
	v_mov_b32_e32 v11, v7
.LBB383_21:
	v_mov_b32_e32 v7, v11
	flat_store_dwordx2 v[4:5], v[6:7]
.LBB383_22:
	s_or_b64 exec, exec, s[2:3]
	v_add_u32_e32 v9, 16, v9
	v_cmp_gt_i32_e64 s[2:3], s8, v9
	v_mad_i64_i32 v[4:5], s[8:9], v9, s9, 0
	v_cmp_le_i32_e32 vcc, v0, v9
	v_lshl_add_u64 v[4:5], v[4:5], 3, s[4:5]
	s_and_b64 s[8:9], s[2:3], vcc
	s_and_saveexec_b64 s[4:5], s[8:9]
	s_cbranch_execz .LBB383_26
; %bb.23:
	v_pk_mul_f32 v[10:11], v[18:19], s[10:11] op_sel:[0,1] op_sel_hi:[0,0]
	v_pk_fma_f32 v[6:7], v[16:17], s[10:11], v[10:11] op_sel_hi:[0,1,1] neg_lo:[0,0,1] neg_hi:[0,0,1]
	v_pk_fma_f32 v[10:11], v[16:17], s[10:11], v[10:11] op_sel_hi:[0,1,1]
	s_and_b64 vcc, exec, s[0:1]
	v_lshl_add_u64 v[0:1], v[0:1], 3, v[4:5]
	s_cbranch_vccnz .LBB383_25
; %bb.24:
	flat_load_dwordx2 v[12:13], v[0:1]
	s_mov_b32 s8, s7
	v_mov_b32_e32 v7, v11
	s_waitcnt vmcnt(0) lgkmcnt(0)
	v_pk_mul_f32 v[10:11], v[12:13], s[8:9] op_sel:[1,0] op_sel_hi:[0,0]
	v_pk_fma_f32 v[16:17], v[12:13], s[6:7], v[10:11] neg_lo:[0,0,1] neg_hi:[0,0,1]
	v_pk_fma_f32 v[10:11], v[12:13], s[6:7], v[10:11] op_sel_hi:[1,0,1]
	s_nop 0
	v_mov_b32_e32 v17, v11
	v_pk_add_f32 v[6:7], v[6:7], v[16:17]
	s_nop 0
	v_mov_b32_e32 v11, v7
.LBB383_25:
	v_mov_b32_e32 v7, v11
	flat_store_dwordx2 v[0:1], v[6:7]
.LBB383_26:
	s_or_b64 exec, exec, s[4:5]
	v_cmp_le_i32_e32 vcc, v2, v9
	s_and_b64 s[2:3], s[2:3], vcc
	s_and_saveexec_b64 s[4:5], s[2:3]
	s_cbranch_execz .LBB383_30
; %bb.27:
	v_pk_mul_f32 v[6:7], v[14:15], s[10:11] op_sel:[0,1] op_sel_hi:[0,0]
	v_pk_fma_f32 v[0:1], v[8:9], s[10:11], v[6:7] op_sel_hi:[0,1,1] neg_lo:[0,0,1] neg_hi:[0,0,1]
	v_pk_fma_f32 v[6:7], v[8:9], s[10:11], v[6:7] op_sel_hi:[0,1,1]
	s_and_b64 vcc, exec, s[0:1]
	v_lshl_add_u64 v[2:3], v[2:3], 3, v[4:5]
	s_cbranch_vccnz .LBB383_29
; %bb.28:
	flat_load_dwordx2 v[4:5], v[2:3]
	s_mov_b32 s0, s7
	v_mov_b32_e32 v1, v7
	s_waitcnt vmcnt(0) lgkmcnt(0)
	v_pk_mul_f32 v[6:7], v[4:5], s[0:1] op_sel:[1,0] op_sel_hi:[0,0]
	v_pk_fma_f32 v[8:9], v[4:5], s[6:7], v[6:7] neg_lo:[0,0,1] neg_hi:[0,0,1]
	v_pk_fma_f32 v[4:5], v[4:5], s[6:7], v[6:7] op_sel_hi:[1,0,1]
	s_nop 0
	v_mov_b32_e32 v9, v5
	v_pk_add_f32 v[0:1], v[0:1], v[8:9]
	s_nop 0
	v_mov_b32_e32 v7, v1
.LBB383_29:
	v_mov_b32_e32 v1, v7
	flat_store_dwordx2 v[2:3], v[0:1]
.LBB383_30:
	s_endpgm
	.section	.rodata,"a",@progbits
	.p2align	6, 0x0
	.amdhsa_kernel _ZL29rocblas_internal_gemmt_kernelIiLi16ELi32ELi8ELc84ELc67ELc85ELb0ELb1E19rocblas_complex_numIfES1_PKPKS1_PKPS1_EviT_T9_T10_S9_lSB_S9_lSA_T11_S9_li
		.amdhsa_group_segment_fixed_size 4096
		.amdhsa_private_segment_fixed_size 0
		.amdhsa_kernarg_size 100
		.amdhsa_user_sgpr_count 2
		.amdhsa_user_sgpr_dispatch_ptr 0
		.amdhsa_user_sgpr_queue_ptr 0
		.amdhsa_user_sgpr_kernarg_segment_ptr 1
		.amdhsa_user_sgpr_dispatch_id 0
		.amdhsa_user_sgpr_kernarg_preload_length 0
		.amdhsa_user_sgpr_kernarg_preload_offset 0
		.amdhsa_user_sgpr_private_segment_size 0
		.amdhsa_uses_dynamic_stack 0
		.amdhsa_enable_private_segment 0
		.amdhsa_system_sgpr_workgroup_id_x 1
		.amdhsa_system_sgpr_workgroup_id_y 1
		.amdhsa_system_sgpr_workgroup_id_z 1
		.amdhsa_system_sgpr_workgroup_info 0
		.amdhsa_system_vgpr_workitem_id 1
		.amdhsa_next_free_vgpr 54
		.amdhsa_next_free_sgpr 30
		.amdhsa_accum_offset 56
		.amdhsa_reserve_vcc 1
		.amdhsa_float_round_mode_32 0
		.amdhsa_float_round_mode_16_64 0
		.amdhsa_float_denorm_mode_32 3
		.amdhsa_float_denorm_mode_16_64 3
		.amdhsa_dx10_clamp 1
		.amdhsa_ieee_mode 1
		.amdhsa_fp16_overflow 0
		.amdhsa_tg_split 0
		.amdhsa_exception_fp_ieee_invalid_op 0
		.amdhsa_exception_fp_denorm_src 0
		.amdhsa_exception_fp_ieee_div_zero 0
		.amdhsa_exception_fp_ieee_overflow 0
		.amdhsa_exception_fp_ieee_underflow 0
		.amdhsa_exception_fp_ieee_inexact 0
		.amdhsa_exception_int_div_zero 0
	.end_amdhsa_kernel
	.section	.text._ZL29rocblas_internal_gemmt_kernelIiLi16ELi32ELi8ELc84ELc67ELc85ELb0ELb1E19rocblas_complex_numIfES1_PKPKS1_PKPS1_EviT_T9_T10_S9_lSB_S9_lSA_T11_S9_li,"axG",@progbits,_ZL29rocblas_internal_gemmt_kernelIiLi16ELi32ELi8ELc84ELc67ELc85ELb0ELb1E19rocblas_complex_numIfES1_PKPKS1_PKPS1_EviT_T9_T10_S9_lSB_S9_lSA_T11_S9_li,comdat
.Lfunc_end383:
	.size	_ZL29rocblas_internal_gemmt_kernelIiLi16ELi32ELi8ELc84ELc67ELc85ELb0ELb1E19rocblas_complex_numIfES1_PKPKS1_PKPS1_EviT_T9_T10_S9_lSB_S9_lSA_T11_S9_li, .Lfunc_end383-_ZL29rocblas_internal_gemmt_kernelIiLi16ELi32ELi8ELc84ELc67ELc85ELb0ELb1E19rocblas_complex_numIfES1_PKPKS1_PKPS1_EviT_T9_T10_S9_lSB_S9_lSA_T11_S9_li
                                        ; -- End function
	.set _ZL29rocblas_internal_gemmt_kernelIiLi16ELi32ELi8ELc84ELc67ELc85ELb0ELb1E19rocblas_complex_numIfES1_PKPKS1_PKPS1_EviT_T9_T10_S9_lSB_S9_lSA_T11_S9_li.num_vgpr, 54
	.set _ZL29rocblas_internal_gemmt_kernelIiLi16ELi32ELi8ELc84ELc67ELc85ELb0ELb1E19rocblas_complex_numIfES1_PKPKS1_PKPS1_EviT_T9_T10_S9_lSB_S9_lSA_T11_S9_li.num_agpr, 0
	.set _ZL29rocblas_internal_gemmt_kernelIiLi16ELi32ELi8ELc84ELc67ELc85ELb0ELb1E19rocblas_complex_numIfES1_PKPKS1_PKPS1_EviT_T9_T10_S9_lSB_S9_lSA_T11_S9_li.numbered_sgpr, 30
	.set _ZL29rocblas_internal_gemmt_kernelIiLi16ELi32ELi8ELc84ELc67ELc85ELb0ELb1E19rocblas_complex_numIfES1_PKPKS1_PKPS1_EviT_T9_T10_S9_lSB_S9_lSA_T11_S9_li.num_named_barrier, 0
	.set _ZL29rocblas_internal_gemmt_kernelIiLi16ELi32ELi8ELc84ELc67ELc85ELb0ELb1E19rocblas_complex_numIfES1_PKPKS1_PKPS1_EviT_T9_T10_S9_lSB_S9_lSA_T11_S9_li.private_seg_size, 0
	.set _ZL29rocblas_internal_gemmt_kernelIiLi16ELi32ELi8ELc84ELc67ELc85ELb0ELb1E19rocblas_complex_numIfES1_PKPKS1_PKPS1_EviT_T9_T10_S9_lSB_S9_lSA_T11_S9_li.uses_vcc, 1
	.set _ZL29rocblas_internal_gemmt_kernelIiLi16ELi32ELi8ELc84ELc67ELc85ELb0ELb1E19rocblas_complex_numIfES1_PKPKS1_PKPS1_EviT_T9_T10_S9_lSB_S9_lSA_T11_S9_li.uses_flat_scratch, 0
	.set _ZL29rocblas_internal_gemmt_kernelIiLi16ELi32ELi8ELc84ELc67ELc85ELb0ELb1E19rocblas_complex_numIfES1_PKPKS1_PKPS1_EviT_T9_T10_S9_lSB_S9_lSA_T11_S9_li.has_dyn_sized_stack, 0
	.set _ZL29rocblas_internal_gemmt_kernelIiLi16ELi32ELi8ELc84ELc67ELc85ELb0ELb1E19rocblas_complex_numIfES1_PKPKS1_PKPS1_EviT_T9_T10_S9_lSB_S9_lSA_T11_S9_li.has_recursion, 0
	.set _ZL29rocblas_internal_gemmt_kernelIiLi16ELi32ELi8ELc84ELc67ELc85ELb0ELb1E19rocblas_complex_numIfES1_PKPKS1_PKPS1_EviT_T9_T10_S9_lSB_S9_lSA_T11_S9_li.has_indirect_call, 0
	.section	.AMDGPU.csdata,"",@progbits
; Kernel info:
; codeLenInByte = 2500
; TotalNumSgprs: 36
; NumVgprs: 54
; NumAgprs: 0
; TotalNumVgprs: 54
; ScratchSize: 0
; MemoryBound: 0
; FloatMode: 240
; IeeeMode: 1
; LDSByteSize: 4096 bytes/workgroup (compile time only)
; SGPRBlocks: 4
; VGPRBlocks: 6
; NumSGPRsForWavesPerEU: 36
; NumVGPRsForWavesPerEU: 54
; AccumOffset: 56
; Occupancy: 8
; WaveLimiterHint : 1
; COMPUTE_PGM_RSRC2:SCRATCH_EN: 0
; COMPUTE_PGM_RSRC2:USER_SGPR: 2
; COMPUTE_PGM_RSRC2:TRAP_HANDLER: 0
; COMPUTE_PGM_RSRC2:TGID_X_EN: 1
; COMPUTE_PGM_RSRC2:TGID_Y_EN: 1
; COMPUTE_PGM_RSRC2:TGID_Z_EN: 1
; COMPUTE_PGM_RSRC2:TIDIG_COMP_CNT: 1
; COMPUTE_PGM_RSRC3_GFX90A:ACCUM_OFFSET: 13
; COMPUTE_PGM_RSRC3_GFX90A:TG_SPLIT: 0
	.section	.text._ZL29rocblas_internal_gemmt_kernelIiLi16ELi32ELi8ELc67ELc78ELc85ELb1ELb0E19rocblas_complex_numIfES1_PKPKS1_PKPS1_EviT_T9_T10_S9_lSB_S9_lSA_T11_S9_li,"axG",@progbits,_ZL29rocblas_internal_gemmt_kernelIiLi16ELi32ELi8ELc67ELc78ELc85ELb1ELb0E19rocblas_complex_numIfES1_PKPKS1_PKPS1_EviT_T9_T10_S9_lSB_S9_lSA_T11_S9_li,comdat
	.globl	_ZL29rocblas_internal_gemmt_kernelIiLi16ELi32ELi8ELc67ELc78ELc85ELb1ELb0E19rocblas_complex_numIfES1_PKPKS1_PKPS1_EviT_T9_T10_S9_lSB_S9_lSA_T11_S9_li ; -- Begin function _ZL29rocblas_internal_gemmt_kernelIiLi16ELi32ELi8ELc67ELc78ELc85ELb1ELb0E19rocblas_complex_numIfES1_PKPKS1_PKPS1_EviT_T9_T10_S9_lSB_S9_lSA_T11_S9_li
	.p2align	8
	.type	_ZL29rocblas_internal_gemmt_kernelIiLi16ELi32ELi8ELc67ELc78ELc85ELb1ELb0E19rocblas_complex_numIfES1_PKPKS1_PKPS1_EviT_T9_T10_S9_lSB_S9_lSA_T11_S9_li,@function
_ZL29rocblas_internal_gemmt_kernelIiLi16ELi32ELi8ELc67ELc78ELc85ELb1ELb0E19rocblas_complex_numIfES1_PKPKS1_PKPS1_EviT_T9_T10_S9_lSB_S9_lSA_T11_S9_li: ; @_ZL29rocblas_internal_gemmt_kernelIiLi16ELi32ELi8ELc67ELc78ELc85ELb1ELb0E19rocblas_complex_numIfES1_PKPKS1_PKPS1_EviT_T9_T10_S9_lSB_S9_lSA_T11_S9_li
; %bb.0:
	s_load_dwordx2 s[6:7], s[0:1], 0x40
	s_load_dwordx4 s[8:11], s[0:1], 0x0
	s_waitcnt lgkmcnt(0)
	s_and_b32 s5, s7, 0x7fffffff
	s_cmp_eq_u32 s5, 0
	v_cmp_eq_f32_e64 s[14:15], s6, 1.0
	s_cselect_b64 s[12:13], -1, 0
	s_and_b64 s[14:15], s[14:15], s[12:13]
	s_and_b64 vcc, exec, s[14:15]
	s_cbranch_vccnz .LBB384_2
; %bb.1:
	s_mov_b64 s[14:15], -1
	s_cbranch_execz .LBB384_3
	s_branch .LBB384_4
.LBB384_2:
	s_mov_b64 s[14:15], 0
.LBB384_3:
	s_cmp_lg_u32 s9, 0
	v_cmp_neq_f32_e64 s[16:17], s10, 0
	v_cmp_neq_f32_e64 s[18:19], s11, 0
	s_cselect_b64 s[14:15], -1, 0
	s_or_b64 s[16:17], s[16:17], s[18:19]
	s_and_b64 s[14:15], s[14:15], s[16:17]
.LBB384_4:
	s_andn2_b64 vcc, exec, s[14:15]
	s_cbranch_vccnz .LBB384_30
; %bb.5:
	s_load_dwordx2 s[14:15], s[0:1], 0x48
	s_mov_b32 s5, 0
	s_lshl_b64 s[16:17], s[4:5], 3
	v_cmp_eq_f32_e64 s[20:21], s11, 0
	v_and_b32_e32 v15, 0x3ff, v0
	s_waitcnt lgkmcnt(0)
	s_add_u32 s14, s14, s16
	s_addc_u32 s15, s15, s17
	s_lshl_b32 s4, s2, 5
	s_lshl_b32 s18, s3, 5
	v_cmp_eq_f32_e64 s[2:3], s10, 0
	s_load_dwordx2 s[14:15], s[14:15], 0x0
	s_and_b64 s[2:3], s[2:3], s[20:21]
	s_cmp_lt_i32 s9, 1
	s_cselect_b64 s[20:21], -1, 0
	s_or_b64 s[2:3], s[2:3], s[20:21]
	v_bfe_u32 v17, v0, 10, 10
	v_mov_b32_e32 v24, 0
	s_and_b64 vcc, exec, s[2:3]
	v_mov_b32_e32 v26, 0
	v_mov_b32_e32 v20, 0
	v_mov_b32_e32 v22, 0
	v_mov_b32_e32 v16, 0
	v_mov_b32_e32 v18, 0
	v_mov_b32_e32 v8, 0
	v_mov_b32_e32 v14, 0
	s_cbranch_vccnz .LBB384_14
; %bb.6:
	s_load_dwordx2 s[2:3], s[0:1], 0x10
	s_load_dword s19, s[0:1], 0x18
	s_load_dwordx4 s[20:23], s[0:1], 0x20
	s_load_dword s28, s[0:1], 0x30
	s_load_dwordx2 s[24:25], s[0:1], 0x38
	v_lshl_add_u32 v0, v17, 4, v15
	v_and_b32_e32 v2, 31, v0
	s_waitcnt lgkmcnt(0)
	s_add_u32 s22, s22, s16
	s_addc_u32 s23, s23, s17
	s_add_u32 s2, s2, s16
	v_lshrrev_b32_e32 v21, 5, v0
	v_lshrrev_b32_e32 v1, 3, v0
	v_or_b32_e32 v0, s4, v2
	s_addc_u32 s3, s3, s17
	v_and_b32_e32 v19, 7, v15
	s_load_dwordx2 s[16:17], s[2:3], 0x0
	v_cmp_gt_i32_e64 s[2:3], s8, v0
	v_lshlrev_b32_e32 v0, 3, v2
	v_lshl_or_b32 v23, v21, 8, v0
	v_lshlrev_b32_e32 v0, 3, v19
	v_add_u32_e32 v4, s18, v1
	v_lshl_or_b32 v1, v1, 6, v0
	v_add_u32_e32 v25, 0x800, v1
	v_mov_b32_e32 v1, 0x800
	v_lshl_add_u32 v28, v17, 6, v1
	v_add_u32_e32 v1, s4, v2
	v_mad_i64_i32 v[2:3], s[26:27], s19, v1, 0
	s_lshl_b64 s[20:21], s[20:21], 3
	v_lshl_add_u64 v[2:3], v[2:3], 3, s[20:21]
	v_lshlrev_b32_e32 v8, 3, v21
	v_mov_b32_e32 v9, 0
	s_load_dwordx2 s[22:23], s[22:23], 0x0
	v_lshl_add_u64 v[2:3], v[2:3], 0, v[8:9]
	s_waitcnt lgkmcnt(0)
	v_lshl_add_u64 v[10:11], s[16:17], 0, v[2:3]
	v_mad_i64_i32 v[2:3], s[16:17], s28, v4, 0
	s_lshl_b64 s[16:17], s[24:25], 3
	s_nop 0
	v_lshl_add_u64 v[2:3], v[2:3], 3, s[16:17]
	v_mov_b32_e32 v1, v9
	v_lshl_add_u64 v[0:1], v[2:3], 0, v[0:1]
	v_cmp_gt_i32_e32 vcc, s8, v4
	v_lshlrev_b32_e32 v27, 3, v15
	v_lshl_add_u64 v[12:13], s[22:23], 0, v[0:1]
	s_xor_b64 s[16:17], s[2:3], -1
	v_mov_b32_e32 v14, 0
	v_mov_b32_e32 v8, 0
	v_mov_b32_e32 v18, 0
	v_mov_b32_e32 v16, 0
	v_mov_b32_e32 v22, 0
	v_mov_b32_e32 v20, 0
	v_mov_b32_e32 v26, 0
	v_mov_b32_e32 v24, 0
	s_branch .LBB384_8
.LBB384_7:                              ;   in Loop: Header=BB384_8 Depth=1
	s_or_b64 exec, exec, s[2:3]
	s_waitcnt vmcnt(0) lgkmcnt(0)
	ds_write_b64 v25, v[2:3]
	s_waitcnt lgkmcnt(0)
	s_barrier
	ds_read2_b64 v[30:33], v27 offset1:16
	ds_read_b128 v[34:37], v28
	ds_read_b128 v[38:41], v28 offset:16
	ds_read_b128 v[4:7], v28 offset:32
	;; [unrolled: 1-line block ×3, first 2 shown]
	ds_read2_b64 v[50:53], v27 offset0:32 offset1:48
	s_waitcnt lgkmcnt(4)
	v_mul_f32_e32 v42, v34, v31
	v_fmac_f32_e32 v42, v35, v30
	v_add_f32_e32 v26, v26, v42
	ds_read_b128 v[42:45], v28 offset:1024
	ds_read_b128 v[46:49], v28 offset:1040
	v_mul_f32_e32 v29, v35, v31
	v_fma_f32 v29, v34, v30, -v29
	v_add_f32_e32 v24, v24, v29
	v_mul_f32_e32 v29, v35, v33
	v_fma_f32 v29, v34, v32, -v29
	v_add_f32_e32 v20, v20, v29
	s_waitcnt lgkmcnt(1)
	v_mul_f32_e32 v29, v43, v31
	v_mul_f32_e32 v31, v42, v31
	v_fma_f32 v29, v42, v30, -v29
	v_fmac_f32_e32 v31, v43, v30
	v_mul_f32_e32 v30, v42, v33
	v_fmac_f32_e32 v30, v43, v32
	v_add_f32_e32 v14, v14, v30
	v_mul_f32_e32 v30, v36, v51
	v_mul_f32_e32 v34, v34, v33
	v_fmac_f32_e32 v30, v37, v50
	v_fmac_f32_e32 v34, v35, v32
	v_add_f32_e32 v26, v26, v30
	v_mul_f32_e32 v30, v36, v53
	v_add_f32_e32 v22, v22, v34
	v_add_f32_e32 v16, v16, v29
	v_mul_f32_e32 v29, v43, v33
	v_fmac_f32_e32 v30, v37, v52
	v_fma_f32 v29, v42, v32, -v29
	v_add_f32_e32 v22, v22, v30
	v_mul_f32_e32 v30, v44, v51
	v_add_f32_e32 v18, v18, v31
	v_add_f32_e32 v8, v8, v29
	v_mul_f32_e32 v29, v37, v51
	v_fmac_f32_e32 v30, v45, v50
	v_fma_f32 v29, v36, v50, -v29
	v_add_f32_e32 v18, v18, v30
	ds_read2_b64 v[30:33], v27 offset0:64 offset1:80
	v_add_f32_e32 v24, v24, v29
	v_mul_f32_e32 v29, v37, v53
	v_fma_f32 v29, v36, v52, -v29
	v_add_f32_e32 v20, v20, v29
	v_mul_f32_e32 v29, v45, v51
	v_mul_f32_e32 v34, v44, v53
	v_fma_f32 v29, v44, v50, -v29
	v_fmac_f32_e32 v34, v45, v52
	v_add_f32_e32 v16, v16, v29
	v_mul_f32_e32 v29, v45, v53
	v_add_f32_e32 v14, v14, v34
	s_waitcnt lgkmcnt(0)
	v_mul_f32_e32 v34, v38, v31
	v_fma_f32 v29, v44, v52, -v29
	v_fmac_f32_e32 v34, v39, v30
	v_add_f32_e32 v8, v8, v29
	v_mul_f32_e32 v29, v39, v31
	v_add_f32_e32 v26, v26, v34
	v_mul_f32_e32 v34, v38, v33
	v_fma_f32 v29, v38, v30, -v29
	v_fmac_f32_e32 v34, v39, v32
	v_add_f32_e32 v24, v24, v29
	v_mul_f32_e32 v29, v39, v33
	v_add_f32_e32 v22, v22, v34
	ds_read2_b64 v[34:37], v27 offset0:96 offset1:112
	v_fma_f32 v29, v38, v32, -v29
	v_add_f32_e32 v20, v20, v29
	v_mul_f32_e32 v29, v47, v31
	v_mul_f32_e32 v31, v46, v31
	v_fma_f32 v29, v46, v30, -v29
	v_fmac_f32_e32 v31, v47, v30
	v_mul_f32_e32 v30, v46, v33
	v_fmac_f32_e32 v30, v47, v32
	v_add_f32_e32 v14, v14, v30
	s_waitcnt lgkmcnt(0)
	v_mul_f32_e32 v30, v40, v35
	v_fmac_f32_e32 v30, v41, v34
	v_add_f32_e32 v16, v16, v29
	v_mul_f32_e32 v29, v47, v33
	v_add_f32_e32 v26, v26, v30
	v_mul_f32_e32 v30, v40, v37
	v_fma_f32 v29, v46, v32, -v29
	v_fmac_f32_e32 v30, v41, v36
	v_add_f32_e32 v8, v8, v29
	v_mul_f32_e32 v29, v41, v35
	v_add_f32_e32 v22, v22, v30
	v_mul_f32_e32 v30, v48, v35
	v_add_f32_e32 v18, v18, v31
	v_fma_f32 v29, v40, v34, -v29
	v_fmac_f32_e32 v30, v49, v34
	v_add_f32_e32 v24, v24, v29
	v_mul_f32_e32 v29, v41, v37
	v_add_f32_e32 v18, v18, v30
	ds_read2_b64 v[30:33], v27 offset0:128 offset1:144
	v_fma_f32 v29, v40, v36, -v29
	v_add_f32_e32 v20, v20, v29
	v_mul_f32_e32 v29, v49, v35
	v_fma_f32 v29, v48, v34, -v29
	v_mul_f32_e32 v34, v48, v37
	v_fmac_f32_e32 v34, v49, v36
	v_add_f32_e32 v14, v14, v34
	s_waitcnt lgkmcnt(0)
	v_mul_f32_e32 v34, v4, v31
	v_add_f32_e32 v16, v16, v29
	v_mul_f32_e32 v29, v49, v37
	v_fmac_f32_e32 v34, v5, v30
	v_fma_f32 v29, v48, v36, -v29
	v_add_f32_e32 v26, v26, v34
	ds_read_b128 v[34:37], v28 offset:1056
	ds_read_b128 v[38:41], v28 offset:1072
	v_add_f32_e32 v8, v8, v29
	v_mul_f32_e32 v29, v5, v31
	v_fma_f32 v29, v4, v30, -v29
	v_add_f32_e32 v24, v24, v29
	v_mul_f32_e32 v29, v5, v33
	v_fma_f32 v29, v4, v32, -v29
	v_mul_f32_e32 v4, v4, v33
	ds_read2_b64 v[42:45], v27 offset0:160 offset1:176
	v_fmac_f32_e32 v4, v5, v32
	v_add_f32_e32 v5, v20, v29
	s_waitcnt lgkmcnt(2)
	v_mul_f32_e32 v20, v35, v31
	v_fma_f32 v20, v34, v30, -v20
	v_add_f32_e32 v16, v16, v20
	v_mul_f32_e32 v20, v35, v33
	v_add_f32_e32 v4, v22, v4
	v_mul_f32_e32 v22, v34, v31
	v_fma_f32 v20, v34, v32, -v20
	v_fmac_f32_e32 v22, v35, v30
	v_add_f32_e32 v8, v8, v20
	s_waitcnt lgkmcnt(0)
	v_mul_f32_e32 v20, v7, v43
	v_add_f32_e32 v18, v18, v22
	v_mul_f32_e32 v22, v34, v33
	v_fma_f32 v20, v6, v42, -v20
	v_fmac_f32_e32 v22, v35, v32
	v_add_f32_e32 v20, v24, v20
	v_mul_f32_e32 v24, v7, v45
	v_add_f32_e32 v14, v14, v22
	v_mul_f32_e32 v22, v6, v43
	v_fma_f32 v24, v6, v44, -v24
	v_mul_f32_e32 v6, v6, v45
	v_fmac_f32_e32 v22, v7, v42
	v_fmac_f32_e32 v6, v7, v44
	v_add_f32_e32 v22, v26, v22
	v_add_f32_e32 v26, v4, v6
	v_mul_f32_e32 v4, v37, v43
	v_add_f32_e32 v24, v5, v24
	v_fma_f32 v4, v36, v42, -v4
	v_mul_f32_e32 v5, v36, v43
	v_fmac_f32_e32 v5, v37, v42
	v_add_f32_e32 v16, v16, v4
	v_mul_f32_e32 v4, v37, v45
	v_add_f32_e32 v18, v18, v5
	v_fma_f32 v29, v36, v44, -v4
	ds_read2_b64 v[4:7], v27 offset0:192 offset1:208
	v_mul_f32_e32 v30, v36, v45
	v_fmac_f32_e32 v30, v37, v44
	v_add_f32_e32 v8, v8, v29
	v_add_f32_e32 v14, v14, v30
	s_waitcnt lgkmcnt(0)
	v_mul_f32_e32 v29, v1, v5
	v_fma_f32 v29, v0, v4, -v29
	v_mul_f32_e32 v30, v0, v5
	v_fmac_f32_e32 v30, v1, v4
	v_add_f32_e32 v20, v20, v29
	v_mul_f32_e32 v29, v1, v7
	v_add_f32_e32 v22, v22, v30
	v_fma_f32 v29, v0, v6, -v29
	v_mul_f32_e32 v0, v0, v7
	ds_read2_b64 v[30:33], v27 offset0:224 offset1:240
	v_fmac_f32_e32 v0, v1, v6
	v_add_f32_e32 v1, v24, v29
	v_mul_f32_e32 v24, v39, v5
	v_fma_f32 v24, v38, v4, -v24
	v_mul_f32_e32 v5, v38, v5
	v_fmac_f32_e32 v5, v39, v4
	v_add_f32_e32 v4, v16, v24
	v_mul_f32_e32 v16, v39, v7
	v_fma_f32 v16, v38, v6, -v16
	v_mul_f32_e32 v7, v38, v7
	v_fmac_f32_e32 v7, v39, v6
	v_add_f32_e32 v6, v8, v16
	s_waitcnt lgkmcnt(0)
	v_mul_f32_e32 v8, v3, v31
	v_fma_f32 v8, v2, v30, -v8
	v_add_f32_e32 v24, v20, v8
	v_mul_f32_e32 v8, v3, v33
	v_add_f32_e32 v7, v14, v7
	v_mul_f32_e32 v14, v2, v31
	v_fma_f32 v8, v2, v32, -v8
	v_mul_f32_e32 v2, v2, v33
	v_add_f32_e32 v0, v26, v0
	v_fmac_f32_e32 v14, v3, v30
	v_fmac_f32_e32 v2, v3, v32
	v_add_f32_e32 v26, v22, v14
	v_add_f32_e32 v20, v1, v8
	;; [unrolled: 1-line block ×3, first 2 shown]
	v_mul_f32_e32 v0, v41, v31
	v_mul_f32_e32 v1, v40, v31
	v_add_f32_e32 v5, v18, v5
	v_fma_f32 v0, v40, v30, -v0
	v_fmac_f32_e32 v1, v41, v30
	v_add_f32_e32 v16, v4, v0
	v_add_f32_e32 v18, v5, v1
	v_mul_f32_e32 v0, v41, v33
	v_mul_f32_e32 v1, v40, v33
	v_fma_f32 v0, v40, v32, -v0
	v_fmac_f32_e32 v1, v41, v32
	s_add_i32 s5, s5, 8
	v_add_f32_e32 v8, v6, v0
	v_add_f32_e32 v14, v7, v1
	v_lshl_add_u64 v[10:11], v[10:11], 0, 64
	s_cmp_lt_i32 s5, s9
	v_lshl_add_u64 v[12:13], v[12:13], 0, 64
	s_barrier
	s_cbranch_scc0 .LBB384_14
.LBB384_8:                              ; =>This Inner Loop Header: Depth=1
	v_add_u32_e32 v0, s5, v21
	v_cmp_le_i32_e64 s[2:3], s9, v0
	s_or_b64 s[2:3], s[16:17], s[2:3]
	s_and_saveexec_b64 s[20:21], s[2:3]
	s_xor_b64 s[2:3], exec, s[20:21]
; %bb.9:                                ;   in Loop: Header=BB384_8 Depth=1
	ds_write_b32 v23, v9
; %bb.10:                               ;   in Loop: Header=BB384_8 Depth=1
	s_or_saveexec_b64 s[2:3], s[2:3]
	v_mov_b32_e32 v2, 0
	v_mov_b32_e32 v0, 0
	s_xor_b64 exec, exec, s[2:3]
	s_cbranch_execz .LBB384_12
; %bb.11:                               ;   in Loop: Header=BB384_8 Depth=1
	flat_load_dwordx2 v[4:5], v[10:11]
	s_waitcnt vmcnt(0) lgkmcnt(0)
	v_xor_b32_e32 v0, 0x80000000, v5
	ds_write_b32 v23, v4
.LBB384_12:                             ;   in Loop: Header=BB384_8 Depth=1
	s_or_b64 exec, exec, s[2:3]
	ds_write_b32 v23, v0 offset:4
	v_add_u32_e32 v0, s5, v19
	v_cmp_gt_i32_e64 s[2:3], s9, v0
	s_and_b64 s[20:21], s[2:3], vcc
	v_mov_b32_e32 v3, 0
	s_and_saveexec_b64 s[2:3], s[20:21]
	s_cbranch_execz .LBB384_7
; %bb.13:                               ;   in Loop: Header=BB384_8 Depth=1
	flat_load_dwordx2 v[2:3], v[12:13]
	s_branch .LBB384_7
.LBB384_14:
	s_load_dwordx2 s[2:3], s[0:1], 0x58
	s_load_dword s9, s[0:1], 0x50
	v_add_u32_e32 v0, s4, v15
	v_add_u32_e32 v9, s18, v17
	v_cmp_neq_f32_e64 s[0:1], s6, 0
	s_waitcnt lgkmcnt(0)
	s_lshl_b64 s[2:3], s[2:3], 3
	s_add_u32 s4, s14, s2
	s_addc_u32 s5, s15, s3
	s_xor_b64 s[12:13], s[12:13], -1
	v_mad_i64_i32 v[2:3], s[14:15], v9, s9, 0
	s_or_b64 s[0:1], s[0:1], s[12:13]
	v_cmp_gt_i32_e64 s[2:3], s8, v9
	v_lshl_add_u64 v[4:5], v[2:3], 3, s[4:5]
	v_cmp_le_i32_e32 vcc, v0, v9
	v_cndmask_b32_e64 v2, 0, 1, s[0:1]
	s_and_b64 s[14:15], s[2:3], vcc
	v_ashrrev_i32_e32 v1, 31, v0
	v_cmp_ne_u32_e64 s[0:1], 1, v2
	s_and_saveexec_b64 s[12:13], s[14:15]
	s_cbranch_execz .LBB384_18
; %bb.15:
	v_pk_mul_f32 v[6:7], v[26:27], s[10:11] op_sel:[0,1] op_sel_hi:[0,0]
	v_pk_fma_f32 v[2:3], v[24:25], s[10:11], v[6:7] op_sel_hi:[0,1,1] neg_lo:[0,0,1] neg_hi:[0,0,1]
	v_pk_fma_f32 v[10:11], v[24:25], s[10:11], v[6:7] op_sel_hi:[0,1,1]
	s_and_b64 vcc, exec, s[0:1]
	v_lshl_add_u64 v[6:7], v[0:1], 3, v[4:5]
	s_cbranch_vccnz .LBB384_17
; %bb.16:
	flat_load_dwordx2 v[12:13], v[6:7]
	s_mov_b32 s14, s7
	v_mov_b32_e32 v3, v11
	s_waitcnt vmcnt(0) lgkmcnt(0)
	v_pk_mul_f32 v[10:11], v[12:13], s[14:15] op_sel:[1,0] op_sel_hi:[0,0]
	v_pk_fma_f32 v[24:25], v[12:13], s[6:7], v[10:11] neg_lo:[0,0,1] neg_hi:[0,0,1]
	v_pk_fma_f32 v[10:11], v[12:13], s[6:7], v[10:11] op_sel_hi:[1,0,1]
	s_nop 0
	v_mov_b32_e32 v25, v11
	v_pk_add_f32 v[2:3], v[2:3], v[24:25]
	s_nop 0
	v_mov_b32_e32 v11, v3
.LBB384_17:
	v_mov_b32_e32 v3, v11
	flat_store_dwordx2 v[6:7], v[2:3]
.LBB384_18:
	s_or_b64 exec, exec, s[12:13]
	v_add_u32_e32 v2, 16, v0
	v_cmp_le_i32_e32 vcc, v2, v9
	s_and_b64 s[12:13], s[2:3], vcc
	v_ashrrev_i32_e32 v3, 31, v2
	s_and_saveexec_b64 s[2:3], s[12:13]
	s_cbranch_execz .LBB384_22
; %bb.19:
	v_pk_mul_f32 v[10:11], v[22:23], s[10:11] op_sel:[0,1] op_sel_hi:[0,0]
	v_pk_fma_f32 v[6:7], v[20:21], s[10:11], v[10:11] op_sel_hi:[0,1,1] neg_lo:[0,0,1] neg_hi:[0,0,1]
	v_pk_fma_f32 v[10:11], v[20:21], s[10:11], v[10:11] op_sel_hi:[0,1,1]
	s_and_b64 vcc, exec, s[0:1]
	v_lshl_add_u64 v[4:5], v[2:3], 3, v[4:5]
	s_cbranch_vccnz .LBB384_21
; %bb.20:
	flat_load_dwordx2 v[12:13], v[4:5]
	s_mov_b32 s12, s7
	v_mov_b32_e32 v7, v11
	s_waitcnt vmcnt(0) lgkmcnt(0)
	v_pk_mul_f32 v[10:11], v[12:13], s[12:13] op_sel:[1,0] op_sel_hi:[0,0]
	v_pk_fma_f32 v[20:21], v[12:13], s[6:7], v[10:11] neg_lo:[0,0,1] neg_hi:[0,0,1]
	v_pk_fma_f32 v[10:11], v[12:13], s[6:7], v[10:11] op_sel_hi:[1,0,1]
	s_nop 0
	v_mov_b32_e32 v21, v11
	v_pk_add_f32 v[6:7], v[6:7], v[20:21]
	s_nop 0
	v_mov_b32_e32 v11, v7
.LBB384_21:
	v_mov_b32_e32 v7, v11
	flat_store_dwordx2 v[4:5], v[6:7]
.LBB384_22:
	s_or_b64 exec, exec, s[2:3]
	v_add_u32_e32 v9, 16, v9
	v_cmp_gt_i32_e64 s[2:3], s8, v9
	v_mad_i64_i32 v[4:5], s[8:9], v9, s9, 0
	v_cmp_le_i32_e32 vcc, v0, v9
	v_lshl_add_u64 v[4:5], v[4:5], 3, s[4:5]
	s_and_b64 s[8:9], s[2:3], vcc
	s_and_saveexec_b64 s[4:5], s[8:9]
	s_cbranch_execz .LBB384_26
; %bb.23:
	v_pk_mul_f32 v[10:11], v[18:19], s[10:11] op_sel:[0,1] op_sel_hi:[0,0]
	v_pk_fma_f32 v[6:7], v[16:17], s[10:11], v[10:11] op_sel_hi:[0,1,1] neg_lo:[0,0,1] neg_hi:[0,0,1]
	v_pk_fma_f32 v[10:11], v[16:17], s[10:11], v[10:11] op_sel_hi:[0,1,1]
	s_and_b64 vcc, exec, s[0:1]
	v_lshl_add_u64 v[0:1], v[0:1], 3, v[4:5]
	s_cbranch_vccnz .LBB384_25
; %bb.24:
	flat_load_dwordx2 v[12:13], v[0:1]
	s_mov_b32 s8, s7
	v_mov_b32_e32 v7, v11
	s_waitcnt vmcnt(0) lgkmcnt(0)
	v_pk_mul_f32 v[10:11], v[12:13], s[8:9] op_sel:[1,0] op_sel_hi:[0,0]
	v_pk_fma_f32 v[16:17], v[12:13], s[6:7], v[10:11] neg_lo:[0,0,1] neg_hi:[0,0,1]
	v_pk_fma_f32 v[10:11], v[12:13], s[6:7], v[10:11] op_sel_hi:[1,0,1]
	s_nop 0
	v_mov_b32_e32 v17, v11
	v_pk_add_f32 v[6:7], v[6:7], v[16:17]
	s_nop 0
	v_mov_b32_e32 v11, v7
.LBB384_25:
	v_mov_b32_e32 v7, v11
	flat_store_dwordx2 v[0:1], v[6:7]
.LBB384_26:
	s_or_b64 exec, exec, s[4:5]
	v_cmp_le_i32_e32 vcc, v2, v9
	s_and_b64 s[2:3], s[2:3], vcc
	s_and_saveexec_b64 s[4:5], s[2:3]
	s_cbranch_execz .LBB384_30
; %bb.27:
	v_pk_mul_f32 v[6:7], v[14:15], s[10:11] op_sel:[0,1] op_sel_hi:[0,0]
	v_pk_fma_f32 v[0:1], v[8:9], s[10:11], v[6:7] op_sel_hi:[0,1,1] neg_lo:[0,0,1] neg_hi:[0,0,1]
	v_pk_fma_f32 v[6:7], v[8:9], s[10:11], v[6:7] op_sel_hi:[0,1,1]
	s_and_b64 vcc, exec, s[0:1]
	v_lshl_add_u64 v[2:3], v[2:3], 3, v[4:5]
	s_cbranch_vccnz .LBB384_29
; %bb.28:
	flat_load_dwordx2 v[4:5], v[2:3]
	s_mov_b32 s0, s7
	v_mov_b32_e32 v1, v7
	s_waitcnt vmcnt(0) lgkmcnt(0)
	v_pk_mul_f32 v[6:7], v[4:5], s[0:1] op_sel:[1,0] op_sel_hi:[0,0]
	v_pk_fma_f32 v[8:9], v[4:5], s[6:7], v[6:7] neg_lo:[0,0,1] neg_hi:[0,0,1]
	v_pk_fma_f32 v[4:5], v[4:5], s[6:7], v[6:7] op_sel_hi:[1,0,1]
	s_nop 0
	v_mov_b32_e32 v9, v5
	v_pk_add_f32 v[0:1], v[0:1], v[8:9]
	s_nop 0
	v_mov_b32_e32 v7, v1
.LBB384_29:
	v_mov_b32_e32 v1, v7
	flat_store_dwordx2 v[2:3], v[0:1]
.LBB384_30:
	s_endpgm
	.section	.rodata,"a",@progbits
	.p2align	6, 0x0
	.amdhsa_kernel _ZL29rocblas_internal_gemmt_kernelIiLi16ELi32ELi8ELc67ELc78ELc85ELb1ELb0E19rocblas_complex_numIfES1_PKPKS1_PKPS1_EviT_T9_T10_S9_lSB_S9_lSA_T11_S9_li
		.amdhsa_group_segment_fixed_size 4096
		.amdhsa_private_segment_fixed_size 0
		.amdhsa_kernarg_size 100
		.amdhsa_user_sgpr_count 2
		.amdhsa_user_sgpr_dispatch_ptr 0
		.amdhsa_user_sgpr_queue_ptr 0
		.amdhsa_user_sgpr_kernarg_segment_ptr 1
		.amdhsa_user_sgpr_dispatch_id 0
		.amdhsa_user_sgpr_kernarg_preload_length 0
		.amdhsa_user_sgpr_kernarg_preload_offset 0
		.amdhsa_user_sgpr_private_segment_size 0
		.amdhsa_uses_dynamic_stack 0
		.amdhsa_enable_private_segment 0
		.amdhsa_system_sgpr_workgroup_id_x 1
		.amdhsa_system_sgpr_workgroup_id_y 1
		.amdhsa_system_sgpr_workgroup_id_z 1
		.amdhsa_system_sgpr_workgroup_info 0
		.amdhsa_system_vgpr_workitem_id 1
		.amdhsa_next_free_vgpr 54
		.amdhsa_next_free_sgpr 29
		.amdhsa_accum_offset 56
		.amdhsa_reserve_vcc 1
		.amdhsa_float_round_mode_32 0
		.amdhsa_float_round_mode_16_64 0
		.amdhsa_float_denorm_mode_32 3
		.amdhsa_float_denorm_mode_16_64 3
		.amdhsa_dx10_clamp 1
		.amdhsa_ieee_mode 1
		.amdhsa_fp16_overflow 0
		.amdhsa_tg_split 0
		.amdhsa_exception_fp_ieee_invalid_op 0
		.amdhsa_exception_fp_denorm_src 0
		.amdhsa_exception_fp_ieee_div_zero 0
		.amdhsa_exception_fp_ieee_overflow 0
		.amdhsa_exception_fp_ieee_underflow 0
		.amdhsa_exception_fp_ieee_inexact 0
		.amdhsa_exception_int_div_zero 0
	.end_amdhsa_kernel
	.section	.text._ZL29rocblas_internal_gemmt_kernelIiLi16ELi32ELi8ELc67ELc78ELc85ELb1ELb0E19rocblas_complex_numIfES1_PKPKS1_PKPS1_EviT_T9_T10_S9_lSB_S9_lSA_T11_S9_li,"axG",@progbits,_ZL29rocblas_internal_gemmt_kernelIiLi16ELi32ELi8ELc67ELc78ELc85ELb1ELb0E19rocblas_complex_numIfES1_PKPKS1_PKPS1_EviT_T9_T10_S9_lSB_S9_lSA_T11_S9_li,comdat
.Lfunc_end384:
	.size	_ZL29rocblas_internal_gemmt_kernelIiLi16ELi32ELi8ELc67ELc78ELc85ELb1ELb0E19rocblas_complex_numIfES1_PKPKS1_PKPS1_EviT_T9_T10_S9_lSB_S9_lSA_T11_S9_li, .Lfunc_end384-_ZL29rocblas_internal_gemmt_kernelIiLi16ELi32ELi8ELc67ELc78ELc85ELb1ELb0E19rocblas_complex_numIfES1_PKPKS1_PKPS1_EviT_T9_T10_S9_lSB_S9_lSA_T11_S9_li
                                        ; -- End function
	.set _ZL29rocblas_internal_gemmt_kernelIiLi16ELi32ELi8ELc67ELc78ELc85ELb1ELb0E19rocblas_complex_numIfES1_PKPKS1_PKPS1_EviT_T9_T10_S9_lSB_S9_lSA_T11_S9_li.num_vgpr, 54
	.set _ZL29rocblas_internal_gemmt_kernelIiLi16ELi32ELi8ELc67ELc78ELc85ELb1ELb0E19rocblas_complex_numIfES1_PKPKS1_PKPS1_EviT_T9_T10_S9_lSB_S9_lSA_T11_S9_li.num_agpr, 0
	.set _ZL29rocblas_internal_gemmt_kernelIiLi16ELi32ELi8ELc67ELc78ELc85ELb1ELb0E19rocblas_complex_numIfES1_PKPKS1_PKPS1_EviT_T9_T10_S9_lSB_S9_lSA_T11_S9_li.numbered_sgpr, 29
	.set _ZL29rocblas_internal_gemmt_kernelIiLi16ELi32ELi8ELc67ELc78ELc85ELb1ELb0E19rocblas_complex_numIfES1_PKPKS1_PKPS1_EviT_T9_T10_S9_lSB_S9_lSA_T11_S9_li.num_named_barrier, 0
	.set _ZL29rocblas_internal_gemmt_kernelIiLi16ELi32ELi8ELc67ELc78ELc85ELb1ELb0E19rocblas_complex_numIfES1_PKPKS1_PKPS1_EviT_T9_T10_S9_lSB_S9_lSA_T11_S9_li.private_seg_size, 0
	.set _ZL29rocblas_internal_gemmt_kernelIiLi16ELi32ELi8ELc67ELc78ELc85ELb1ELb0E19rocblas_complex_numIfES1_PKPKS1_PKPS1_EviT_T9_T10_S9_lSB_S9_lSA_T11_S9_li.uses_vcc, 1
	.set _ZL29rocblas_internal_gemmt_kernelIiLi16ELi32ELi8ELc67ELc78ELc85ELb1ELb0E19rocblas_complex_numIfES1_PKPKS1_PKPS1_EviT_T9_T10_S9_lSB_S9_lSA_T11_S9_li.uses_flat_scratch, 0
	.set _ZL29rocblas_internal_gemmt_kernelIiLi16ELi32ELi8ELc67ELc78ELc85ELb1ELb0E19rocblas_complex_numIfES1_PKPKS1_PKPS1_EviT_T9_T10_S9_lSB_S9_lSA_T11_S9_li.has_dyn_sized_stack, 0
	.set _ZL29rocblas_internal_gemmt_kernelIiLi16ELi32ELi8ELc67ELc78ELc85ELb1ELb0E19rocblas_complex_numIfES1_PKPKS1_PKPS1_EviT_T9_T10_S9_lSB_S9_lSA_T11_S9_li.has_recursion, 0
	.set _ZL29rocblas_internal_gemmt_kernelIiLi16ELi32ELi8ELc67ELc78ELc85ELb1ELb0E19rocblas_complex_numIfES1_PKPKS1_PKPS1_EviT_T9_T10_S9_lSB_S9_lSA_T11_S9_li.has_indirect_call, 0
	.section	.AMDGPU.csdata,"",@progbits
; Kernel info:
; codeLenInByte = 2496
; TotalNumSgprs: 35
; NumVgprs: 54
; NumAgprs: 0
; TotalNumVgprs: 54
; ScratchSize: 0
; MemoryBound: 0
; FloatMode: 240
; IeeeMode: 1
; LDSByteSize: 4096 bytes/workgroup (compile time only)
; SGPRBlocks: 4
; VGPRBlocks: 6
; NumSGPRsForWavesPerEU: 35
; NumVGPRsForWavesPerEU: 54
; AccumOffset: 56
; Occupancy: 8
; WaveLimiterHint : 1
; COMPUTE_PGM_RSRC2:SCRATCH_EN: 0
; COMPUTE_PGM_RSRC2:USER_SGPR: 2
; COMPUTE_PGM_RSRC2:TRAP_HANDLER: 0
; COMPUTE_PGM_RSRC2:TGID_X_EN: 1
; COMPUTE_PGM_RSRC2:TGID_Y_EN: 1
; COMPUTE_PGM_RSRC2:TGID_Z_EN: 1
; COMPUTE_PGM_RSRC2:TIDIG_COMP_CNT: 1
; COMPUTE_PGM_RSRC3_GFX90A:ACCUM_OFFSET: 13
; COMPUTE_PGM_RSRC3_GFX90A:TG_SPLIT: 0
	.section	.text._ZL29rocblas_internal_gemmt_kernelIiLi16ELi32ELi8ELc67ELc84ELc85ELb1ELb0E19rocblas_complex_numIfES1_PKPKS1_PKPS1_EviT_T9_T10_S9_lSB_S9_lSA_T11_S9_li,"axG",@progbits,_ZL29rocblas_internal_gemmt_kernelIiLi16ELi32ELi8ELc67ELc84ELc85ELb1ELb0E19rocblas_complex_numIfES1_PKPKS1_PKPS1_EviT_T9_T10_S9_lSB_S9_lSA_T11_S9_li,comdat
	.globl	_ZL29rocblas_internal_gemmt_kernelIiLi16ELi32ELi8ELc67ELc84ELc85ELb1ELb0E19rocblas_complex_numIfES1_PKPKS1_PKPS1_EviT_T9_T10_S9_lSB_S9_lSA_T11_S9_li ; -- Begin function _ZL29rocblas_internal_gemmt_kernelIiLi16ELi32ELi8ELc67ELc84ELc85ELb1ELb0E19rocblas_complex_numIfES1_PKPKS1_PKPS1_EviT_T9_T10_S9_lSB_S9_lSA_T11_S9_li
	.p2align	8
	.type	_ZL29rocblas_internal_gemmt_kernelIiLi16ELi32ELi8ELc67ELc84ELc85ELb1ELb0E19rocblas_complex_numIfES1_PKPKS1_PKPS1_EviT_T9_T10_S9_lSB_S9_lSA_T11_S9_li,@function
_ZL29rocblas_internal_gemmt_kernelIiLi16ELi32ELi8ELc67ELc84ELc85ELb1ELb0E19rocblas_complex_numIfES1_PKPKS1_PKPS1_EviT_T9_T10_S9_lSB_S9_lSA_T11_S9_li: ; @_ZL29rocblas_internal_gemmt_kernelIiLi16ELi32ELi8ELc67ELc84ELc85ELb1ELb0E19rocblas_complex_numIfES1_PKPKS1_PKPS1_EviT_T9_T10_S9_lSB_S9_lSA_T11_S9_li
; %bb.0:
	s_load_dwordx2 s[6:7], s[0:1], 0x40
	s_load_dwordx4 s[8:11], s[0:1], 0x0
	s_waitcnt lgkmcnt(0)
	s_and_b32 s5, s7, 0x7fffffff
	s_cmp_eq_u32 s5, 0
	v_cmp_eq_f32_e64 s[14:15], s6, 1.0
	s_cselect_b64 s[12:13], -1, 0
	s_and_b64 s[14:15], s[14:15], s[12:13]
	s_and_b64 vcc, exec, s[14:15]
	s_cbranch_vccnz .LBB385_2
; %bb.1:
	s_mov_b64 s[14:15], -1
	s_cbranch_execz .LBB385_3
	s_branch .LBB385_4
.LBB385_2:
	s_mov_b64 s[14:15], 0
.LBB385_3:
	s_cmp_lg_u32 s9, 0
	v_cmp_neq_f32_e64 s[16:17], s10, 0
	v_cmp_neq_f32_e64 s[18:19], s11, 0
	s_cselect_b64 s[14:15], -1, 0
	s_or_b64 s[16:17], s[16:17], s[18:19]
	s_and_b64 s[14:15], s[14:15], s[16:17]
.LBB385_4:
	s_andn2_b64 vcc, exec, s[14:15]
	s_cbranch_vccnz .LBB385_30
; %bb.5:
	s_load_dwordx2 s[14:15], s[0:1], 0x48
	s_mov_b32 s5, 0
	s_lshl_b64 s[16:17], s[4:5], 3
	v_cmp_eq_f32_e64 s[18:19], s11, 0
	v_and_b32_e32 v15, 0x3ff, v0
	s_waitcnt lgkmcnt(0)
	s_add_u32 s14, s14, s16
	s_addc_u32 s15, s15, s17
	s_lshl_b32 s4, s2, 5
	s_lshl_b32 s20, s3, 5
	v_cmp_eq_f32_e64 s[2:3], s10, 0
	s_load_dwordx2 s[14:15], s[14:15], 0x0
	s_and_b64 s[2:3], s[2:3], s[18:19]
	s_cmp_lt_i32 s9, 1
	s_cselect_b64 s[18:19], -1, 0
	s_or_b64 s[2:3], s[2:3], s[18:19]
	v_bfe_u32 v17, v0, 10, 10
	v_mov_b32_e32 v24, 0
	s_and_b64 vcc, exec, s[2:3]
	v_mov_b32_e32 v26, 0
	v_mov_b32_e32 v20, 0
	;; [unrolled: 1-line block ×7, first 2 shown]
	s_cbranch_vccnz .LBB385_14
; %bb.6:
	s_load_dwordx4 s[24:27], s[0:1], 0x20
	s_load_dword s18, s[0:1], 0x30
	s_load_dwordx2 s[2:3], s[0:1], 0x10
	s_load_dword s21, s[0:1], 0x18
	s_load_dwordx2 s[22:23], s[0:1], 0x38
	v_lshl_add_u32 v1, v17, 4, v15
	v_and_b32_e32 v3, 31, v1
	v_lshrrev_b32_e32 v21, 5, v1
	s_waitcnt lgkmcnt(0)
	s_ashr_i32 s19, s18, 31
	s_add_u32 s26, s26, s16
	s_addc_u32 s27, s27, s17
	s_add_u32 s2, s2, s16
	v_lshrrev_b32_e32 v2, 3, v1
	v_or_b32_e32 v1, s4, v3
	s_addc_u32 s3, s3, s17
	v_and_b32_e32 v19, 7, v15
	s_load_dwordx2 s[16:17], s[2:3], 0x0
	v_cmp_gt_i32_e64 s[2:3], s8, v1
	v_lshlrev_b32_e32 v1, 3, v3
	v_lshl_or_b32 v23, v21, 8, v1
	v_lshlrev_b32_e32 v1, 3, v19
	v_add_u32_e32 v0, s20, v2
	v_lshl_or_b32 v1, v2, 6, v1
	v_mov_b32_e32 v2, 0x800
	v_lshl_add_u32 v28, v17, 6, v2
	v_add_u32_e32 v2, s4, v3
	v_mad_i64_i32 v[2:3], s[28:29], s21, v2, 0
	s_lshl_b64 s[24:25], s[24:25], 3
	v_lshl_add_u64 v[2:3], v[2:3], 3, s[24:25]
	v_lshlrev_b32_e32 v8, 3, v21
	v_mov_b32_e32 v9, 0
	s_load_dwordx2 s[26:27], s[26:27], 0x0
	v_lshl_add_u64 v[2:3], v[2:3], 0, v[8:9]
	s_waitcnt lgkmcnt(0)
	v_lshl_add_u64 v[10:11], s[16:17], 0, v[2:3]
	v_mad_i64_i32 v[2:3], s[16:17], s18, v19, 0
	s_lshl_b64 s[16:17], s[22:23], 3
	v_add_u32_e32 v25, 0x800, v1
	v_ashrrev_i32_e32 v1, 31, v0
	v_lshl_add_u64 v[2:3], v[2:3], 3, s[16:17]
	v_cmp_gt_i32_e32 vcc, s8, v0
	v_lshl_add_u64 v[0:1], v[0:1], 3, v[2:3]
	v_lshlrev_b32_e32 v27, 3, v15
	v_lshl_add_u64 v[12:13], s[26:27], 0, v[0:1]
	s_lshl_b64 s[16:17], s[18:19], 6
	s_xor_b64 s[18:19], s[2:3], -1
	v_mov_b32_e32 v14, 0
	v_mov_b32_e32 v8, 0
	;; [unrolled: 1-line block ×8, first 2 shown]
	s_branch .LBB385_8
.LBB385_7:                              ;   in Loop: Header=BB385_8 Depth=1
	s_or_b64 exec, exec, s[2:3]
	s_waitcnt vmcnt(0) lgkmcnt(0)
	ds_write_b64 v25, v[2:3]
	s_waitcnt lgkmcnt(0)
	s_barrier
	ds_read2_b64 v[30:33], v27 offset1:16
	ds_read_b128 v[34:37], v28
	ds_read_b128 v[38:41], v28 offset:16
	ds_read_b128 v[4:7], v28 offset:32
	;; [unrolled: 1-line block ×3, first 2 shown]
	ds_read2_b64 v[50:53], v27 offset0:32 offset1:48
	s_waitcnt lgkmcnt(4)
	v_mul_f32_e32 v42, v34, v31
	v_fmac_f32_e32 v42, v35, v30
	v_add_f32_e32 v26, v26, v42
	ds_read_b128 v[42:45], v28 offset:1024
	ds_read_b128 v[46:49], v28 offset:1040
	v_mul_f32_e32 v29, v35, v31
	v_fma_f32 v29, v34, v30, -v29
	v_add_f32_e32 v24, v24, v29
	v_mul_f32_e32 v29, v35, v33
	v_fma_f32 v29, v34, v32, -v29
	v_add_f32_e32 v20, v20, v29
	s_waitcnt lgkmcnt(1)
	v_mul_f32_e32 v29, v43, v31
	v_mul_f32_e32 v31, v42, v31
	v_fma_f32 v29, v42, v30, -v29
	v_fmac_f32_e32 v31, v43, v30
	v_mul_f32_e32 v30, v42, v33
	v_fmac_f32_e32 v30, v43, v32
	v_add_f32_e32 v14, v14, v30
	v_mul_f32_e32 v30, v36, v51
	v_mul_f32_e32 v34, v34, v33
	v_fmac_f32_e32 v30, v37, v50
	v_fmac_f32_e32 v34, v35, v32
	v_add_f32_e32 v26, v26, v30
	v_mul_f32_e32 v30, v36, v53
	v_add_f32_e32 v22, v22, v34
	v_add_f32_e32 v16, v16, v29
	v_mul_f32_e32 v29, v43, v33
	v_fmac_f32_e32 v30, v37, v52
	v_fma_f32 v29, v42, v32, -v29
	v_add_f32_e32 v22, v22, v30
	v_mul_f32_e32 v30, v44, v51
	v_add_f32_e32 v18, v18, v31
	v_add_f32_e32 v8, v8, v29
	v_mul_f32_e32 v29, v37, v51
	v_fmac_f32_e32 v30, v45, v50
	v_fma_f32 v29, v36, v50, -v29
	v_add_f32_e32 v18, v18, v30
	ds_read2_b64 v[30:33], v27 offset0:64 offset1:80
	v_add_f32_e32 v24, v24, v29
	v_mul_f32_e32 v29, v37, v53
	v_fma_f32 v29, v36, v52, -v29
	v_add_f32_e32 v20, v20, v29
	v_mul_f32_e32 v29, v45, v51
	v_mul_f32_e32 v34, v44, v53
	v_fma_f32 v29, v44, v50, -v29
	v_fmac_f32_e32 v34, v45, v52
	v_add_f32_e32 v16, v16, v29
	v_mul_f32_e32 v29, v45, v53
	v_add_f32_e32 v14, v14, v34
	s_waitcnt lgkmcnt(0)
	v_mul_f32_e32 v34, v38, v31
	v_fma_f32 v29, v44, v52, -v29
	v_fmac_f32_e32 v34, v39, v30
	v_add_f32_e32 v8, v8, v29
	v_mul_f32_e32 v29, v39, v31
	v_add_f32_e32 v26, v26, v34
	v_mul_f32_e32 v34, v38, v33
	v_fma_f32 v29, v38, v30, -v29
	v_fmac_f32_e32 v34, v39, v32
	v_add_f32_e32 v24, v24, v29
	v_mul_f32_e32 v29, v39, v33
	v_add_f32_e32 v22, v22, v34
	ds_read2_b64 v[34:37], v27 offset0:96 offset1:112
	v_fma_f32 v29, v38, v32, -v29
	v_add_f32_e32 v20, v20, v29
	v_mul_f32_e32 v29, v47, v31
	v_mul_f32_e32 v31, v46, v31
	v_fma_f32 v29, v46, v30, -v29
	v_fmac_f32_e32 v31, v47, v30
	v_mul_f32_e32 v30, v46, v33
	v_fmac_f32_e32 v30, v47, v32
	v_add_f32_e32 v14, v14, v30
	s_waitcnt lgkmcnt(0)
	v_mul_f32_e32 v30, v40, v35
	v_fmac_f32_e32 v30, v41, v34
	v_add_f32_e32 v16, v16, v29
	v_mul_f32_e32 v29, v47, v33
	v_add_f32_e32 v26, v26, v30
	v_mul_f32_e32 v30, v40, v37
	v_fma_f32 v29, v46, v32, -v29
	v_fmac_f32_e32 v30, v41, v36
	v_add_f32_e32 v8, v8, v29
	v_mul_f32_e32 v29, v41, v35
	v_add_f32_e32 v22, v22, v30
	v_mul_f32_e32 v30, v48, v35
	v_add_f32_e32 v18, v18, v31
	v_fma_f32 v29, v40, v34, -v29
	v_fmac_f32_e32 v30, v49, v34
	v_add_f32_e32 v24, v24, v29
	v_mul_f32_e32 v29, v41, v37
	v_add_f32_e32 v18, v18, v30
	ds_read2_b64 v[30:33], v27 offset0:128 offset1:144
	v_fma_f32 v29, v40, v36, -v29
	v_add_f32_e32 v20, v20, v29
	v_mul_f32_e32 v29, v49, v35
	v_fma_f32 v29, v48, v34, -v29
	v_mul_f32_e32 v34, v48, v37
	v_fmac_f32_e32 v34, v49, v36
	v_add_f32_e32 v14, v14, v34
	s_waitcnt lgkmcnt(0)
	v_mul_f32_e32 v34, v4, v31
	v_add_f32_e32 v16, v16, v29
	v_mul_f32_e32 v29, v49, v37
	v_fmac_f32_e32 v34, v5, v30
	v_fma_f32 v29, v48, v36, -v29
	v_add_f32_e32 v26, v26, v34
	ds_read_b128 v[34:37], v28 offset:1056
	ds_read_b128 v[38:41], v28 offset:1072
	v_add_f32_e32 v8, v8, v29
	v_mul_f32_e32 v29, v5, v31
	v_fma_f32 v29, v4, v30, -v29
	v_add_f32_e32 v24, v24, v29
	v_mul_f32_e32 v29, v5, v33
	v_fma_f32 v29, v4, v32, -v29
	v_mul_f32_e32 v4, v4, v33
	ds_read2_b64 v[42:45], v27 offset0:160 offset1:176
	v_fmac_f32_e32 v4, v5, v32
	v_add_f32_e32 v5, v20, v29
	s_waitcnt lgkmcnt(2)
	v_mul_f32_e32 v20, v35, v31
	v_fma_f32 v20, v34, v30, -v20
	v_add_f32_e32 v16, v16, v20
	v_mul_f32_e32 v20, v35, v33
	v_add_f32_e32 v4, v22, v4
	v_mul_f32_e32 v22, v34, v31
	v_fma_f32 v20, v34, v32, -v20
	v_fmac_f32_e32 v22, v35, v30
	v_add_f32_e32 v8, v8, v20
	s_waitcnt lgkmcnt(0)
	v_mul_f32_e32 v20, v7, v43
	v_add_f32_e32 v18, v18, v22
	v_mul_f32_e32 v22, v34, v33
	v_fma_f32 v20, v6, v42, -v20
	v_fmac_f32_e32 v22, v35, v32
	v_add_f32_e32 v20, v24, v20
	v_mul_f32_e32 v24, v7, v45
	v_add_f32_e32 v14, v14, v22
	v_mul_f32_e32 v22, v6, v43
	v_fma_f32 v24, v6, v44, -v24
	v_mul_f32_e32 v6, v6, v45
	v_fmac_f32_e32 v22, v7, v42
	v_fmac_f32_e32 v6, v7, v44
	v_add_f32_e32 v22, v26, v22
	v_add_f32_e32 v26, v4, v6
	v_mul_f32_e32 v4, v37, v43
	v_add_f32_e32 v24, v5, v24
	v_fma_f32 v4, v36, v42, -v4
	v_mul_f32_e32 v5, v36, v43
	v_fmac_f32_e32 v5, v37, v42
	v_add_f32_e32 v16, v16, v4
	v_mul_f32_e32 v4, v37, v45
	v_add_f32_e32 v18, v18, v5
	v_fma_f32 v29, v36, v44, -v4
	ds_read2_b64 v[4:7], v27 offset0:192 offset1:208
	v_mul_f32_e32 v30, v36, v45
	v_fmac_f32_e32 v30, v37, v44
	v_add_f32_e32 v8, v8, v29
	v_add_f32_e32 v14, v14, v30
	s_waitcnt lgkmcnt(0)
	v_mul_f32_e32 v29, v1, v5
	v_fma_f32 v29, v0, v4, -v29
	v_mul_f32_e32 v30, v0, v5
	v_fmac_f32_e32 v30, v1, v4
	v_add_f32_e32 v20, v20, v29
	v_mul_f32_e32 v29, v1, v7
	v_add_f32_e32 v22, v22, v30
	v_fma_f32 v29, v0, v6, -v29
	v_mul_f32_e32 v0, v0, v7
	ds_read2_b64 v[30:33], v27 offset0:224 offset1:240
	v_fmac_f32_e32 v0, v1, v6
	v_add_f32_e32 v1, v24, v29
	v_mul_f32_e32 v24, v39, v5
	v_fma_f32 v24, v38, v4, -v24
	v_mul_f32_e32 v5, v38, v5
	v_fmac_f32_e32 v5, v39, v4
	v_add_f32_e32 v4, v16, v24
	v_mul_f32_e32 v16, v39, v7
	v_fma_f32 v16, v38, v6, -v16
	v_mul_f32_e32 v7, v38, v7
	v_fmac_f32_e32 v7, v39, v6
	v_add_f32_e32 v6, v8, v16
	s_waitcnt lgkmcnt(0)
	v_mul_f32_e32 v8, v3, v31
	v_fma_f32 v8, v2, v30, -v8
	v_add_f32_e32 v24, v20, v8
	v_mul_f32_e32 v8, v3, v33
	v_add_f32_e32 v7, v14, v7
	v_mul_f32_e32 v14, v2, v31
	v_fma_f32 v8, v2, v32, -v8
	v_mul_f32_e32 v2, v2, v33
	v_add_f32_e32 v0, v26, v0
	v_fmac_f32_e32 v14, v3, v30
	v_fmac_f32_e32 v2, v3, v32
	v_add_f32_e32 v26, v22, v14
	v_add_f32_e32 v20, v1, v8
	;; [unrolled: 1-line block ×3, first 2 shown]
	v_mul_f32_e32 v0, v41, v31
	v_mul_f32_e32 v1, v40, v31
	v_add_f32_e32 v5, v18, v5
	v_fma_f32 v0, v40, v30, -v0
	v_fmac_f32_e32 v1, v41, v30
	v_add_f32_e32 v16, v4, v0
	v_add_f32_e32 v18, v5, v1
	v_mul_f32_e32 v0, v41, v33
	v_mul_f32_e32 v1, v40, v33
	v_fma_f32 v0, v40, v32, -v0
	v_fmac_f32_e32 v1, v41, v32
	s_add_i32 s5, s5, 8
	v_add_f32_e32 v8, v6, v0
	v_add_f32_e32 v14, v7, v1
	v_lshl_add_u64 v[10:11], v[10:11], 0, 64
	s_cmp_lt_i32 s5, s9
	v_lshl_add_u64 v[12:13], v[12:13], 0, s[16:17]
	s_barrier
	s_cbranch_scc0 .LBB385_14
.LBB385_8:                              ; =>This Inner Loop Header: Depth=1
	v_add_u32_e32 v0, s5, v21
	v_cmp_le_i32_e64 s[2:3], s9, v0
	s_or_b64 s[2:3], s[18:19], s[2:3]
	s_and_saveexec_b64 s[22:23], s[2:3]
	s_xor_b64 s[2:3], exec, s[22:23]
; %bb.9:                                ;   in Loop: Header=BB385_8 Depth=1
	ds_write_b32 v23, v9
; %bb.10:                               ;   in Loop: Header=BB385_8 Depth=1
	s_or_saveexec_b64 s[2:3], s[2:3]
	v_mov_b32_e32 v2, 0
	v_mov_b32_e32 v0, 0
	s_xor_b64 exec, exec, s[2:3]
	s_cbranch_execz .LBB385_12
; %bb.11:                               ;   in Loop: Header=BB385_8 Depth=1
	flat_load_dwordx2 v[4:5], v[10:11]
	s_waitcnt vmcnt(0) lgkmcnt(0)
	v_xor_b32_e32 v0, 0x80000000, v5
	ds_write_b32 v23, v4
.LBB385_12:                             ;   in Loop: Header=BB385_8 Depth=1
	s_or_b64 exec, exec, s[2:3]
	ds_write_b32 v23, v0 offset:4
	v_add_u32_e32 v0, s5, v19
	v_cmp_gt_i32_e64 s[2:3], s9, v0
	s_and_b64 s[22:23], s[2:3], vcc
	v_mov_b32_e32 v3, 0
	s_and_saveexec_b64 s[2:3], s[22:23]
	s_cbranch_execz .LBB385_7
; %bb.13:                               ;   in Loop: Header=BB385_8 Depth=1
	flat_load_dwordx2 v[2:3], v[12:13]
	s_branch .LBB385_7
.LBB385_14:
	s_load_dwordx2 s[2:3], s[0:1], 0x58
	s_load_dword s9, s[0:1], 0x50
	v_add_u32_e32 v0, s4, v15
	v_add_u32_e32 v9, s20, v17
	v_cmp_neq_f32_e64 s[0:1], s6, 0
	s_waitcnt lgkmcnt(0)
	s_lshl_b64 s[2:3], s[2:3], 3
	s_add_u32 s4, s14, s2
	s_addc_u32 s5, s15, s3
	s_xor_b64 s[12:13], s[12:13], -1
	v_mad_i64_i32 v[2:3], s[14:15], v9, s9, 0
	s_or_b64 s[0:1], s[0:1], s[12:13]
	v_cmp_gt_i32_e64 s[2:3], s8, v9
	v_lshl_add_u64 v[4:5], v[2:3], 3, s[4:5]
	v_cmp_le_i32_e32 vcc, v0, v9
	v_cndmask_b32_e64 v2, 0, 1, s[0:1]
	s_and_b64 s[14:15], s[2:3], vcc
	v_ashrrev_i32_e32 v1, 31, v0
	v_cmp_ne_u32_e64 s[0:1], 1, v2
	s_and_saveexec_b64 s[12:13], s[14:15]
	s_cbranch_execz .LBB385_18
; %bb.15:
	v_pk_mul_f32 v[6:7], v[26:27], s[10:11] op_sel:[0,1] op_sel_hi:[0,0]
	v_pk_fma_f32 v[2:3], v[24:25], s[10:11], v[6:7] op_sel_hi:[0,1,1] neg_lo:[0,0,1] neg_hi:[0,0,1]
	v_pk_fma_f32 v[10:11], v[24:25], s[10:11], v[6:7] op_sel_hi:[0,1,1]
	s_and_b64 vcc, exec, s[0:1]
	v_lshl_add_u64 v[6:7], v[0:1], 3, v[4:5]
	s_cbranch_vccnz .LBB385_17
; %bb.16:
	flat_load_dwordx2 v[12:13], v[6:7]
	s_mov_b32 s14, s7
	v_mov_b32_e32 v3, v11
	s_waitcnt vmcnt(0) lgkmcnt(0)
	v_pk_mul_f32 v[10:11], v[12:13], s[14:15] op_sel:[1,0] op_sel_hi:[0,0]
	v_pk_fma_f32 v[24:25], v[12:13], s[6:7], v[10:11] neg_lo:[0,0,1] neg_hi:[0,0,1]
	v_pk_fma_f32 v[10:11], v[12:13], s[6:7], v[10:11] op_sel_hi:[1,0,1]
	s_nop 0
	v_mov_b32_e32 v25, v11
	v_pk_add_f32 v[2:3], v[2:3], v[24:25]
	s_nop 0
	v_mov_b32_e32 v11, v3
.LBB385_17:
	v_mov_b32_e32 v3, v11
	flat_store_dwordx2 v[6:7], v[2:3]
.LBB385_18:
	s_or_b64 exec, exec, s[12:13]
	v_add_u32_e32 v2, 16, v0
	v_cmp_le_i32_e32 vcc, v2, v9
	s_and_b64 s[12:13], s[2:3], vcc
	v_ashrrev_i32_e32 v3, 31, v2
	s_and_saveexec_b64 s[2:3], s[12:13]
	s_cbranch_execz .LBB385_22
; %bb.19:
	v_pk_mul_f32 v[10:11], v[22:23], s[10:11] op_sel:[0,1] op_sel_hi:[0,0]
	v_pk_fma_f32 v[6:7], v[20:21], s[10:11], v[10:11] op_sel_hi:[0,1,1] neg_lo:[0,0,1] neg_hi:[0,0,1]
	v_pk_fma_f32 v[10:11], v[20:21], s[10:11], v[10:11] op_sel_hi:[0,1,1]
	s_and_b64 vcc, exec, s[0:1]
	v_lshl_add_u64 v[4:5], v[2:3], 3, v[4:5]
	s_cbranch_vccnz .LBB385_21
; %bb.20:
	flat_load_dwordx2 v[12:13], v[4:5]
	s_mov_b32 s12, s7
	v_mov_b32_e32 v7, v11
	s_waitcnt vmcnt(0) lgkmcnt(0)
	v_pk_mul_f32 v[10:11], v[12:13], s[12:13] op_sel:[1,0] op_sel_hi:[0,0]
	v_pk_fma_f32 v[20:21], v[12:13], s[6:7], v[10:11] neg_lo:[0,0,1] neg_hi:[0,0,1]
	v_pk_fma_f32 v[10:11], v[12:13], s[6:7], v[10:11] op_sel_hi:[1,0,1]
	s_nop 0
	v_mov_b32_e32 v21, v11
	v_pk_add_f32 v[6:7], v[6:7], v[20:21]
	s_nop 0
	v_mov_b32_e32 v11, v7
.LBB385_21:
	v_mov_b32_e32 v7, v11
	flat_store_dwordx2 v[4:5], v[6:7]
.LBB385_22:
	s_or_b64 exec, exec, s[2:3]
	v_add_u32_e32 v9, 16, v9
	v_cmp_gt_i32_e64 s[2:3], s8, v9
	v_mad_i64_i32 v[4:5], s[8:9], v9, s9, 0
	v_cmp_le_i32_e32 vcc, v0, v9
	v_lshl_add_u64 v[4:5], v[4:5], 3, s[4:5]
	s_and_b64 s[8:9], s[2:3], vcc
	s_and_saveexec_b64 s[4:5], s[8:9]
	s_cbranch_execz .LBB385_26
; %bb.23:
	v_pk_mul_f32 v[10:11], v[18:19], s[10:11] op_sel:[0,1] op_sel_hi:[0,0]
	v_pk_fma_f32 v[6:7], v[16:17], s[10:11], v[10:11] op_sel_hi:[0,1,1] neg_lo:[0,0,1] neg_hi:[0,0,1]
	v_pk_fma_f32 v[10:11], v[16:17], s[10:11], v[10:11] op_sel_hi:[0,1,1]
	s_and_b64 vcc, exec, s[0:1]
	v_lshl_add_u64 v[0:1], v[0:1], 3, v[4:5]
	s_cbranch_vccnz .LBB385_25
; %bb.24:
	flat_load_dwordx2 v[12:13], v[0:1]
	s_mov_b32 s8, s7
	v_mov_b32_e32 v7, v11
	s_waitcnt vmcnt(0) lgkmcnt(0)
	v_pk_mul_f32 v[10:11], v[12:13], s[8:9] op_sel:[1,0] op_sel_hi:[0,0]
	v_pk_fma_f32 v[16:17], v[12:13], s[6:7], v[10:11] neg_lo:[0,0,1] neg_hi:[0,0,1]
	v_pk_fma_f32 v[10:11], v[12:13], s[6:7], v[10:11] op_sel_hi:[1,0,1]
	s_nop 0
	v_mov_b32_e32 v17, v11
	v_pk_add_f32 v[6:7], v[6:7], v[16:17]
	s_nop 0
	v_mov_b32_e32 v11, v7
.LBB385_25:
	v_mov_b32_e32 v7, v11
	flat_store_dwordx2 v[0:1], v[6:7]
.LBB385_26:
	s_or_b64 exec, exec, s[4:5]
	v_cmp_le_i32_e32 vcc, v2, v9
	s_and_b64 s[2:3], s[2:3], vcc
	s_and_saveexec_b64 s[4:5], s[2:3]
	s_cbranch_execz .LBB385_30
; %bb.27:
	v_pk_mul_f32 v[6:7], v[14:15], s[10:11] op_sel:[0,1] op_sel_hi:[0,0]
	v_pk_fma_f32 v[0:1], v[8:9], s[10:11], v[6:7] op_sel_hi:[0,1,1] neg_lo:[0,0,1] neg_hi:[0,0,1]
	v_pk_fma_f32 v[6:7], v[8:9], s[10:11], v[6:7] op_sel_hi:[0,1,1]
	s_and_b64 vcc, exec, s[0:1]
	v_lshl_add_u64 v[2:3], v[2:3], 3, v[4:5]
	s_cbranch_vccnz .LBB385_29
; %bb.28:
	flat_load_dwordx2 v[4:5], v[2:3]
	s_mov_b32 s0, s7
	v_mov_b32_e32 v1, v7
	s_waitcnt vmcnt(0) lgkmcnt(0)
	v_pk_mul_f32 v[6:7], v[4:5], s[0:1] op_sel:[1,0] op_sel_hi:[0,0]
	v_pk_fma_f32 v[8:9], v[4:5], s[6:7], v[6:7] neg_lo:[0,0,1] neg_hi:[0,0,1]
	v_pk_fma_f32 v[4:5], v[4:5], s[6:7], v[6:7] op_sel_hi:[1,0,1]
	s_nop 0
	v_mov_b32_e32 v9, v5
	v_pk_add_f32 v[0:1], v[0:1], v[8:9]
	s_nop 0
	v_mov_b32_e32 v7, v1
.LBB385_29:
	v_mov_b32_e32 v1, v7
	flat_store_dwordx2 v[2:3], v[0:1]
.LBB385_30:
	s_endpgm
	.section	.rodata,"a",@progbits
	.p2align	6, 0x0
	.amdhsa_kernel _ZL29rocblas_internal_gemmt_kernelIiLi16ELi32ELi8ELc67ELc84ELc85ELb1ELb0E19rocblas_complex_numIfES1_PKPKS1_PKPS1_EviT_T9_T10_S9_lSB_S9_lSA_T11_S9_li
		.amdhsa_group_segment_fixed_size 4096
		.amdhsa_private_segment_fixed_size 0
		.amdhsa_kernarg_size 100
		.amdhsa_user_sgpr_count 2
		.amdhsa_user_sgpr_dispatch_ptr 0
		.amdhsa_user_sgpr_queue_ptr 0
		.amdhsa_user_sgpr_kernarg_segment_ptr 1
		.amdhsa_user_sgpr_dispatch_id 0
		.amdhsa_user_sgpr_kernarg_preload_length 0
		.amdhsa_user_sgpr_kernarg_preload_offset 0
		.amdhsa_user_sgpr_private_segment_size 0
		.amdhsa_uses_dynamic_stack 0
		.amdhsa_enable_private_segment 0
		.amdhsa_system_sgpr_workgroup_id_x 1
		.amdhsa_system_sgpr_workgroup_id_y 1
		.amdhsa_system_sgpr_workgroup_id_z 1
		.amdhsa_system_sgpr_workgroup_info 0
		.amdhsa_system_vgpr_workitem_id 1
		.amdhsa_next_free_vgpr 54
		.amdhsa_next_free_sgpr 30
		.amdhsa_accum_offset 56
		.amdhsa_reserve_vcc 1
		.amdhsa_float_round_mode_32 0
		.amdhsa_float_round_mode_16_64 0
		.amdhsa_float_denorm_mode_32 3
		.amdhsa_float_denorm_mode_16_64 3
		.amdhsa_dx10_clamp 1
		.amdhsa_ieee_mode 1
		.amdhsa_fp16_overflow 0
		.amdhsa_tg_split 0
		.amdhsa_exception_fp_ieee_invalid_op 0
		.amdhsa_exception_fp_denorm_src 0
		.amdhsa_exception_fp_ieee_div_zero 0
		.amdhsa_exception_fp_ieee_overflow 0
		.amdhsa_exception_fp_ieee_underflow 0
		.amdhsa_exception_fp_ieee_inexact 0
		.amdhsa_exception_int_div_zero 0
	.end_amdhsa_kernel
	.section	.text._ZL29rocblas_internal_gemmt_kernelIiLi16ELi32ELi8ELc67ELc84ELc85ELb1ELb0E19rocblas_complex_numIfES1_PKPKS1_PKPS1_EviT_T9_T10_S9_lSB_S9_lSA_T11_S9_li,"axG",@progbits,_ZL29rocblas_internal_gemmt_kernelIiLi16ELi32ELi8ELc67ELc84ELc85ELb1ELb0E19rocblas_complex_numIfES1_PKPKS1_PKPS1_EviT_T9_T10_S9_lSB_S9_lSA_T11_S9_li,comdat
.Lfunc_end385:
	.size	_ZL29rocblas_internal_gemmt_kernelIiLi16ELi32ELi8ELc67ELc84ELc85ELb1ELb0E19rocblas_complex_numIfES1_PKPKS1_PKPS1_EviT_T9_T10_S9_lSB_S9_lSA_T11_S9_li, .Lfunc_end385-_ZL29rocblas_internal_gemmt_kernelIiLi16ELi32ELi8ELc67ELc84ELc85ELb1ELb0E19rocblas_complex_numIfES1_PKPKS1_PKPS1_EviT_T9_T10_S9_lSB_S9_lSA_T11_S9_li
                                        ; -- End function
	.set _ZL29rocblas_internal_gemmt_kernelIiLi16ELi32ELi8ELc67ELc84ELc85ELb1ELb0E19rocblas_complex_numIfES1_PKPKS1_PKPS1_EviT_T9_T10_S9_lSB_S9_lSA_T11_S9_li.num_vgpr, 54
	.set _ZL29rocblas_internal_gemmt_kernelIiLi16ELi32ELi8ELc67ELc84ELc85ELb1ELb0E19rocblas_complex_numIfES1_PKPKS1_PKPS1_EviT_T9_T10_S9_lSB_S9_lSA_T11_S9_li.num_agpr, 0
	.set _ZL29rocblas_internal_gemmt_kernelIiLi16ELi32ELi8ELc67ELc84ELc85ELb1ELb0E19rocblas_complex_numIfES1_PKPKS1_PKPS1_EviT_T9_T10_S9_lSB_S9_lSA_T11_S9_li.numbered_sgpr, 30
	.set _ZL29rocblas_internal_gemmt_kernelIiLi16ELi32ELi8ELc67ELc84ELc85ELb1ELb0E19rocblas_complex_numIfES1_PKPKS1_PKPS1_EviT_T9_T10_S9_lSB_S9_lSA_T11_S9_li.num_named_barrier, 0
	.set _ZL29rocblas_internal_gemmt_kernelIiLi16ELi32ELi8ELc67ELc84ELc85ELb1ELb0E19rocblas_complex_numIfES1_PKPKS1_PKPS1_EviT_T9_T10_S9_lSB_S9_lSA_T11_S9_li.private_seg_size, 0
	.set _ZL29rocblas_internal_gemmt_kernelIiLi16ELi32ELi8ELc67ELc84ELc85ELb1ELb0E19rocblas_complex_numIfES1_PKPKS1_PKPS1_EviT_T9_T10_S9_lSB_S9_lSA_T11_S9_li.uses_vcc, 1
	.set _ZL29rocblas_internal_gemmt_kernelIiLi16ELi32ELi8ELc67ELc84ELc85ELb1ELb0E19rocblas_complex_numIfES1_PKPKS1_PKPS1_EviT_T9_T10_S9_lSB_S9_lSA_T11_S9_li.uses_flat_scratch, 0
	.set _ZL29rocblas_internal_gemmt_kernelIiLi16ELi32ELi8ELc67ELc84ELc85ELb1ELb0E19rocblas_complex_numIfES1_PKPKS1_PKPS1_EviT_T9_T10_S9_lSB_S9_lSA_T11_S9_li.has_dyn_sized_stack, 0
	.set _ZL29rocblas_internal_gemmt_kernelIiLi16ELi32ELi8ELc67ELc84ELc85ELb1ELb0E19rocblas_complex_numIfES1_PKPKS1_PKPS1_EviT_T9_T10_S9_lSB_S9_lSA_T11_S9_li.has_recursion, 0
	.set _ZL29rocblas_internal_gemmt_kernelIiLi16ELi32ELi8ELc67ELc84ELc85ELb1ELb0E19rocblas_complex_numIfES1_PKPKS1_PKPS1_EviT_T9_T10_S9_lSB_S9_lSA_T11_S9_li.has_indirect_call, 0
	.section	.AMDGPU.csdata,"",@progbits
; Kernel info:
; codeLenInByte = 2500
; TotalNumSgprs: 36
; NumVgprs: 54
; NumAgprs: 0
; TotalNumVgprs: 54
; ScratchSize: 0
; MemoryBound: 0
; FloatMode: 240
; IeeeMode: 1
; LDSByteSize: 4096 bytes/workgroup (compile time only)
; SGPRBlocks: 4
; VGPRBlocks: 6
; NumSGPRsForWavesPerEU: 36
; NumVGPRsForWavesPerEU: 54
; AccumOffset: 56
; Occupancy: 8
; WaveLimiterHint : 1
; COMPUTE_PGM_RSRC2:SCRATCH_EN: 0
; COMPUTE_PGM_RSRC2:USER_SGPR: 2
; COMPUTE_PGM_RSRC2:TRAP_HANDLER: 0
; COMPUTE_PGM_RSRC2:TGID_X_EN: 1
; COMPUTE_PGM_RSRC2:TGID_Y_EN: 1
; COMPUTE_PGM_RSRC2:TGID_Z_EN: 1
; COMPUTE_PGM_RSRC2:TIDIG_COMP_CNT: 1
; COMPUTE_PGM_RSRC3_GFX90A:ACCUM_OFFSET: 13
; COMPUTE_PGM_RSRC3_GFX90A:TG_SPLIT: 0
	.section	.text._ZL29rocblas_internal_gemmt_kernelIiLi16ELi32ELi8ELc67ELc67ELc85ELb1ELb1E19rocblas_complex_numIfES1_PKPKS1_PKPS1_EviT_T9_T10_S9_lSB_S9_lSA_T11_S9_li,"axG",@progbits,_ZL29rocblas_internal_gemmt_kernelIiLi16ELi32ELi8ELc67ELc67ELc85ELb1ELb1E19rocblas_complex_numIfES1_PKPKS1_PKPS1_EviT_T9_T10_S9_lSB_S9_lSA_T11_S9_li,comdat
	.globl	_ZL29rocblas_internal_gemmt_kernelIiLi16ELi32ELi8ELc67ELc67ELc85ELb1ELb1E19rocblas_complex_numIfES1_PKPKS1_PKPS1_EviT_T9_T10_S9_lSB_S9_lSA_T11_S9_li ; -- Begin function _ZL29rocblas_internal_gemmt_kernelIiLi16ELi32ELi8ELc67ELc67ELc85ELb1ELb1E19rocblas_complex_numIfES1_PKPKS1_PKPS1_EviT_T9_T10_S9_lSB_S9_lSA_T11_S9_li
	.p2align	8
	.type	_ZL29rocblas_internal_gemmt_kernelIiLi16ELi32ELi8ELc67ELc67ELc85ELb1ELb1E19rocblas_complex_numIfES1_PKPKS1_PKPS1_EviT_T9_T10_S9_lSB_S9_lSA_T11_S9_li,@function
_ZL29rocblas_internal_gemmt_kernelIiLi16ELi32ELi8ELc67ELc67ELc85ELb1ELb1E19rocblas_complex_numIfES1_PKPKS1_PKPS1_EviT_T9_T10_S9_lSB_S9_lSA_T11_S9_li: ; @_ZL29rocblas_internal_gemmt_kernelIiLi16ELi32ELi8ELc67ELc67ELc85ELb1ELb1E19rocblas_complex_numIfES1_PKPKS1_PKPS1_EviT_T9_T10_S9_lSB_S9_lSA_T11_S9_li
; %bb.0:
	s_load_dwordx2 s[6:7], s[0:1], 0x40
	s_load_dwordx4 s[8:11], s[0:1], 0x0
	s_waitcnt lgkmcnt(0)
	s_and_b32 s5, s7, 0x7fffffff
	s_cmp_eq_u32 s5, 0
	v_cmp_eq_f32_e64 s[14:15], s6, 1.0
	s_cselect_b64 s[12:13], -1, 0
	s_and_b64 s[14:15], s[14:15], s[12:13]
	s_and_b64 vcc, exec, s[14:15]
	s_cbranch_vccnz .LBB386_2
; %bb.1:
	s_mov_b64 s[14:15], -1
	s_cbranch_execz .LBB386_3
	s_branch .LBB386_4
.LBB386_2:
	s_mov_b64 s[14:15], 0
.LBB386_3:
	s_cmp_lg_u32 s9, 0
	v_cmp_neq_f32_e64 s[16:17], s10, 0
	v_cmp_neq_f32_e64 s[18:19], s11, 0
	s_cselect_b64 s[14:15], -1, 0
	s_or_b64 s[16:17], s[16:17], s[18:19]
	s_and_b64 s[14:15], s[14:15], s[16:17]
.LBB386_4:
	s_andn2_b64 vcc, exec, s[14:15]
	s_cbranch_vccnz .LBB386_32
; %bb.5:
	s_load_dwordx2 s[14:15], s[0:1], 0x48
	s_mov_b32 s5, 0
	s_lshl_b64 s[16:17], s[4:5], 3
	v_cmp_eq_f32_e64 s[18:19], s11, 0
	v_and_b32_e32 v15, 0x3ff, v0
	s_waitcnt lgkmcnt(0)
	s_add_u32 s14, s14, s16
	s_addc_u32 s15, s15, s17
	s_lshl_b32 s4, s2, 5
	s_lshl_b32 s22, s3, 5
	v_cmp_eq_f32_e64 s[2:3], s10, 0
	s_load_dwordx2 s[14:15], s[14:15], 0x0
	s_and_b64 s[2:3], s[2:3], s[18:19]
	s_cmp_lt_i32 s9, 1
	s_cselect_b64 s[18:19], -1, 0
	s_or_b64 s[2:3], s[2:3], s[18:19]
	v_bfe_u32 v17, v0, 10, 10
	v_mov_b32_e32 v24, 0
	s_and_b64 vcc, exec, s[2:3]
	v_mov_b32_e32 v26, 0
	v_mov_b32_e32 v20, 0
	v_mov_b32_e32 v22, 0
	v_mov_b32_e32 v16, 0
	v_mov_b32_e32 v18, 0
	v_mov_b32_e32 v8, 0
	v_mov_b32_e32 v14, 0
	s_cbranch_vccnz .LBB386_16
; %bb.6:
	s_load_dwordx4 s[24:27], s[0:1], 0x20
	s_load_dword s18, s[0:1], 0x30
	v_lshl_add_u32 v1, v17, 4, v15
	s_load_dwordx2 s[2:3], s[0:1], 0x10
	s_load_dword s23, s[0:1], 0x18
	s_load_dwordx2 s[20:21], s[0:1], 0x38
	v_and_b32_e32 v3, 31, v1
	v_lshrrev_b32_e32 v21, 5, v1
	s_waitcnt lgkmcnt(0)
	s_ashr_i32 s19, s18, 31
	s_add_u32 s26, s26, s16
	v_lshrrev_b32_e32 v2, 3, v1
	v_or_b32_e32 v1, s4, v3
	s_addc_u32 s27, s27, s17
	v_and_b32_e32 v19, 7, v15
	s_add_u32 s2, s2, s16
	v_cmp_gt_i32_e32 vcc, s8, v1
	v_lshlrev_b32_e32 v1, 3, v3
	s_addc_u32 s3, s3, s17
	v_lshl_or_b32 v23, v21, 8, v1
	v_lshlrev_b32_e32 v1, 3, v19
	v_add_u32_e32 v0, s22, v2
	s_load_dwordx2 s[16:17], s[2:3], 0x0
	v_lshl_or_b32 v1, v2, 6, v1
	v_mov_b32_e32 v2, 0x800
	v_lshl_add_u32 v28, v17, 6, v2
	v_add_u32_e32 v2, s4, v3
	v_mad_i64_i32 v[2:3], s[28:29], s23, v2, 0
	s_lshl_b64 s[24:25], s[24:25], 3
	v_lshl_add_u64 v[2:3], v[2:3], 3, s[24:25]
	v_lshlrev_b32_e32 v8, 3, v21
	v_mov_b32_e32 v9, 0
	s_load_dwordx2 s[26:27], s[26:27], 0x0
	v_lshl_add_u64 v[2:3], v[2:3], 0, v[8:9]
	s_waitcnt lgkmcnt(0)
	v_lshl_add_u64 v[10:11], s[16:17], 0, v[2:3]
	v_mad_i64_i32 v[2:3], s[16:17], s18, v19, 0
	s_lshl_b64 s[16:17], s[20:21], 3
	v_add_u32_e32 v25, 0x800, v1
	v_ashrrev_i32_e32 v1, 31, v0
	v_lshl_add_u64 v[2:3], v[2:3], 3, s[16:17]
	v_cmp_gt_i32_e64 s[2:3], s8, v0
	v_lshl_add_u64 v[0:1], v[0:1], 3, v[2:3]
	v_lshlrev_b32_e32 v27, 3, v15
	v_lshl_add_u64 v[12:13], s[26:27], 0, v[0:1]
	s_lshl_b64 s[16:17], s[18:19], 6
	s_xor_b64 s[18:19], vcc, -1
	s_xor_b64 s[2:3], s[2:3], -1
	v_mov_b32_e32 v14, 0
	v_mov_b32_e32 v8, 0
	;; [unrolled: 1-line block ×8, first 2 shown]
	s_branch .LBB386_8
.LBB386_7:                              ;   in Loop: Header=BB386_8 Depth=1
	s_or_b64 exec, exec, s[20:21]
	ds_write_b32 v25, v0 offset:4
	s_waitcnt lgkmcnt(0)
	s_barrier
	ds_read2_b64 v[30:33], v27 offset1:16
	ds_read_b128 v[34:37], v28
	ds_read_b128 v[38:41], v28 offset:16
	ds_read_b128 v[4:7], v28 offset:32
	;; [unrolled: 1-line block ×3, first 2 shown]
	ds_read2_b64 v[50:53], v27 offset0:32 offset1:48
	s_waitcnt lgkmcnt(4)
	v_mul_f32_e32 v42, v34, v31
	v_fmac_f32_e32 v42, v35, v30
	v_add_f32_e32 v26, v26, v42
	ds_read_b128 v[42:45], v28 offset:1024
	ds_read_b128 v[46:49], v28 offset:1040
	v_mul_f32_e32 v29, v35, v31
	v_fma_f32 v29, v34, v30, -v29
	v_add_f32_e32 v24, v24, v29
	v_mul_f32_e32 v29, v35, v33
	v_fma_f32 v29, v34, v32, -v29
	v_add_f32_e32 v20, v20, v29
	s_waitcnt lgkmcnt(1)
	v_mul_f32_e32 v29, v43, v31
	v_mul_f32_e32 v31, v42, v31
	v_fma_f32 v29, v42, v30, -v29
	v_fmac_f32_e32 v31, v43, v30
	v_mul_f32_e32 v30, v42, v33
	v_fmac_f32_e32 v30, v43, v32
	v_add_f32_e32 v14, v14, v30
	v_mul_f32_e32 v30, v36, v51
	v_mul_f32_e32 v34, v34, v33
	v_fmac_f32_e32 v30, v37, v50
	v_fmac_f32_e32 v34, v35, v32
	v_add_f32_e32 v26, v26, v30
	v_mul_f32_e32 v30, v36, v53
	v_add_f32_e32 v22, v22, v34
	v_add_f32_e32 v16, v16, v29
	v_mul_f32_e32 v29, v43, v33
	v_fmac_f32_e32 v30, v37, v52
	v_fma_f32 v29, v42, v32, -v29
	v_add_f32_e32 v22, v22, v30
	v_mul_f32_e32 v30, v44, v51
	v_add_f32_e32 v18, v18, v31
	v_add_f32_e32 v8, v8, v29
	v_mul_f32_e32 v29, v37, v51
	v_fmac_f32_e32 v30, v45, v50
	v_fma_f32 v29, v36, v50, -v29
	v_add_f32_e32 v18, v18, v30
	ds_read2_b64 v[30:33], v27 offset0:64 offset1:80
	v_add_f32_e32 v24, v24, v29
	v_mul_f32_e32 v29, v37, v53
	v_fma_f32 v29, v36, v52, -v29
	v_add_f32_e32 v20, v20, v29
	v_mul_f32_e32 v29, v45, v51
	v_mul_f32_e32 v34, v44, v53
	v_fma_f32 v29, v44, v50, -v29
	v_fmac_f32_e32 v34, v45, v52
	v_add_f32_e32 v16, v16, v29
	v_mul_f32_e32 v29, v45, v53
	v_add_f32_e32 v14, v14, v34
	s_waitcnt lgkmcnt(0)
	v_mul_f32_e32 v34, v38, v31
	v_fma_f32 v29, v44, v52, -v29
	v_fmac_f32_e32 v34, v39, v30
	v_add_f32_e32 v8, v8, v29
	v_mul_f32_e32 v29, v39, v31
	v_add_f32_e32 v26, v26, v34
	v_mul_f32_e32 v34, v38, v33
	v_fma_f32 v29, v38, v30, -v29
	v_fmac_f32_e32 v34, v39, v32
	v_add_f32_e32 v24, v24, v29
	v_mul_f32_e32 v29, v39, v33
	v_add_f32_e32 v22, v22, v34
	ds_read2_b64 v[34:37], v27 offset0:96 offset1:112
	v_fma_f32 v29, v38, v32, -v29
	v_add_f32_e32 v20, v20, v29
	v_mul_f32_e32 v29, v47, v31
	v_mul_f32_e32 v31, v46, v31
	v_fma_f32 v29, v46, v30, -v29
	v_fmac_f32_e32 v31, v47, v30
	v_mul_f32_e32 v30, v46, v33
	v_fmac_f32_e32 v30, v47, v32
	v_add_f32_e32 v14, v14, v30
	s_waitcnt lgkmcnt(0)
	v_mul_f32_e32 v30, v40, v35
	v_fmac_f32_e32 v30, v41, v34
	v_add_f32_e32 v16, v16, v29
	v_mul_f32_e32 v29, v47, v33
	v_add_f32_e32 v26, v26, v30
	v_mul_f32_e32 v30, v40, v37
	v_fma_f32 v29, v46, v32, -v29
	v_fmac_f32_e32 v30, v41, v36
	v_add_f32_e32 v8, v8, v29
	v_mul_f32_e32 v29, v41, v35
	v_add_f32_e32 v22, v22, v30
	v_mul_f32_e32 v30, v48, v35
	v_add_f32_e32 v18, v18, v31
	v_fma_f32 v29, v40, v34, -v29
	v_fmac_f32_e32 v30, v49, v34
	v_add_f32_e32 v24, v24, v29
	v_mul_f32_e32 v29, v41, v37
	v_add_f32_e32 v18, v18, v30
	ds_read2_b64 v[30:33], v27 offset0:128 offset1:144
	v_fma_f32 v29, v40, v36, -v29
	v_add_f32_e32 v20, v20, v29
	v_mul_f32_e32 v29, v49, v35
	v_fma_f32 v29, v48, v34, -v29
	v_mul_f32_e32 v34, v48, v37
	v_fmac_f32_e32 v34, v49, v36
	v_add_f32_e32 v14, v14, v34
	s_waitcnt lgkmcnt(0)
	v_mul_f32_e32 v34, v4, v31
	v_add_f32_e32 v16, v16, v29
	v_mul_f32_e32 v29, v49, v37
	v_fmac_f32_e32 v34, v5, v30
	v_fma_f32 v29, v48, v36, -v29
	v_add_f32_e32 v26, v26, v34
	ds_read_b128 v[34:37], v28 offset:1056
	ds_read_b128 v[38:41], v28 offset:1072
	v_add_f32_e32 v8, v8, v29
	v_mul_f32_e32 v29, v5, v31
	v_fma_f32 v29, v4, v30, -v29
	v_add_f32_e32 v24, v24, v29
	v_mul_f32_e32 v29, v5, v33
	v_fma_f32 v29, v4, v32, -v29
	v_mul_f32_e32 v4, v4, v33
	ds_read2_b64 v[42:45], v27 offset0:160 offset1:176
	v_fmac_f32_e32 v4, v5, v32
	v_add_f32_e32 v5, v20, v29
	s_waitcnt lgkmcnt(2)
	v_mul_f32_e32 v20, v35, v31
	v_fma_f32 v20, v34, v30, -v20
	v_add_f32_e32 v16, v16, v20
	v_mul_f32_e32 v20, v35, v33
	v_add_f32_e32 v4, v22, v4
	v_mul_f32_e32 v22, v34, v31
	v_fma_f32 v20, v34, v32, -v20
	v_fmac_f32_e32 v22, v35, v30
	v_add_f32_e32 v8, v8, v20
	s_waitcnt lgkmcnt(0)
	v_mul_f32_e32 v20, v7, v43
	v_add_f32_e32 v18, v18, v22
	v_mul_f32_e32 v22, v34, v33
	v_fma_f32 v20, v6, v42, -v20
	v_fmac_f32_e32 v22, v35, v32
	v_add_f32_e32 v20, v24, v20
	v_mul_f32_e32 v24, v7, v45
	v_add_f32_e32 v14, v14, v22
	v_mul_f32_e32 v22, v6, v43
	v_fma_f32 v24, v6, v44, -v24
	v_mul_f32_e32 v6, v6, v45
	v_fmac_f32_e32 v22, v7, v42
	v_fmac_f32_e32 v6, v7, v44
	v_add_f32_e32 v22, v26, v22
	v_add_f32_e32 v26, v4, v6
	v_mul_f32_e32 v4, v37, v43
	v_add_f32_e32 v24, v5, v24
	v_fma_f32 v4, v36, v42, -v4
	v_mul_f32_e32 v5, v36, v43
	v_fmac_f32_e32 v5, v37, v42
	v_add_f32_e32 v16, v16, v4
	v_mul_f32_e32 v4, v37, v45
	v_add_f32_e32 v18, v18, v5
	v_fma_f32 v29, v36, v44, -v4
	ds_read2_b64 v[4:7], v27 offset0:192 offset1:208
	v_mul_f32_e32 v30, v36, v45
	v_fmac_f32_e32 v30, v37, v44
	v_add_f32_e32 v8, v8, v29
	v_add_f32_e32 v14, v14, v30
	s_waitcnt lgkmcnt(0)
	v_mul_f32_e32 v29, v1, v5
	v_fma_f32 v29, v0, v4, -v29
	v_mul_f32_e32 v30, v0, v5
	v_fmac_f32_e32 v30, v1, v4
	v_add_f32_e32 v20, v20, v29
	v_mul_f32_e32 v29, v1, v7
	v_add_f32_e32 v22, v22, v30
	v_fma_f32 v29, v0, v6, -v29
	v_mul_f32_e32 v0, v0, v7
	ds_read2_b64 v[30:33], v27 offset0:224 offset1:240
	v_fmac_f32_e32 v0, v1, v6
	v_add_f32_e32 v1, v24, v29
	v_mul_f32_e32 v24, v39, v5
	v_fma_f32 v24, v38, v4, -v24
	v_mul_f32_e32 v5, v38, v5
	v_fmac_f32_e32 v5, v39, v4
	v_add_f32_e32 v4, v16, v24
	v_mul_f32_e32 v16, v39, v7
	v_fma_f32 v16, v38, v6, -v16
	v_mul_f32_e32 v7, v38, v7
	v_fmac_f32_e32 v7, v39, v6
	v_add_f32_e32 v6, v8, v16
	s_waitcnt lgkmcnt(0)
	v_mul_f32_e32 v8, v3, v31
	v_fma_f32 v8, v2, v30, -v8
	v_add_f32_e32 v24, v20, v8
	v_mul_f32_e32 v8, v3, v33
	v_add_f32_e32 v7, v14, v7
	v_mul_f32_e32 v14, v2, v31
	v_fma_f32 v8, v2, v32, -v8
	v_mul_f32_e32 v2, v2, v33
	v_add_f32_e32 v0, v26, v0
	v_fmac_f32_e32 v14, v3, v30
	v_fmac_f32_e32 v2, v3, v32
	v_add_f32_e32 v26, v22, v14
	v_add_f32_e32 v20, v1, v8
	;; [unrolled: 1-line block ×3, first 2 shown]
	v_mul_f32_e32 v0, v41, v31
	v_mul_f32_e32 v1, v40, v31
	v_add_f32_e32 v5, v18, v5
	v_fma_f32 v0, v40, v30, -v0
	v_fmac_f32_e32 v1, v41, v30
	v_add_f32_e32 v16, v4, v0
	v_add_f32_e32 v18, v5, v1
	v_mul_f32_e32 v0, v41, v33
	v_mul_f32_e32 v1, v40, v33
	v_fma_f32 v0, v40, v32, -v0
	v_fmac_f32_e32 v1, v41, v32
	s_add_i32 s5, s5, 8
	v_add_f32_e32 v8, v6, v0
	v_add_f32_e32 v14, v7, v1
	v_lshl_add_u64 v[10:11], v[10:11], 0, 64
	s_cmp_lt_i32 s5, s9
	v_lshl_add_u64 v[12:13], v[12:13], 0, s[16:17]
	s_barrier
	s_cbranch_scc0 .LBB386_16
.LBB386_8:                              ; =>This Inner Loop Header: Depth=1
	v_add_u32_e32 v0, s5, v21
	v_cmp_le_i32_e32 vcc, s9, v0
	s_or_b64 s[20:21], s[18:19], vcc
	s_and_saveexec_b64 s[24:25], s[20:21]
	s_xor_b64 s[20:21], exec, s[24:25]
; %bb.9:                                ;   in Loop: Header=BB386_8 Depth=1
	ds_write_b32 v23, v9
; %bb.10:                               ;   in Loop: Header=BB386_8 Depth=1
	s_or_saveexec_b64 s[20:21], s[20:21]
	v_mov_b32_e32 v0, 0
	s_xor_b64 exec, exec, s[20:21]
	s_cbranch_execz .LBB386_12
; %bb.11:                               ;   in Loop: Header=BB386_8 Depth=1
	flat_load_dwordx2 v[2:3], v[10:11]
	s_waitcnt vmcnt(0) lgkmcnt(0)
	v_xor_b32_e32 v0, 0x80000000, v3
	ds_write_b32 v23, v2
.LBB386_12:                             ;   in Loop: Header=BB386_8 Depth=1
	s_or_b64 exec, exec, s[20:21]
	ds_write_b32 v23, v0 offset:4
	v_add_u32_e32 v0, s5, v19
	v_cmp_le_i32_e32 vcc, s9, v0
	s_or_b64 s[20:21], vcc, s[2:3]
	s_and_saveexec_b64 s[24:25], s[20:21]
	s_xor_b64 s[20:21], exec, s[24:25]
; %bb.13:                               ;   in Loop: Header=BB386_8 Depth=1
	ds_write_b32 v25, v9
; %bb.14:                               ;   in Loop: Header=BB386_8 Depth=1
	s_or_saveexec_b64 s[20:21], s[20:21]
	v_mov_b32_e32 v0, 0
	s_xor_b64 exec, exec, s[20:21]
	s_cbranch_execz .LBB386_7
; %bb.15:                               ;   in Loop: Header=BB386_8 Depth=1
	flat_load_dwordx2 v[2:3], v[12:13]
	s_waitcnt vmcnt(0) lgkmcnt(0)
	v_xor_b32_e32 v0, 0x80000000, v3
	ds_write_b32 v25, v2
	s_branch .LBB386_7
.LBB386_16:
	s_load_dwordx2 s[2:3], s[0:1], 0x58
	s_load_dword s9, s[0:1], 0x50
	v_add_u32_e32 v0, s4, v15
	v_add_u32_e32 v9, s22, v17
	v_cmp_neq_f32_e64 s[0:1], s6, 0
	s_waitcnt lgkmcnt(0)
	s_lshl_b64 s[2:3], s[2:3], 3
	s_add_u32 s4, s14, s2
	s_addc_u32 s5, s15, s3
	s_xor_b64 s[12:13], s[12:13], -1
	v_mad_i64_i32 v[2:3], s[14:15], v9, s9, 0
	s_or_b64 s[0:1], s[0:1], s[12:13]
	v_cmp_gt_i32_e64 s[2:3], s8, v9
	v_lshl_add_u64 v[4:5], v[2:3], 3, s[4:5]
	v_cmp_le_i32_e32 vcc, v0, v9
	v_cndmask_b32_e64 v2, 0, 1, s[0:1]
	s_and_b64 s[14:15], s[2:3], vcc
	v_ashrrev_i32_e32 v1, 31, v0
	v_cmp_ne_u32_e64 s[0:1], 1, v2
	s_and_saveexec_b64 s[12:13], s[14:15]
	s_cbranch_execz .LBB386_20
; %bb.17:
	v_pk_mul_f32 v[6:7], v[26:27], s[10:11] op_sel:[0,1] op_sel_hi:[0,0]
	v_pk_fma_f32 v[2:3], v[24:25], s[10:11], v[6:7] op_sel_hi:[0,1,1] neg_lo:[0,0,1] neg_hi:[0,0,1]
	v_pk_fma_f32 v[10:11], v[24:25], s[10:11], v[6:7] op_sel_hi:[0,1,1]
	s_and_b64 vcc, exec, s[0:1]
	v_lshl_add_u64 v[6:7], v[0:1], 3, v[4:5]
	s_cbranch_vccnz .LBB386_19
; %bb.18:
	flat_load_dwordx2 v[12:13], v[6:7]
	s_mov_b32 s14, s7
	v_mov_b32_e32 v3, v11
	s_waitcnt vmcnt(0) lgkmcnt(0)
	v_pk_mul_f32 v[10:11], v[12:13], s[14:15] op_sel:[1,0] op_sel_hi:[0,0]
	v_pk_fma_f32 v[24:25], v[12:13], s[6:7], v[10:11] neg_lo:[0,0,1] neg_hi:[0,0,1]
	v_pk_fma_f32 v[10:11], v[12:13], s[6:7], v[10:11] op_sel_hi:[1,0,1]
	s_nop 0
	v_mov_b32_e32 v25, v11
	v_pk_add_f32 v[2:3], v[2:3], v[24:25]
	s_nop 0
	v_mov_b32_e32 v11, v3
.LBB386_19:
	v_mov_b32_e32 v3, v11
	flat_store_dwordx2 v[6:7], v[2:3]
.LBB386_20:
	s_or_b64 exec, exec, s[12:13]
	v_add_u32_e32 v2, 16, v0
	v_cmp_le_i32_e32 vcc, v2, v9
	s_and_b64 s[12:13], s[2:3], vcc
	v_ashrrev_i32_e32 v3, 31, v2
	s_and_saveexec_b64 s[2:3], s[12:13]
	s_cbranch_execz .LBB386_24
; %bb.21:
	v_pk_mul_f32 v[10:11], v[22:23], s[10:11] op_sel:[0,1] op_sel_hi:[0,0]
	v_pk_fma_f32 v[6:7], v[20:21], s[10:11], v[10:11] op_sel_hi:[0,1,1] neg_lo:[0,0,1] neg_hi:[0,0,1]
	v_pk_fma_f32 v[10:11], v[20:21], s[10:11], v[10:11] op_sel_hi:[0,1,1]
	s_and_b64 vcc, exec, s[0:1]
	v_lshl_add_u64 v[4:5], v[2:3], 3, v[4:5]
	s_cbranch_vccnz .LBB386_23
; %bb.22:
	flat_load_dwordx2 v[12:13], v[4:5]
	s_mov_b32 s12, s7
	v_mov_b32_e32 v7, v11
	s_waitcnt vmcnt(0) lgkmcnt(0)
	v_pk_mul_f32 v[10:11], v[12:13], s[12:13] op_sel:[1,0] op_sel_hi:[0,0]
	v_pk_fma_f32 v[20:21], v[12:13], s[6:7], v[10:11] neg_lo:[0,0,1] neg_hi:[0,0,1]
	v_pk_fma_f32 v[10:11], v[12:13], s[6:7], v[10:11] op_sel_hi:[1,0,1]
	s_nop 0
	v_mov_b32_e32 v21, v11
	v_pk_add_f32 v[6:7], v[6:7], v[20:21]
	s_nop 0
	v_mov_b32_e32 v11, v7
.LBB386_23:
	v_mov_b32_e32 v7, v11
	flat_store_dwordx2 v[4:5], v[6:7]
.LBB386_24:
	s_or_b64 exec, exec, s[2:3]
	v_add_u32_e32 v9, 16, v9
	v_cmp_gt_i32_e64 s[2:3], s8, v9
	v_mad_i64_i32 v[4:5], s[8:9], v9, s9, 0
	v_cmp_le_i32_e32 vcc, v0, v9
	v_lshl_add_u64 v[4:5], v[4:5], 3, s[4:5]
	s_and_b64 s[8:9], s[2:3], vcc
	s_and_saveexec_b64 s[4:5], s[8:9]
	s_cbranch_execz .LBB386_28
; %bb.25:
	v_pk_mul_f32 v[10:11], v[18:19], s[10:11] op_sel:[0,1] op_sel_hi:[0,0]
	v_pk_fma_f32 v[6:7], v[16:17], s[10:11], v[10:11] op_sel_hi:[0,1,1] neg_lo:[0,0,1] neg_hi:[0,0,1]
	v_pk_fma_f32 v[10:11], v[16:17], s[10:11], v[10:11] op_sel_hi:[0,1,1]
	s_and_b64 vcc, exec, s[0:1]
	v_lshl_add_u64 v[0:1], v[0:1], 3, v[4:5]
	s_cbranch_vccnz .LBB386_27
; %bb.26:
	flat_load_dwordx2 v[12:13], v[0:1]
	s_mov_b32 s8, s7
	v_mov_b32_e32 v7, v11
	s_waitcnt vmcnt(0) lgkmcnt(0)
	v_pk_mul_f32 v[10:11], v[12:13], s[8:9] op_sel:[1,0] op_sel_hi:[0,0]
	v_pk_fma_f32 v[16:17], v[12:13], s[6:7], v[10:11] neg_lo:[0,0,1] neg_hi:[0,0,1]
	v_pk_fma_f32 v[10:11], v[12:13], s[6:7], v[10:11] op_sel_hi:[1,0,1]
	s_nop 0
	v_mov_b32_e32 v17, v11
	v_pk_add_f32 v[6:7], v[6:7], v[16:17]
	s_nop 0
	v_mov_b32_e32 v11, v7
.LBB386_27:
	v_mov_b32_e32 v7, v11
	flat_store_dwordx2 v[0:1], v[6:7]
.LBB386_28:
	s_or_b64 exec, exec, s[4:5]
	v_cmp_le_i32_e32 vcc, v2, v9
	s_and_b64 s[2:3], s[2:3], vcc
	s_and_saveexec_b64 s[4:5], s[2:3]
	s_cbranch_execz .LBB386_32
; %bb.29:
	v_pk_mul_f32 v[6:7], v[14:15], s[10:11] op_sel:[0,1] op_sel_hi:[0,0]
	v_pk_fma_f32 v[0:1], v[8:9], s[10:11], v[6:7] op_sel_hi:[0,1,1] neg_lo:[0,0,1] neg_hi:[0,0,1]
	v_pk_fma_f32 v[6:7], v[8:9], s[10:11], v[6:7] op_sel_hi:[0,1,1]
	s_and_b64 vcc, exec, s[0:1]
	v_lshl_add_u64 v[2:3], v[2:3], 3, v[4:5]
	s_cbranch_vccnz .LBB386_31
; %bb.30:
	flat_load_dwordx2 v[4:5], v[2:3]
	s_mov_b32 s0, s7
	v_mov_b32_e32 v1, v7
	s_waitcnt vmcnt(0) lgkmcnt(0)
	v_pk_mul_f32 v[6:7], v[4:5], s[0:1] op_sel:[1,0] op_sel_hi:[0,0]
	v_pk_fma_f32 v[8:9], v[4:5], s[6:7], v[6:7] neg_lo:[0,0,1] neg_hi:[0,0,1]
	v_pk_fma_f32 v[4:5], v[4:5], s[6:7], v[6:7] op_sel_hi:[1,0,1]
	s_nop 0
	v_mov_b32_e32 v9, v5
	v_pk_add_f32 v[0:1], v[0:1], v[8:9]
	s_nop 0
	v_mov_b32_e32 v7, v1
.LBB386_31:
	v_mov_b32_e32 v1, v7
	flat_store_dwordx2 v[2:3], v[0:1]
.LBB386_32:
	s_endpgm
	.section	.rodata,"a",@progbits
	.p2align	6, 0x0
	.amdhsa_kernel _ZL29rocblas_internal_gemmt_kernelIiLi16ELi32ELi8ELc67ELc67ELc85ELb1ELb1E19rocblas_complex_numIfES1_PKPKS1_PKPS1_EviT_T9_T10_S9_lSB_S9_lSA_T11_S9_li
		.amdhsa_group_segment_fixed_size 4096
		.amdhsa_private_segment_fixed_size 0
		.amdhsa_kernarg_size 100
		.amdhsa_user_sgpr_count 2
		.amdhsa_user_sgpr_dispatch_ptr 0
		.amdhsa_user_sgpr_queue_ptr 0
		.amdhsa_user_sgpr_kernarg_segment_ptr 1
		.amdhsa_user_sgpr_dispatch_id 0
		.amdhsa_user_sgpr_kernarg_preload_length 0
		.amdhsa_user_sgpr_kernarg_preload_offset 0
		.amdhsa_user_sgpr_private_segment_size 0
		.amdhsa_uses_dynamic_stack 0
		.amdhsa_enable_private_segment 0
		.amdhsa_system_sgpr_workgroup_id_x 1
		.amdhsa_system_sgpr_workgroup_id_y 1
		.amdhsa_system_sgpr_workgroup_id_z 1
		.amdhsa_system_sgpr_workgroup_info 0
		.amdhsa_system_vgpr_workitem_id 1
		.amdhsa_next_free_vgpr 54
		.amdhsa_next_free_sgpr 30
		.amdhsa_accum_offset 56
		.amdhsa_reserve_vcc 1
		.amdhsa_float_round_mode_32 0
		.amdhsa_float_round_mode_16_64 0
		.amdhsa_float_denorm_mode_32 3
		.amdhsa_float_denorm_mode_16_64 3
		.amdhsa_dx10_clamp 1
		.amdhsa_ieee_mode 1
		.amdhsa_fp16_overflow 0
		.amdhsa_tg_split 0
		.amdhsa_exception_fp_ieee_invalid_op 0
		.amdhsa_exception_fp_denorm_src 0
		.amdhsa_exception_fp_ieee_div_zero 0
		.amdhsa_exception_fp_ieee_overflow 0
		.amdhsa_exception_fp_ieee_underflow 0
		.amdhsa_exception_fp_ieee_inexact 0
		.amdhsa_exception_int_div_zero 0
	.end_amdhsa_kernel
	.section	.text._ZL29rocblas_internal_gemmt_kernelIiLi16ELi32ELi8ELc67ELc67ELc85ELb1ELb1E19rocblas_complex_numIfES1_PKPKS1_PKPS1_EviT_T9_T10_S9_lSB_S9_lSA_T11_S9_li,"axG",@progbits,_ZL29rocblas_internal_gemmt_kernelIiLi16ELi32ELi8ELc67ELc67ELc85ELb1ELb1E19rocblas_complex_numIfES1_PKPKS1_PKPS1_EviT_T9_T10_S9_lSB_S9_lSA_T11_S9_li,comdat
.Lfunc_end386:
	.size	_ZL29rocblas_internal_gemmt_kernelIiLi16ELi32ELi8ELc67ELc67ELc85ELb1ELb1E19rocblas_complex_numIfES1_PKPKS1_PKPS1_EviT_T9_T10_S9_lSB_S9_lSA_T11_S9_li, .Lfunc_end386-_ZL29rocblas_internal_gemmt_kernelIiLi16ELi32ELi8ELc67ELc67ELc85ELb1ELb1E19rocblas_complex_numIfES1_PKPKS1_PKPS1_EviT_T9_T10_S9_lSB_S9_lSA_T11_S9_li
                                        ; -- End function
	.set _ZL29rocblas_internal_gemmt_kernelIiLi16ELi32ELi8ELc67ELc67ELc85ELb1ELb1E19rocblas_complex_numIfES1_PKPKS1_PKPS1_EviT_T9_T10_S9_lSB_S9_lSA_T11_S9_li.num_vgpr, 54
	.set _ZL29rocblas_internal_gemmt_kernelIiLi16ELi32ELi8ELc67ELc67ELc85ELb1ELb1E19rocblas_complex_numIfES1_PKPKS1_PKPS1_EviT_T9_T10_S9_lSB_S9_lSA_T11_S9_li.num_agpr, 0
	.set _ZL29rocblas_internal_gemmt_kernelIiLi16ELi32ELi8ELc67ELc67ELc85ELb1ELb1E19rocblas_complex_numIfES1_PKPKS1_PKPS1_EviT_T9_T10_S9_lSB_S9_lSA_T11_S9_li.numbered_sgpr, 30
	.set _ZL29rocblas_internal_gemmt_kernelIiLi16ELi32ELi8ELc67ELc67ELc85ELb1ELb1E19rocblas_complex_numIfES1_PKPKS1_PKPS1_EviT_T9_T10_S9_lSB_S9_lSA_T11_S9_li.num_named_barrier, 0
	.set _ZL29rocblas_internal_gemmt_kernelIiLi16ELi32ELi8ELc67ELc67ELc85ELb1ELb1E19rocblas_complex_numIfES1_PKPKS1_PKPS1_EviT_T9_T10_S9_lSB_S9_lSA_T11_S9_li.private_seg_size, 0
	.set _ZL29rocblas_internal_gemmt_kernelIiLi16ELi32ELi8ELc67ELc67ELc85ELb1ELb1E19rocblas_complex_numIfES1_PKPKS1_PKPS1_EviT_T9_T10_S9_lSB_S9_lSA_T11_S9_li.uses_vcc, 1
	.set _ZL29rocblas_internal_gemmt_kernelIiLi16ELi32ELi8ELc67ELc67ELc85ELb1ELb1E19rocblas_complex_numIfES1_PKPKS1_PKPS1_EviT_T9_T10_S9_lSB_S9_lSA_T11_S9_li.uses_flat_scratch, 0
	.set _ZL29rocblas_internal_gemmt_kernelIiLi16ELi32ELi8ELc67ELc67ELc85ELb1ELb1E19rocblas_complex_numIfES1_PKPKS1_PKPS1_EviT_T9_T10_S9_lSB_S9_lSA_T11_S9_li.has_dyn_sized_stack, 0
	.set _ZL29rocblas_internal_gemmt_kernelIiLi16ELi32ELi8ELc67ELc67ELc85ELb1ELb1E19rocblas_complex_numIfES1_PKPKS1_PKPS1_EviT_T9_T10_S9_lSB_S9_lSA_T11_S9_li.has_recursion, 0
	.set _ZL29rocblas_internal_gemmt_kernelIiLi16ELi32ELi8ELc67ELc67ELc85ELb1ELb1E19rocblas_complex_numIfES1_PKPKS1_PKPS1_EviT_T9_T10_S9_lSB_S9_lSA_T11_S9_li.has_indirect_call, 0
	.section	.AMDGPU.csdata,"",@progbits
; Kernel info:
; codeLenInByte = 2528
; TotalNumSgprs: 36
; NumVgprs: 54
; NumAgprs: 0
; TotalNumVgprs: 54
; ScratchSize: 0
; MemoryBound: 0
; FloatMode: 240
; IeeeMode: 1
; LDSByteSize: 4096 bytes/workgroup (compile time only)
; SGPRBlocks: 4
; VGPRBlocks: 6
; NumSGPRsForWavesPerEU: 36
; NumVGPRsForWavesPerEU: 54
; AccumOffset: 56
; Occupancy: 8
; WaveLimiterHint : 1
; COMPUTE_PGM_RSRC2:SCRATCH_EN: 0
; COMPUTE_PGM_RSRC2:USER_SGPR: 2
; COMPUTE_PGM_RSRC2:TRAP_HANDLER: 0
; COMPUTE_PGM_RSRC2:TGID_X_EN: 1
; COMPUTE_PGM_RSRC2:TGID_Y_EN: 1
; COMPUTE_PGM_RSRC2:TGID_Z_EN: 1
; COMPUTE_PGM_RSRC2:TIDIG_COMP_CNT: 1
; COMPUTE_PGM_RSRC3_GFX90A:ACCUM_OFFSET: 13
; COMPUTE_PGM_RSRC3_GFX90A:TG_SPLIT: 0
	.section	.text._ZL29rocblas_internal_gemmt_kernelIiLi16ELi32ELi8ELc78ELc78ELc76ELb0ELb0E19rocblas_complex_numIfES1_PKPKS1_PKPS1_EviT_T9_T10_S9_lSB_S9_lSA_T11_S9_li,"axG",@progbits,_ZL29rocblas_internal_gemmt_kernelIiLi16ELi32ELi8ELc78ELc78ELc76ELb0ELb0E19rocblas_complex_numIfES1_PKPKS1_PKPS1_EviT_T9_T10_S9_lSB_S9_lSA_T11_S9_li,comdat
	.globl	_ZL29rocblas_internal_gemmt_kernelIiLi16ELi32ELi8ELc78ELc78ELc76ELb0ELb0E19rocblas_complex_numIfES1_PKPKS1_PKPS1_EviT_T9_T10_S9_lSB_S9_lSA_T11_S9_li ; -- Begin function _ZL29rocblas_internal_gemmt_kernelIiLi16ELi32ELi8ELc78ELc78ELc76ELb0ELb0E19rocblas_complex_numIfES1_PKPKS1_PKPS1_EviT_T9_T10_S9_lSB_S9_lSA_T11_S9_li
	.p2align	8
	.type	_ZL29rocblas_internal_gemmt_kernelIiLi16ELi32ELi8ELc78ELc78ELc76ELb0ELb0E19rocblas_complex_numIfES1_PKPKS1_PKPS1_EviT_T9_T10_S9_lSB_S9_lSA_T11_S9_li,@function
_ZL29rocblas_internal_gemmt_kernelIiLi16ELi32ELi8ELc78ELc78ELc76ELb0ELb0E19rocblas_complex_numIfES1_PKPKS1_PKPS1_EviT_T9_T10_S9_lSB_S9_lSA_T11_S9_li: ; @_ZL29rocblas_internal_gemmt_kernelIiLi16ELi32ELi8ELc78ELc78ELc76ELb0ELb0E19rocblas_complex_numIfES1_PKPKS1_PKPS1_EviT_T9_T10_S9_lSB_S9_lSA_T11_S9_li
; %bb.0:
	s_load_dwordx2 s[12:13], s[0:1], 0x40
	s_load_dwordx4 s[8:11], s[0:1], 0x0
	s_waitcnt lgkmcnt(0)
	s_and_b32 s5, s13, 0x7fffffff
	s_cmp_eq_u32 s5, 0
	v_cmp_eq_f32_e64 s[6:7], s12, 1.0
	s_cselect_b64 s[14:15], -1, 0
	s_and_b64 s[6:7], s[6:7], s[14:15]
	s_and_b64 vcc, exec, s[6:7]
	s_cbranch_vccnz .LBB387_2
; %bb.1:
	s_mov_b64 s[6:7], -1
	s_cbranch_execz .LBB387_3
	s_branch .LBB387_4
.LBB387_2:
	s_mov_b64 s[6:7], 0
.LBB387_3:
	s_cmp_lg_u32 s9, 0
	v_cmp_neq_f32_e64 s[16:17], s10, 0
	v_cmp_neq_f32_e64 s[18:19], s11, 0
	s_cselect_b64 s[6:7], -1, 0
	s_or_b64 s[16:17], s[16:17], s[18:19]
	s_and_b64 s[6:7], s[6:7], s[16:17]
.LBB387_4:
	s_andn2_b64 vcc, exec, s[6:7]
	s_cbranch_vccnz .LBB387_28
; %bb.5:
	s_load_dwordx2 s[16:17], s[0:1], 0x48
	s_mov_b32 s5, 0
	s_lshl_b64 s[6:7], s[4:5], 3
	v_cmp_eq_f32_e64 s[18:19], s11, 0
	v_and_b32_e32 v13, 0x3ff, v0
	s_waitcnt lgkmcnt(0)
	s_add_u32 s16, s16, s6
	s_addc_u32 s17, s17, s7
	s_lshl_b32 s4, s2, 5
	s_lshl_b32 s20, s3, 5
	v_cmp_eq_f32_e64 s[2:3], s10, 0
	s_load_dwordx2 s[16:17], s[16:17], 0x0
	s_and_b64 s[2:3], s[2:3], s[18:19]
	s_cmp_lt_i32 s9, 1
	s_cselect_b64 s[18:19], -1, 0
	s_or_b64 s[2:3], s[2:3], s[18:19]
	v_bfe_u32 v15, v0, 10, 10
	v_mov_b32_e32 v24, 0
	s_and_b64 vcc, exec, s[2:3]
	v_mov_b32_e32 v26, 0
	v_mov_b32_e32 v20, 0
	;; [unrolled: 1-line block ×7, first 2 shown]
	s_cbranch_vccnz .LBB387_12
; %bb.6:
	s_load_dwordx2 s[2:3], s[0:1], 0x10
	s_load_dword s18, s[0:1], 0x18
	s_load_dwordx4 s[24:27], s[0:1], 0x20
	s_load_dword s21, s[0:1], 0x30
	s_load_dwordx2 s[22:23], s[0:1], 0x38
	v_lshl_add_u32 v0, v15, 4, v13
	v_and_b32_e32 v4, 31, v0
	v_lshrrev_b32_e32 v19, 5, v0
	s_waitcnt lgkmcnt(0)
	s_ashr_i32 s19, s18, 31
	s_add_u32 s26, s26, s6
	s_addc_u32 s27, s27, s7
	s_add_u32 s2, s2, s6
	s_addc_u32 s3, s3, s7
	s_load_dwordx2 s[6:7], s[2:3], 0x0
	v_lshrrev_b32_e32 v1, 3, v0
	v_or_b32_e32 v0, s4, v4
	v_cmp_gt_i32_e32 vcc, s8, v0
	v_lshlrev_b32_e32 v0, 3, v4
	v_mad_i64_i32 v[2:3], s[28:29], v19, s18, 0
	s_lshl_b64 s[24:25], s[24:25], 3
	v_add_u32_e32 v4, s4, v4
	v_and_b32_e32 v17, 7, v13
	v_lshl_add_u64 v[2:3], v[2:3], 3, s[24:25]
	v_ashrrev_i32_e32 v5, 31, v4
	v_add_u32_e32 v6, s20, v1
	s_load_dwordx2 s[26:27], s[26:27], 0x0
	v_lshl_or_b32 v21, v19, 8, v0
	v_lshlrev_b32_e32 v0, 3, v17
	v_lshl_add_u64 v[2:3], v[4:5], 3, v[2:3]
	v_lshl_or_b32 v1, v1, 6, v0
	s_waitcnt lgkmcnt(0)
	v_lshl_add_u64 v[8:9], s[6:7], 0, v[2:3]
	v_mad_i64_i32 v[2:3], s[6:7], s21, v6, 0
	v_add_u32_e32 v23, 0x800, v1
	v_mov_b32_e32 v1, 0x800
	s_lshl_b64 s[6:7], s[22:23], 3
	v_lshl_add_u32 v27, v15, 6, v1
	v_lshl_add_u64 v[2:3], v[2:3], 3, s[6:7]
	v_mov_b32_e32 v1, 0
	v_lshl_add_u64 v[2:3], v[2:3], 0, v[0:1]
	v_cmp_gt_i32_e64 s[2:3], s8, v6
	v_lshlrev_b32_e32 v25, 3, v13
	s_lshl_b64 s[18:19], s[18:19], 6
	v_lshl_add_u64 v[10:11], s[26:27], 0, v[2:3]
	v_mov_b32_e32 v14, v1
	v_mov_b32_e32 v12, v1
	;; [unrolled: 1-line block ×8, first 2 shown]
	s_branch .LBB387_8
.LBB387_7:                              ;   in Loop: Header=BB387_8 Depth=1
	s_or_b64 exec, exec, s[6:7]
	s_waitcnt vmcnt(0) lgkmcnt(0)
	ds_write_b64 v23, v[0:1]
	s_waitcnt lgkmcnt(0)
	s_barrier
	ds_read2_b64 v[28:31], v25 offset1:16
	ds_read_b128 v[32:35], v27
	ds_read_b128 v[36:39], v27 offset:16
	ds_read_b128 v[4:7], v27 offset:32
	;; [unrolled: 1-line block ×3, first 2 shown]
	ds_read2_b64 v[48:51], v25 offset0:32 offset1:48
	s_waitcnt lgkmcnt(4)
	v_mul_f32_e32 v40, v33, v29
	v_fma_f32 v40, v32, v28, -v40
	v_mul_f32_e32 v41, v32, v29
	v_fmac_f32_e32 v41, v33, v28
	v_add_f32_e32 v24, v24, v40
	v_mul_f32_e32 v40, v33, v31
	v_add_f32_e32 v26, v26, v41
	v_fma_f32 v44, v32, v30, -v40
	ds_read_b128 v[40:43], v27 offset:1024
	v_mul_f32_e32 v32, v32, v31
	v_fmac_f32_e32 v32, v33, v30
	v_add_f32_e32 v20, v20, v44
	v_add_f32_e32 v22, v22, v32
	ds_read_b128 v[44:47], v27 offset:1040
	s_waitcnt lgkmcnt(1)
	v_mul_f32_e32 v32, v41, v29
	v_mul_f32_e32 v29, v40, v29
	v_fma_f32 v32, v40, v28, -v32
	v_fmac_f32_e32 v29, v41, v28
	v_mul_f32_e32 v28, v41, v31
	v_add_f32_e32 v18, v18, v29
	v_fma_f32 v28, v40, v30, -v28
	v_mul_f32_e32 v29, v40, v31
	v_fmac_f32_e32 v29, v41, v30
	v_add_f32_e32 v12, v12, v28
	v_mul_f32_e32 v28, v35, v49
	v_add_f32_e32 v14, v14, v29
	v_fma_f32 v28, v34, v48, -v28
	v_mul_f32_e32 v29, v34, v49
	v_fmac_f32_e32 v29, v35, v48
	v_add_f32_e32 v24, v24, v28
	v_mul_f32_e32 v28, v35, v51
	v_add_f32_e32 v26, v26, v29
	v_fma_f32 v28, v34, v50, -v28
	v_mul_f32_e32 v29, v34, v51
	v_fmac_f32_e32 v29, v35, v50
	v_add_f32_e32 v20, v20, v28
	v_mul_f32_e32 v28, v43, v49
	v_add_f32_e32 v16, v16, v32
	v_add_f32_e32 v22, v22, v29
	v_fma_f32 v28, v42, v48, -v28
	v_mul_f32_e32 v29, v42, v49
	v_fmac_f32_e32 v29, v43, v48
	v_add_f32_e32 v16, v16, v28
	v_mul_f32_e32 v28, v43, v51
	v_add_f32_e32 v18, v18, v29
	v_fma_f32 v32, v42, v50, -v28
	ds_read2_b64 v[28:31], v25 offset0:64 offset1:80
	v_mul_f32_e32 v33, v42, v51
	v_add_f32_e32 v12, v12, v32
	v_fmac_f32_e32 v33, v43, v50
	v_add_f32_e32 v14, v14, v33
	s_waitcnt lgkmcnt(0)
	v_mul_f32_e32 v32, v37, v29
	v_fma_f32 v32, v36, v28, -v32
	v_mul_f32_e32 v33, v36, v29
	v_add_f32_e32 v24, v24, v32
	v_mul_f32_e32 v32, v37, v31
	v_fmac_f32_e32 v33, v37, v28
	v_fma_f32 v32, v36, v30, -v32
	v_add_f32_e32 v26, v26, v33
	v_mul_f32_e32 v33, v36, v31
	v_add_f32_e32 v20, v20, v32
	v_mul_f32_e32 v32, v45, v29
	v_fmac_f32_e32 v33, v37, v30
	v_fma_f32 v32, v44, v28, -v32
	v_add_f32_e32 v22, v22, v33
	v_add_f32_e32 v16, v16, v32
	ds_read2_b64 v[32:35], v25 offset0:96 offset1:112
	v_mul_f32_e32 v29, v44, v29
	v_fmac_f32_e32 v29, v45, v28
	v_mul_f32_e32 v28, v45, v31
	v_add_f32_e32 v18, v18, v29
	v_fma_f32 v28, v44, v30, -v28
	v_mul_f32_e32 v29, v44, v31
	v_fmac_f32_e32 v29, v45, v30
	v_add_f32_e32 v12, v12, v28
	s_waitcnt lgkmcnt(0)
	v_mul_f32_e32 v28, v39, v33
	v_add_f32_e32 v14, v14, v29
	v_fma_f32 v28, v38, v32, -v28
	v_mul_f32_e32 v29, v38, v33
	v_fmac_f32_e32 v29, v39, v32
	v_add_f32_e32 v24, v24, v28
	v_mul_f32_e32 v28, v39, v35
	v_add_f32_e32 v26, v26, v29
	v_fma_f32 v28, v38, v34, -v28
	v_mul_f32_e32 v29, v38, v35
	v_fmac_f32_e32 v29, v39, v34
	v_add_f32_e32 v20, v20, v28
	v_mul_f32_e32 v28, v47, v33
	v_add_f32_e32 v22, v22, v29
	v_fma_f32 v28, v46, v32, -v28
	v_mul_f32_e32 v29, v46, v33
	v_fmac_f32_e32 v29, v47, v32
	v_add_f32_e32 v16, v16, v28
	v_mul_f32_e32 v28, v47, v35
	v_add_f32_e32 v18, v18, v29
	v_fma_f32 v32, v46, v34, -v28
	ds_read2_b64 v[28:31], v25 offset0:128 offset1:144
	v_mul_f32_e32 v33, v46, v35
	v_fmac_f32_e32 v33, v47, v34
	v_add_f32_e32 v12, v12, v32
	v_add_f32_e32 v14, v14, v33
	s_waitcnt lgkmcnt(0)
	v_mul_f32_e32 v32, v5, v29
	v_fma_f32 v32, v4, v28, -v32
	v_mul_f32_e32 v33, v4, v29
	v_fmac_f32_e32 v33, v5, v28
	v_add_f32_e32 v24, v24, v32
	v_mul_f32_e32 v32, v5, v31
	v_add_f32_e32 v26, v26, v33
	v_fma_f32 v36, v4, v30, -v32
	ds_read_b128 v[32:35], v27 offset:1056
	v_mul_f32_e32 v4, v4, v31
	ds_read2_b64 v[40:43], v25 offset0:160 offset1:176
	v_fmac_f32_e32 v4, v5, v30
	v_add_f32_e32 v5, v20, v36
	ds_read_b128 v[36:39], v27 offset:1072
	s_waitcnt lgkmcnt(2)
	v_mul_f32_e32 v20, v33, v29
	v_fma_f32 v20, v32, v28, -v20
	v_add_f32_e32 v16, v16, v20
	v_mul_f32_e32 v20, v33, v31
	v_add_f32_e32 v4, v22, v4
	v_mul_f32_e32 v22, v32, v29
	v_fma_f32 v20, v32, v30, -v20
	v_fmac_f32_e32 v22, v33, v28
	v_add_f32_e32 v12, v12, v20
	s_waitcnt lgkmcnt(1)
	v_mul_f32_e32 v20, v7, v41
	v_add_f32_e32 v18, v18, v22
	v_mul_f32_e32 v22, v32, v31
	v_fma_f32 v20, v6, v40, -v20
	v_fmac_f32_e32 v22, v33, v30
	v_add_f32_e32 v20, v24, v20
	v_mul_f32_e32 v24, v7, v43
	v_add_f32_e32 v14, v14, v22
	v_mul_f32_e32 v22, v6, v41
	v_fma_f32 v24, v6, v42, -v24
	v_mul_f32_e32 v6, v6, v43
	v_fmac_f32_e32 v22, v7, v40
	v_fmac_f32_e32 v6, v7, v42
	v_add_f32_e32 v22, v26, v22
	v_add_f32_e32 v26, v4, v6
	v_mul_f32_e32 v4, v35, v41
	v_add_f32_e32 v24, v5, v24
	v_fma_f32 v4, v34, v40, -v4
	v_mul_f32_e32 v5, v34, v41
	v_fmac_f32_e32 v5, v35, v40
	v_add_f32_e32 v16, v16, v4
	v_mul_f32_e32 v4, v35, v43
	v_add_f32_e32 v18, v18, v5
	v_fma_f32 v28, v34, v42, -v4
	ds_read2_b64 v[4:7], v25 offset0:192 offset1:208
	v_mul_f32_e32 v29, v34, v43
	v_add_f32_e32 v12, v12, v28
	v_fmac_f32_e32 v29, v35, v42
	v_add_f32_e32 v14, v14, v29
	s_waitcnt lgkmcnt(0)
	v_mul_f32_e32 v28, v1, v5
	v_fma_f32 v28, v0, v4, -v28
	v_mul_f32_e32 v29, v0, v5
	v_add_f32_e32 v20, v20, v28
	v_mul_f32_e32 v28, v1, v7
	v_fmac_f32_e32 v29, v1, v4
	v_fma_f32 v28, v0, v6, -v28
	v_mul_f32_e32 v0, v0, v7
	v_add_f32_e32 v22, v22, v29
	v_fmac_f32_e32 v0, v1, v6
	v_add_f32_e32 v1, v24, v28
	ds_read2_b64 v[28:31], v25 offset0:224 offset1:240
	v_mul_f32_e32 v24, v37, v5
	v_fma_f32 v24, v36, v4, -v24
	v_mul_f32_e32 v5, v36, v5
	v_fmac_f32_e32 v5, v37, v4
	v_add_f32_e32 v4, v16, v24
	v_mul_f32_e32 v16, v37, v7
	v_fma_f32 v16, v36, v6, -v16
	v_mul_f32_e32 v7, v36, v7
	v_fmac_f32_e32 v7, v37, v6
	v_add_f32_e32 v6, v12, v16
	s_waitcnt lgkmcnt(0)
	v_mul_f32_e32 v12, v3, v29
	v_fma_f32 v12, v2, v28, -v12
	v_add_f32_e32 v24, v20, v12
	v_mul_f32_e32 v12, v3, v31
	v_add_f32_e32 v7, v14, v7
	v_mul_f32_e32 v14, v2, v29
	v_fma_f32 v12, v2, v30, -v12
	v_mul_f32_e32 v2, v2, v31
	v_add_f32_e32 v0, v26, v0
	v_fmac_f32_e32 v14, v3, v28
	v_fmac_f32_e32 v2, v3, v30
	v_add_f32_e32 v26, v22, v14
	v_add_f32_e32 v20, v1, v12
	;; [unrolled: 1-line block ×3, first 2 shown]
	v_mul_f32_e32 v0, v39, v29
	v_mul_f32_e32 v1, v38, v29
	v_add_f32_e32 v5, v18, v5
	v_fma_f32 v0, v38, v28, -v0
	v_fmac_f32_e32 v1, v39, v28
	v_add_f32_e32 v16, v4, v0
	v_add_f32_e32 v18, v5, v1
	v_mul_f32_e32 v0, v39, v31
	v_mul_f32_e32 v1, v38, v31
	v_fma_f32 v0, v38, v30, -v0
	v_fmac_f32_e32 v1, v39, v30
	s_add_i32 s5, s5, 8
	v_add_f32_e32 v12, v6, v0
	v_add_f32_e32 v14, v7, v1
	v_lshl_add_u64 v[8:9], v[8:9], 0, s[18:19]
	s_cmp_lt_i32 s5, s9
	v_lshl_add_u64 v[10:11], v[10:11], 0, 64
	s_barrier
	s_cbranch_scc0 .LBB387_12
.LBB387_8:                              ; =>This Inner Loop Header: Depth=1
	v_add_u32_e32 v0, s5, v19
	v_cmp_gt_i32_e64 s[6:7], s9, v0
	s_and_b64 s[22:23], vcc, s[6:7]
	v_mov_b32_e32 v0, 0
	v_mov_b32_e32 v1, 0
	s_and_saveexec_b64 s[6:7], s[22:23]
	s_cbranch_execz .LBB387_10
; %bb.9:                                ;   in Loop: Header=BB387_8 Depth=1
	flat_load_dwordx2 v[0:1], v[8:9]
.LBB387_10:                             ;   in Loop: Header=BB387_8 Depth=1
	s_or_b64 exec, exec, s[6:7]
	s_waitcnt vmcnt(0) lgkmcnt(0)
	ds_write_b64 v21, v[0:1]
	v_add_u32_e32 v0, s5, v17
	v_cmp_gt_i32_e64 s[6:7], s9, v0
	s_and_b64 s[22:23], s[6:7], s[2:3]
	v_mov_b32_e32 v0, 0
	v_mov_b32_e32 v1, 0
	s_and_saveexec_b64 s[6:7], s[22:23]
	s_cbranch_execz .LBB387_7
; %bb.11:                               ;   in Loop: Header=BB387_8 Depth=1
	flat_load_dwordx2 v[0:1], v[10:11]
	s_branch .LBB387_7
.LBB387_12:
	s_load_dwordx2 s[2:3], s[0:1], 0x58
	s_load_dword s18, s[0:1], 0x50
	v_add_u32_e32 v0, s4, v13
	v_add_u32_e32 v10, s20, v15
	v_cmp_neq_f32_e64 s[0:1], s12, 0
	s_waitcnt lgkmcnt(0)
	s_lshl_b64 s[2:3], s[2:3], 3
	s_add_u32 s6, s16, s2
	s_addc_u32 s7, s17, s3
	s_xor_b64 s[4:5], s[14:15], -1
	v_mad_i64_i32 v[2:3], s[2:3], v10, s18, 0
	s_or_b64 s[0:1], s[0:1], s[4:5]
	v_lshl_add_u64 v[4:5], v[2:3], 3, s[6:7]
	v_cmp_le_i32_e32 vcc, v10, v0
	v_cmp_gt_i32_e64 s[2:3], s8, v0
	v_cndmask_b32_e64 v2, 0, 1, s[0:1]
	s_and_b64 s[14:15], vcc, s[2:3]
	v_ashrrev_i32_e32 v1, 31, v0
	v_cmp_ne_u32_e64 s[0:1], 1, v2
	s_and_saveexec_b64 s[4:5], s[14:15]
	s_cbranch_execz .LBB387_16
; %bb.13:
	v_pk_mul_f32 v[6:7], v[26:27], s[10:11] op_sel:[0,1] op_sel_hi:[0,0]
	v_pk_fma_f32 v[2:3], v[24:25], s[10:11], v[6:7] op_sel_hi:[0,1,1] neg_lo:[0,0,1] neg_hi:[0,0,1]
	v_pk_fma_f32 v[8:9], v[24:25], s[10:11], v[6:7] op_sel_hi:[0,1,1]
	s_and_b64 vcc, exec, s[0:1]
	v_lshl_add_u64 v[6:7], v[0:1], 3, v[4:5]
	s_cbranch_vccnz .LBB387_15
; %bb.14:
	flat_load_dwordx2 v[24:25], v[6:7]
	s_mov_b32 s14, s13
	v_mov_b32_e32 v3, v9
	s_waitcnt vmcnt(0) lgkmcnt(0)
	v_pk_mul_f32 v[8:9], v[24:25], s[14:15] op_sel:[1,0] op_sel_hi:[0,0]
	v_pk_fma_f32 v[26:27], v[24:25], s[12:13], v[8:9] neg_lo:[0,0,1] neg_hi:[0,0,1]
	v_pk_fma_f32 v[8:9], v[24:25], s[12:13], v[8:9] op_sel_hi:[1,0,1]
	s_nop 0
	v_mov_b32_e32 v27, v9
	v_pk_add_f32 v[2:3], v[2:3], v[26:27]
	s_nop 0
	v_mov_b32_e32 v9, v3
.LBB387_15:
	v_mov_b32_e32 v3, v9
	flat_store_dwordx2 v[6:7], v[2:3]
.LBB387_16:
	s_or_b64 exec, exec, s[4:5]
	v_add_u32_e32 v2, 16, v0
	v_cmp_le_i32_e32 vcc, v10, v2
	v_cmp_gt_i32_e64 s[4:5], s8, v2
	s_and_b64 s[14:15], vcc, s[4:5]
	v_ashrrev_i32_e32 v3, 31, v2
	s_and_saveexec_b64 s[8:9], s[14:15]
	s_cbranch_execz .LBB387_20
; %bb.17:
	v_pk_mul_f32 v[8:9], v[22:23], s[10:11] op_sel:[0,1] op_sel_hi:[0,0]
	v_pk_fma_f32 v[6:7], v[20:21], s[10:11], v[8:9] op_sel_hi:[0,1,1] neg_lo:[0,0,1] neg_hi:[0,0,1]
	v_pk_fma_f32 v[8:9], v[20:21], s[10:11], v[8:9] op_sel_hi:[0,1,1]
	s_and_b64 vcc, exec, s[0:1]
	v_lshl_add_u64 v[4:5], v[2:3], 3, v[4:5]
	s_cbranch_vccnz .LBB387_19
; %bb.18:
	flat_load_dwordx2 v[20:21], v[4:5]
	s_mov_b32 s14, s13
	v_mov_b32_e32 v7, v9
	s_waitcnt vmcnt(0) lgkmcnt(0)
	v_pk_mul_f32 v[8:9], v[20:21], s[14:15] op_sel:[1,0] op_sel_hi:[0,0]
	v_pk_fma_f32 v[22:23], v[20:21], s[12:13], v[8:9] neg_lo:[0,0,1] neg_hi:[0,0,1]
	v_pk_fma_f32 v[8:9], v[20:21], s[12:13], v[8:9] op_sel_hi:[1,0,1]
	s_nop 0
	v_mov_b32_e32 v23, v9
	v_pk_add_f32 v[6:7], v[6:7], v[22:23]
	s_nop 0
	v_mov_b32_e32 v9, v7
.LBB387_19:
	v_mov_b32_e32 v7, v9
	flat_store_dwordx2 v[4:5], v[6:7]
.LBB387_20:
	s_or_b64 exec, exec, s[8:9]
	v_add_u32_e32 v10, 16, v10
	v_mad_i64_i32 v[4:5], s[8:9], v10, s18, 0
	v_cmp_le_i32_e32 vcc, v10, v0
	v_lshl_add_u64 v[4:5], v[4:5], 3, s[6:7]
	s_and_b64 s[6:7], vcc, s[2:3]
	s_and_saveexec_b64 s[2:3], s[6:7]
	s_cbranch_execz .LBB387_24
; %bb.21:
	v_pk_mul_f32 v[8:9], v[18:19], s[10:11] op_sel:[0,1] op_sel_hi:[0,0]
	v_pk_fma_f32 v[6:7], v[16:17], s[10:11], v[8:9] op_sel_hi:[0,1,1] neg_lo:[0,0,1] neg_hi:[0,0,1]
	v_pk_fma_f32 v[8:9], v[16:17], s[10:11], v[8:9] op_sel_hi:[0,1,1]
	s_and_b64 vcc, exec, s[0:1]
	v_lshl_add_u64 v[0:1], v[0:1], 3, v[4:5]
	s_cbranch_vccnz .LBB387_23
; %bb.22:
	flat_load_dwordx2 v[16:17], v[0:1]
	s_mov_b32 s6, s13
	v_mov_b32_e32 v7, v9
	s_waitcnt vmcnt(0) lgkmcnt(0)
	v_pk_mul_f32 v[8:9], v[16:17], s[6:7] op_sel:[1,0] op_sel_hi:[0,0]
	v_pk_fma_f32 v[18:19], v[16:17], s[12:13], v[8:9] neg_lo:[0,0,1] neg_hi:[0,0,1]
	v_pk_fma_f32 v[8:9], v[16:17], s[12:13], v[8:9] op_sel_hi:[1,0,1]
	s_nop 0
	v_mov_b32_e32 v19, v9
	v_pk_add_f32 v[6:7], v[6:7], v[18:19]
	s_nop 0
	v_mov_b32_e32 v9, v7
.LBB387_23:
	v_mov_b32_e32 v7, v9
	flat_store_dwordx2 v[0:1], v[6:7]
.LBB387_24:
	s_or_b64 exec, exec, s[2:3]
	v_cmp_le_i32_e32 vcc, v10, v2
	s_and_b64 s[2:3], vcc, s[4:5]
	s_and_saveexec_b64 s[4:5], s[2:3]
	s_cbranch_execz .LBB387_28
; %bb.25:
	v_pk_mul_f32 v[6:7], v[14:15], s[10:11] op_sel:[0,1] op_sel_hi:[0,0]
	v_pk_fma_f32 v[0:1], v[12:13], s[10:11], v[6:7] op_sel_hi:[0,1,1] neg_lo:[0,0,1] neg_hi:[0,0,1]
	v_pk_fma_f32 v[6:7], v[12:13], s[10:11], v[6:7] op_sel_hi:[0,1,1]
	s_and_b64 vcc, exec, s[0:1]
	v_lshl_add_u64 v[2:3], v[2:3], 3, v[4:5]
	s_cbranch_vccnz .LBB387_27
; %bb.26:
	flat_load_dwordx2 v[4:5], v[2:3]
	s_mov_b32 s0, s13
	v_mov_b32_e32 v1, v7
	s_waitcnt vmcnt(0) lgkmcnt(0)
	v_pk_mul_f32 v[6:7], v[4:5], s[0:1] op_sel:[1,0] op_sel_hi:[0,0]
	v_pk_fma_f32 v[8:9], v[4:5], s[12:13], v[6:7] neg_lo:[0,0,1] neg_hi:[0,0,1]
	v_pk_fma_f32 v[4:5], v[4:5], s[12:13], v[6:7] op_sel_hi:[1,0,1]
	s_nop 0
	v_mov_b32_e32 v9, v5
	v_pk_add_f32 v[0:1], v[0:1], v[8:9]
	s_nop 0
	v_mov_b32_e32 v7, v1
.LBB387_27:
	v_mov_b32_e32 v1, v7
	flat_store_dwordx2 v[2:3], v[0:1]
.LBB387_28:
	s_endpgm
	.section	.rodata,"a",@progbits
	.p2align	6, 0x0
	.amdhsa_kernel _ZL29rocblas_internal_gemmt_kernelIiLi16ELi32ELi8ELc78ELc78ELc76ELb0ELb0E19rocblas_complex_numIfES1_PKPKS1_PKPS1_EviT_T9_T10_S9_lSB_S9_lSA_T11_S9_li
		.amdhsa_group_segment_fixed_size 4096
		.amdhsa_private_segment_fixed_size 0
		.amdhsa_kernarg_size 100
		.amdhsa_user_sgpr_count 2
		.amdhsa_user_sgpr_dispatch_ptr 0
		.amdhsa_user_sgpr_queue_ptr 0
		.amdhsa_user_sgpr_kernarg_segment_ptr 1
		.amdhsa_user_sgpr_dispatch_id 0
		.amdhsa_user_sgpr_kernarg_preload_length 0
		.amdhsa_user_sgpr_kernarg_preload_offset 0
		.amdhsa_user_sgpr_private_segment_size 0
		.amdhsa_uses_dynamic_stack 0
		.amdhsa_enable_private_segment 0
		.amdhsa_system_sgpr_workgroup_id_x 1
		.amdhsa_system_sgpr_workgroup_id_y 1
		.amdhsa_system_sgpr_workgroup_id_z 1
		.amdhsa_system_sgpr_workgroup_info 0
		.amdhsa_system_vgpr_workitem_id 1
		.amdhsa_next_free_vgpr 52
		.amdhsa_next_free_sgpr 30
		.amdhsa_accum_offset 52
		.amdhsa_reserve_vcc 1
		.amdhsa_float_round_mode_32 0
		.amdhsa_float_round_mode_16_64 0
		.amdhsa_float_denorm_mode_32 3
		.amdhsa_float_denorm_mode_16_64 3
		.amdhsa_dx10_clamp 1
		.amdhsa_ieee_mode 1
		.amdhsa_fp16_overflow 0
		.amdhsa_tg_split 0
		.amdhsa_exception_fp_ieee_invalid_op 0
		.amdhsa_exception_fp_denorm_src 0
		.amdhsa_exception_fp_ieee_div_zero 0
		.amdhsa_exception_fp_ieee_overflow 0
		.amdhsa_exception_fp_ieee_underflow 0
		.amdhsa_exception_fp_ieee_inexact 0
		.amdhsa_exception_int_div_zero 0
	.end_amdhsa_kernel
	.section	.text._ZL29rocblas_internal_gemmt_kernelIiLi16ELi32ELi8ELc78ELc78ELc76ELb0ELb0E19rocblas_complex_numIfES1_PKPKS1_PKPS1_EviT_T9_T10_S9_lSB_S9_lSA_T11_S9_li,"axG",@progbits,_ZL29rocblas_internal_gemmt_kernelIiLi16ELi32ELi8ELc78ELc78ELc76ELb0ELb0E19rocblas_complex_numIfES1_PKPKS1_PKPS1_EviT_T9_T10_S9_lSB_S9_lSA_T11_S9_li,comdat
.Lfunc_end387:
	.size	_ZL29rocblas_internal_gemmt_kernelIiLi16ELi32ELi8ELc78ELc78ELc76ELb0ELb0E19rocblas_complex_numIfES1_PKPKS1_PKPS1_EviT_T9_T10_S9_lSB_S9_lSA_T11_S9_li, .Lfunc_end387-_ZL29rocblas_internal_gemmt_kernelIiLi16ELi32ELi8ELc78ELc78ELc76ELb0ELb0E19rocblas_complex_numIfES1_PKPKS1_PKPS1_EviT_T9_T10_S9_lSB_S9_lSA_T11_S9_li
                                        ; -- End function
	.set _ZL29rocblas_internal_gemmt_kernelIiLi16ELi32ELi8ELc78ELc78ELc76ELb0ELb0E19rocblas_complex_numIfES1_PKPKS1_PKPS1_EviT_T9_T10_S9_lSB_S9_lSA_T11_S9_li.num_vgpr, 52
	.set _ZL29rocblas_internal_gemmt_kernelIiLi16ELi32ELi8ELc78ELc78ELc76ELb0ELb0E19rocblas_complex_numIfES1_PKPKS1_PKPS1_EviT_T9_T10_S9_lSB_S9_lSA_T11_S9_li.num_agpr, 0
	.set _ZL29rocblas_internal_gemmt_kernelIiLi16ELi32ELi8ELc78ELc78ELc76ELb0ELb0E19rocblas_complex_numIfES1_PKPKS1_PKPS1_EviT_T9_T10_S9_lSB_S9_lSA_T11_S9_li.numbered_sgpr, 30
	.set _ZL29rocblas_internal_gemmt_kernelIiLi16ELi32ELi8ELc78ELc78ELc76ELb0ELb0E19rocblas_complex_numIfES1_PKPKS1_PKPS1_EviT_T9_T10_S9_lSB_S9_lSA_T11_S9_li.num_named_barrier, 0
	.set _ZL29rocblas_internal_gemmt_kernelIiLi16ELi32ELi8ELc78ELc78ELc76ELb0ELb0E19rocblas_complex_numIfES1_PKPKS1_PKPS1_EviT_T9_T10_S9_lSB_S9_lSA_T11_S9_li.private_seg_size, 0
	.set _ZL29rocblas_internal_gemmt_kernelIiLi16ELi32ELi8ELc78ELc78ELc76ELb0ELb0E19rocblas_complex_numIfES1_PKPKS1_PKPS1_EviT_T9_T10_S9_lSB_S9_lSA_T11_S9_li.uses_vcc, 1
	.set _ZL29rocblas_internal_gemmt_kernelIiLi16ELi32ELi8ELc78ELc78ELc76ELb0ELb0E19rocblas_complex_numIfES1_PKPKS1_PKPS1_EviT_T9_T10_S9_lSB_S9_lSA_T11_S9_li.uses_flat_scratch, 0
	.set _ZL29rocblas_internal_gemmt_kernelIiLi16ELi32ELi8ELc78ELc78ELc76ELb0ELb0E19rocblas_complex_numIfES1_PKPKS1_PKPS1_EviT_T9_T10_S9_lSB_S9_lSA_T11_S9_li.has_dyn_sized_stack, 0
	.set _ZL29rocblas_internal_gemmt_kernelIiLi16ELi32ELi8ELc78ELc78ELc76ELb0ELb0E19rocblas_complex_numIfES1_PKPKS1_PKPS1_EviT_T9_T10_S9_lSB_S9_lSA_T11_S9_li.has_recursion, 0
	.set _ZL29rocblas_internal_gemmt_kernelIiLi16ELi32ELi8ELc78ELc78ELc76ELb0ELb0E19rocblas_complex_numIfES1_PKPKS1_PKPS1_EviT_T9_T10_S9_lSB_S9_lSA_T11_S9_li.has_indirect_call, 0
	.section	.AMDGPU.csdata,"",@progbits
; Kernel info:
; codeLenInByte = 2460
; TotalNumSgprs: 36
; NumVgprs: 52
; NumAgprs: 0
; TotalNumVgprs: 52
; ScratchSize: 0
; MemoryBound: 0
; FloatMode: 240
; IeeeMode: 1
; LDSByteSize: 4096 bytes/workgroup (compile time only)
; SGPRBlocks: 4
; VGPRBlocks: 6
; NumSGPRsForWavesPerEU: 36
; NumVGPRsForWavesPerEU: 52
; AccumOffset: 52
; Occupancy: 8
; WaveLimiterHint : 1
; COMPUTE_PGM_RSRC2:SCRATCH_EN: 0
; COMPUTE_PGM_RSRC2:USER_SGPR: 2
; COMPUTE_PGM_RSRC2:TRAP_HANDLER: 0
; COMPUTE_PGM_RSRC2:TGID_X_EN: 1
; COMPUTE_PGM_RSRC2:TGID_Y_EN: 1
; COMPUTE_PGM_RSRC2:TGID_Z_EN: 1
; COMPUTE_PGM_RSRC2:TIDIG_COMP_CNT: 1
; COMPUTE_PGM_RSRC3_GFX90A:ACCUM_OFFSET: 12
; COMPUTE_PGM_RSRC3_GFX90A:TG_SPLIT: 0
	.section	.text._ZL29rocblas_internal_gemmt_kernelIiLi16ELi32ELi8ELc78ELc84ELc76ELb0ELb0E19rocblas_complex_numIfES1_PKPKS1_PKPS1_EviT_T9_T10_S9_lSB_S9_lSA_T11_S9_li,"axG",@progbits,_ZL29rocblas_internal_gemmt_kernelIiLi16ELi32ELi8ELc78ELc84ELc76ELb0ELb0E19rocblas_complex_numIfES1_PKPKS1_PKPS1_EviT_T9_T10_S9_lSB_S9_lSA_T11_S9_li,comdat
	.globl	_ZL29rocblas_internal_gemmt_kernelIiLi16ELi32ELi8ELc78ELc84ELc76ELb0ELb0E19rocblas_complex_numIfES1_PKPKS1_PKPS1_EviT_T9_T10_S9_lSB_S9_lSA_T11_S9_li ; -- Begin function _ZL29rocblas_internal_gemmt_kernelIiLi16ELi32ELi8ELc78ELc84ELc76ELb0ELb0E19rocblas_complex_numIfES1_PKPKS1_PKPS1_EviT_T9_T10_S9_lSB_S9_lSA_T11_S9_li
	.p2align	8
	.type	_ZL29rocblas_internal_gemmt_kernelIiLi16ELi32ELi8ELc78ELc84ELc76ELb0ELb0E19rocblas_complex_numIfES1_PKPKS1_PKPS1_EviT_T9_T10_S9_lSB_S9_lSA_T11_S9_li,@function
_ZL29rocblas_internal_gemmt_kernelIiLi16ELi32ELi8ELc78ELc84ELc76ELb0ELb0E19rocblas_complex_numIfES1_PKPKS1_PKPS1_EviT_T9_T10_S9_lSB_S9_lSA_T11_S9_li: ; @_ZL29rocblas_internal_gemmt_kernelIiLi16ELi32ELi8ELc78ELc84ELc76ELb0ELb0E19rocblas_complex_numIfES1_PKPKS1_PKPS1_EviT_T9_T10_S9_lSB_S9_lSA_T11_S9_li
; %bb.0:
	s_load_dwordx2 s[12:13], s[0:1], 0x40
	s_load_dwordx4 s[8:11], s[0:1], 0x0
	s_waitcnt lgkmcnt(0)
	s_and_b32 s5, s13, 0x7fffffff
	s_cmp_eq_u32 s5, 0
	v_cmp_eq_f32_e64 s[6:7], s12, 1.0
	s_cselect_b64 s[14:15], -1, 0
	s_and_b64 s[6:7], s[6:7], s[14:15]
	s_and_b64 vcc, exec, s[6:7]
	s_cbranch_vccnz .LBB388_2
; %bb.1:
	s_mov_b64 s[6:7], -1
	s_cbranch_execz .LBB388_3
	s_branch .LBB388_4
.LBB388_2:
	s_mov_b64 s[6:7], 0
.LBB388_3:
	s_cmp_lg_u32 s9, 0
	v_cmp_neq_f32_e64 s[16:17], s10, 0
	v_cmp_neq_f32_e64 s[18:19], s11, 0
	s_cselect_b64 s[6:7], -1, 0
	s_or_b64 s[16:17], s[16:17], s[18:19]
	s_and_b64 s[6:7], s[6:7], s[16:17]
.LBB388_4:
	s_andn2_b64 vcc, exec, s[6:7]
	s_cbranch_vccnz .LBB388_28
; %bb.5:
	s_load_dwordx2 s[16:17], s[0:1], 0x48
	s_mov_b32 s5, 0
	s_lshl_b64 s[6:7], s[4:5], 3
	v_cmp_eq_f32_e64 s[18:19], s11, 0
	v_and_b32_e32 v13, 0x3ff, v0
	s_waitcnt lgkmcnt(0)
	s_add_u32 s16, s16, s6
	s_addc_u32 s17, s17, s7
	s_lshl_b32 s4, s2, 5
	s_lshl_b32 s22, s3, 5
	v_cmp_eq_f32_e64 s[2:3], s10, 0
	s_load_dwordx2 s[16:17], s[16:17], 0x0
	s_and_b64 s[2:3], s[2:3], s[18:19]
	s_cmp_lt_i32 s9, 1
	s_cselect_b64 s[18:19], -1, 0
	s_or_b64 s[2:3], s[2:3], s[18:19]
	v_bfe_u32 v15, v0, 10, 10
	v_mov_b32_e32 v24, 0
	s_and_b64 vcc, exec, s[2:3]
	v_mov_b32_e32 v26, 0
	v_mov_b32_e32 v20, 0
	;; [unrolled: 1-line block ×7, first 2 shown]
	s_cbranch_vccnz .LBB388_12
; %bb.6:
	s_load_dwordx2 s[2:3], s[0:1], 0x10
	s_load_dword s18, s[0:1], 0x18
	s_load_dwordx4 s[24:27], s[0:1], 0x20
	s_load_dword s20, s[0:1], 0x30
	v_lshl_add_u32 v1, v15, 4, v13
	v_and_b32_e32 v4, 31, v1
	s_waitcnt lgkmcnt(0)
	s_ashr_i32 s19, s18, 31
	v_lshrrev_b32_e32 v19, 5, v1
	s_ashr_i32 s21, s20, 31
	s_add_u32 s26, s26, s6
	s_addc_u32 s27, s27, s7
	v_lshrrev_b32_e32 v2, 3, v1
	v_or_b32_e32 v1, s4, v4
	s_add_u32 s2, s2, s6
	v_and_b32_e32 v17, 7, v13
	s_addc_u32 s3, s3, s7
	v_cmp_gt_i32_e32 vcc, s8, v1
	v_lshlrev_b32_e32 v1, 3, v4
	s_load_dwordx2 s[6:7], s[2:3], 0x0
	v_lshl_or_b32 v21, v19, 8, v1
	v_lshlrev_b32_e32 v1, 3, v17
	s_load_dwordx2 s[28:29], s[0:1], 0x38
	v_add_u32_e32 v0, s22, v2
	v_lshl_or_b32 v1, v2, 6, v1
	v_mov_b32_e32 v2, 0x800
	v_lshl_add_u32 v27, v15, 6, v2
	v_mad_i64_i32 v[2:3], s[30:31], v19, s18, 0
	s_lshl_b64 s[24:25], s[24:25], 3
	v_add_u32_e32 v4, s4, v4
	v_lshl_add_u64 v[2:3], v[2:3], 3, s[24:25]
	v_ashrrev_i32_e32 v5, 31, v4
	s_load_dwordx2 s[26:27], s[26:27], 0x0
	v_lshl_add_u64 v[2:3], v[4:5], 3, v[2:3]
	s_waitcnt lgkmcnt(0)
	v_lshl_add_u64 v[8:9], s[6:7], 0, v[2:3]
	v_mad_i64_i32 v[2:3], s[6:7], s20, v17, 0
	s_lshl_b64 s[6:7], s[28:29], 3
	v_add_u32_e32 v23, 0x800, v1
	v_ashrrev_i32_e32 v1, 31, v0
	v_lshl_add_u64 v[2:3], v[2:3], 3, s[6:7]
	v_cmp_gt_i32_e64 s[2:3], s8, v0
	v_lshl_add_u64 v[0:1], v[0:1], 3, v[2:3]
	v_lshlrev_b32_e32 v25, 3, v13
	s_lshl_b64 s[18:19], s[18:19], 6
	v_lshl_add_u64 v[10:11], s[26:27], 0, v[0:1]
	s_lshl_b64 s[20:21], s[20:21], 6
	v_mov_b32_e32 v12, 0
	v_mov_b32_e32 v14, 0
	;; [unrolled: 1-line block ×8, first 2 shown]
	s_branch .LBB388_8
.LBB388_7:                              ;   in Loop: Header=BB388_8 Depth=1
	s_or_b64 exec, exec, s[6:7]
	s_waitcnt vmcnt(0) lgkmcnt(0)
	ds_write_b64 v23, v[0:1]
	s_waitcnt lgkmcnt(0)
	s_barrier
	ds_read2_b64 v[28:31], v25 offset1:16
	ds_read_b128 v[32:35], v27
	ds_read_b128 v[36:39], v27 offset:16
	ds_read_b128 v[4:7], v27 offset:32
	;; [unrolled: 1-line block ×3, first 2 shown]
	ds_read2_b64 v[48:51], v25 offset0:32 offset1:48
	s_waitcnt lgkmcnt(4)
	v_mul_f32_e32 v40, v33, v29
	v_fma_f32 v40, v32, v28, -v40
	v_mul_f32_e32 v41, v32, v29
	v_fmac_f32_e32 v41, v33, v28
	v_add_f32_e32 v24, v24, v40
	v_mul_f32_e32 v40, v33, v31
	v_add_f32_e32 v26, v26, v41
	v_fma_f32 v44, v32, v30, -v40
	ds_read_b128 v[40:43], v27 offset:1024
	v_mul_f32_e32 v32, v32, v31
	v_fmac_f32_e32 v32, v33, v30
	v_add_f32_e32 v20, v20, v44
	v_add_f32_e32 v22, v22, v32
	ds_read_b128 v[44:47], v27 offset:1040
	s_waitcnt lgkmcnt(1)
	v_mul_f32_e32 v32, v41, v29
	v_mul_f32_e32 v29, v40, v29
	v_fma_f32 v32, v40, v28, -v32
	v_fmac_f32_e32 v29, v41, v28
	v_mul_f32_e32 v28, v41, v31
	v_add_f32_e32 v18, v18, v29
	v_fma_f32 v28, v40, v30, -v28
	v_mul_f32_e32 v29, v40, v31
	v_fmac_f32_e32 v29, v41, v30
	v_add_f32_e32 v14, v14, v28
	v_mul_f32_e32 v28, v35, v49
	v_add_f32_e32 v12, v12, v29
	v_fma_f32 v28, v34, v48, -v28
	v_mul_f32_e32 v29, v34, v49
	v_fmac_f32_e32 v29, v35, v48
	v_add_f32_e32 v24, v24, v28
	;; [unrolled: 6-line block ×3, first 2 shown]
	v_mul_f32_e32 v28, v43, v49
	v_add_f32_e32 v16, v16, v32
	v_add_f32_e32 v22, v22, v29
	v_fma_f32 v28, v42, v48, -v28
	v_mul_f32_e32 v29, v42, v49
	v_fmac_f32_e32 v29, v43, v48
	v_add_f32_e32 v16, v16, v28
	v_mul_f32_e32 v28, v43, v51
	v_add_f32_e32 v18, v18, v29
	v_fma_f32 v32, v42, v50, -v28
	ds_read2_b64 v[28:31], v25 offset0:64 offset1:80
	v_mul_f32_e32 v33, v42, v51
	v_add_f32_e32 v14, v14, v32
	v_fmac_f32_e32 v33, v43, v50
	v_add_f32_e32 v12, v12, v33
	s_waitcnt lgkmcnt(0)
	v_mul_f32_e32 v32, v37, v29
	v_fma_f32 v32, v36, v28, -v32
	v_mul_f32_e32 v33, v36, v29
	v_add_f32_e32 v24, v24, v32
	v_mul_f32_e32 v32, v37, v31
	v_fmac_f32_e32 v33, v37, v28
	v_fma_f32 v32, v36, v30, -v32
	v_add_f32_e32 v26, v26, v33
	v_mul_f32_e32 v33, v36, v31
	v_add_f32_e32 v20, v20, v32
	v_mul_f32_e32 v32, v45, v29
	v_fmac_f32_e32 v33, v37, v30
	v_fma_f32 v32, v44, v28, -v32
	v_add_f32_e32 v22, v22, v33
	v_add_f32_e32 v16, v16, v32
	ds_read2_b64 v[32:35], v25 offset0:96 offset1:112
	v_mul_f32_e32 v29, v44, v29
	v_fmac_f32_e32 v29, v45, v28
	v_mul_f32_e32 v28, v45, v31
	v_add_f32_e32 v18, v18, v29
	v_fma_f32 v28, v44, v30, -v28
	v_mul_f32_e32 v29, v44, v31
	v_fmac_f32_e32 v29, v45, v30
	v_add_f32_e32 v14, v14, v28
	s_waitcnt lgkmcnt(0)
	v_mul_f32_e32 v28, v39, v33
	v_add_f32_e32 v12, v12, v29
	v_fma_f32 v28, v38, v32, -v28
	v_mul_f32_e32 v29, v38, v33
	v_fmac_f32_e32 v29, v39, v32
	v_add_f32_e32 v24, v24, v28
	v_mul_f32_e32 v28, v39, v35
	v_add_f32_e32 v26, v26, v29
	v_fma_f32 v28, v38, v34, -v28
	v_mul_f32_e32 v29, v38, v35
	v_fmac_f32_e32 v29, v39, v34
	v_add_f32_e32 v20, v20, v28
	;; [unrolled: 6-line block ×3, first 2 shown]
	v_mul_f32_e32 v28, v47, v35
	v_add_f32_e32 v18, v18, v29
	v_fma_f32 v32, v46, v34, -v28
	ds_read2_b64 v[28:31], v25 offset0:128 offset1:144
	v_mul_f32_e32 v33, v46, v35
	v_fmac_f32_e32 v33, v47, v34
	v_add_f32_e32 v14, v14, v32
	v_add_f32_e32 v12, v12, v33
	s_waitcnt lgkmcnt(0)
	v_mul_f32_e32 v32, v5, v29
	v_fma_f32 v32, v4, v28, -v32
	v_mul_f32_e32 v33, v4, v29
	v_fmac_f32_e32 v33, v5, v28
	v_add_f32_e32 v24, v24, v32
	v_mul_f32_e32 v32, v5, v31
	v_add_f32_e32 v26, v26, v33
	v_fma_f32 v36, v4, v30, -v32
	ds_read_b128 v[32:35], v27 offset:1056
	v_mul_f32_e32 v4, v4, v31
	ds_read2_b64 v[40:43], v25 offset0:160 offset1:176
	v_fmac_f32_e32 v4, v5, v30
	v_add_f32_e32 v5, v20, v36
	ds_read_b128 v[36:39], v27 offset:1072
	s_waitcnt lgkmcnt(2)
	v_mul_f32_e32 v20, v33, v29
	v_fma_f32 v20, v32, v28, -v20
	v_add_f32_e32 v16, v16, v20
	v_mul_f32_e32 v20, v33, v31
	v_add_f32_e32 v4, v22, v4
	v_mul_f32_e32 v22, v32, v29
	v_fma_f32 v20, v32, v30, -v20
	v_fmac_f32_e32 v22, v33, v28
	v_add_f32_e32 v14, v14, v20
	s_waitcnt lgkmcnt(1)
	v_mul_f32_e32 v20, v7, v41
	v_add_f32_e32 v18, v18, v22
	v_mul_f32_e32 v22, v32, v31
	v_fma_f32 v20, v6, v40, -v20
	v_fmac_f32_e32 v22, v33, v30
	v_add_f32_e32 v20, v24, v20
	v_mul_f32_e32 v24, v7, v43
	v_add_f32_e32 v12, v12, v22
	v_mul_f32_e32 v22, v6, v41
	v_fma_f32 v24, v6, v42, -v24
	v_mul_f32_e32 v6, v6, v43
	v_fmac_f32_e32 v22, v7, v40
	v_fmac_f32_e32 v6, v7, v42
	v_add_f32_e32 v22, v26, v22
	v_add_f32_e32 v26, v4, v6
	v_mul_f32_e32 v4, v35, v41
	v_add_f32_e32 v24, v5, v24
	v_fma_f32 v4, v34, v40, -v4
	v_mul_f32_e32 v5, v34, v41
	v_fmac_f32_e32 v5, v35, v40
	v_add_f32_e32 v16, v16, v4
	v_mul_f32_e32 v4, v35, v43
	v_add_f32_e32 v18, v18, v5
	v_fma_f32 v28, v34, v42, -v4
	ds_read2_b64 v[4:7], v25 offset0:192 offset1:208
	v_mul_f32_e32 v29, v34, v43
	v_add_f32_e32 v14, v14, v28
	v_fmac_f32_e32 v29, v35, v42
	v_add_f32_e32 v12, v12, v29
	s_waitcnt lgkmcnt(0)
	v_mul_f32_e32 v28, v1, v5
	v_fma_f32 v28, v0, v4, -v28
	v_mul_f32_e32 v29, v0, v5
	v_add_f32_e32 v20, v20, v28
	v_mul_f32_e32 v28, v1, v7
	v_fmac_f32_e32 v29, v1, v4
	v_fma_f32 v28, v0, v6, -v28
	v_mul_f32_e32 v0, v0, v7
	v_add_f32_e32 v22, v22, v29
	v_fmac_f32_e32 v0, v1, v6
	v_add_f32_e32 v1, v24, v28
	ds_read2_b64 v[28:31], v25 offset0:224 offset1:240
	v_mul_f32_e32 v24, v37, v5
	v_fma_f32 v24, v36, v4, -v24
	v_mul_f32_e32 v5, v36, v5
	v_fmac_f32_e32 v5, v37, v4
	v_add_f32_e32 v4, v16, v24
	v_mul_f32_e32 v16, v37, v7
	v_mul_f32_e32 v7, v36, v7
	v_fmac_f32_e32 v7, v37, v6
	v_add_f32_e32 v7, v12, v7
	s_waitcnt lgkmcnt(0)
	v_mul_f32_e32 v12, v3, v29
	v_fma_f32 v12, v2, v28, -v12
	v_fma_f32 v16, v36, v6, -v16
	v_add_f32_e32 v24, v20, v12
	v_mul_f32_e32 v12, v3, v31
	v_add_f32_e32 v6, v14, v16
	v_mul_f32_e32 v14, v2, v29
	v_fma_f32 v12, v2, v30, -v12
	v_mul_f32_e32 v2, v2, v31
	v_add_f32_e32 v0, v26, v0
	v_fmac_f32_e32 v14, v3, v28
	v_fmac_f32_e32 v2, v3, v30
	v_add_f32_e32 v26, v22, v14
	v_add_f32_e32 v20, v1, v12
	;; [unrolled: 1-line block ×3, first 2 shown]
	v_mul_f32_e32 v0, v39, v29
	v_mul_f32_e32 v1, v38, v29
	v_add_f32_e32 v5, v18, v5
	v_fma_f32 v0, v38, v28, -v0
	v_fmac_f32_e32 v1, v39, v28
	v_add_f32_e32 v16, v4, v0
	v_add_f32_e32 v18, v5, v1
	v_mul_f32_e32 v0, v39, v31
	v_mul_f32_e32 v1, v38, v31
	v_fma_f32 v0, v38, v30, -v0
	v_fmac_f32_e32 v1, v39, v30
	s_add_i32 s5, s5, 8
	v_add_f32_e32 v14, v6, v0
	v_add_f32_e32 v12, v7, v1
	v_lshl_add_u64 v[8:9], v[8:9], 0, s[18:19]
	s_cmp_lt_i32 s5, s9
	v_lshl_add_u64 v[10:11], v[10:11], 0, s[20:21]
	s_barrier
	s_cbranch_scc0 .LBB388_12
.LBB388_8:                              ; =>This Inner Loop Header: Depth=1
	v_add_u32_e32 v0, s5, v19
	v_cmp_gt_i32_e64 s[6:7], s9, v0
	s_and_b64 s[24:25], vcc, s[6:7]
	v_mov_b32_e32 v0, 0
	v_mov_b32_e32 v1, 0
	s_and_saveexec_b64 s[6:7], s[24:25]
	s_cbranch_execz .LBB388_10
; %bb.9:                                ;   in Loop: Header=BB388_8 Depth=1
	flat_load_dwordx2 v[0:1], v[8:9]
.LBB388_10:                             ;   in Loop: Header=BB388_8 Depth=1
	s_or_b64 exec, exec, s[6:7]
	s_waitcnt vmcnt(0) lgkmcnt(0)
	ds_write_b64 v21, v[0:1]
	v_add_u32_e32 v0, s5, v17
	v_cmp_gt_i32_e64 s[6:7], s9, v0
	s_and_b64 s[24:25], s[6:7], s[2:3]
	v_mov_b32_e32 v0, 0
	v_mov_b32_e32 v1, 0
	s_and_saveexec_b64 s[6:7], s[24:25]
	s_cbranch_execz .LBB388_7
; %bb.11:                               ;   in Loop: Header=BB388_8 Depth=1
	flat_load_dwordx2 v[0:1], v[10:11]
	s_branch .LBB388_7
.LBB388_12:
	s_load_dwordx2 s[2:3], s[0:1], 0x58
	s_load_dword s18, s[0:1], 0x50
	v_add_u32_e32 v0, s4, v13
	v_add_u32_e32 v10, s22, v15
	v_cmp_neq_f32_e64 s[0:1], s12, 0
	s_waitcnt lgkmcnt(0)
	s_lshl_b64 s[2:3], s[2:3], 3
	s_add_u32 s6, s16, s2
	s_addc_u32 s7, s17, s3
	s_xor_b64 s[4:5], s[14:15], -1
	v_mad_i64_i32 v[2:3], s[2:3], v10, s18, 0
	s_or_b64 s[0:1], s[0:1], s[4:5]
	v_lshl_add_u64 v[4:5], v[2:3], 3, s[6:7]
	v_cmp_le_i32_e32 vcc, v10, v0
	v_cmp_gt_i32_e64 s[2:3], s8, v0
	v_cndmask_b32_e64 v2, 0, 1, s[0:1]
	s_and_b64 s[14:15], vcc, s[2:3]
	v_ashrrev_i32_e32 v1, 31, v0
	v_cmp_ne_u32_e64 s[0:1], 1, v2
	s_and_saveexec_b64 s[4:5], s[14:15]
	s_cbranch_execz .LBB388_16
; %bb.13:
	v_pk_mul_f32 v[6:7], v[26:27], s[10:11] op_sel:[0,1] op_sel_hi:[0,0]
	v_pk_fma_f32 v[2:3], v[24:25], s[10:11], v[6:7] op_sel_hi:[0,1,1] neg_lo:[0,0,1] neg_hi:[0,0,1]
	v_pk_fma_f32 v[8:9], v[24:25], s[10:11], v[6:7] op_sel_hi:[0,1,1]
	s_and_b64 vcc, exec, s[0:1]
	v_lshl_add_u64 v[6:7], v[0:1], 3, v[4:5]
	s_cbranch_vccnz .LBB388_15
; %bb.14:
	flat_load_dwordx2 v[24:25], v[6:7]
	s_mov_b32 s14, s13
	v_mov_b32_e32 v3, v9
	s_waitcnt vmcnt(0) lgkmcnt(0)
	v_pk_mul_f32 v[8:9], v[24:25], s[14:15] op_sel:[1,0] op_sel_hi:[0,0]
	v_pk_fma_f32 v[26:27], v[24:25], s[12:13], v[8:9] neg_lo:[0,0,1] neg_hi:[0,0,1]
	v_pk_fma_f32 v[8:9], v[24:25], s[12:13], v[8:9] op_sel_hi:[1,0,1]
	s_nop 0
	v_mov_b32_e32 v27, v9
	v_pk_add_f32 v[2:3], v[2:3], v[26:27]
	s_nop 0
	v_mov_b32_e32 v9, v3
.LBB388_15:
	v_mov_b32_e32 v3, v9
	flat_store_dwordx2 v[6:7], v[2:3]
.LBB388_16:
	s_or_b64 exec, exec, s[4:5]
	v_add_u32_e32 v2, 16, v0
	v_cmp_le_i32_e32 vcc, v10, v2
	v_cmp_gt_i32_e64 s[4:5], s8, v2
	s_and_b64 s[14:15], vcc, s[4:5]
	v_ashrrev_i32_e32 v3, 31, v2
	s_and_saveexec_b64 s[8:9], s[14:15]
	s_cbranch_execz .LBB388_20
; %bb.17:
	v_pk_mul_f32 v[8:9], v[22:23], s[10:11] op_sel:[0,1] op_sel_hi:[0,0]
	v_pk_fma_f32 v[6:7], v[20:21], s[10:11], v[8:9] op_sel_hi:[0,1,1] neg_lo:[0,0,1] neg_hi:[0,0,1]
	v_pk_fma_f32 v[8:9], v[20:21], s[10:11], v[8:9] op_sel_hi:[0,1,1]
	s_and_b64 vcc, exec, s[0:1]
	v_lshl_add_u64 v[4:5], v[2:3], 3, v[4:5]
	s_cbranch_vccnz .LBB388_19
; %bb.18:
	flat_load_dwordx2 v[20:21], v[4:5]
	s_mov_b32 s14, s13
	v_mov_b32_e32 v7, v9
	s_waitcnt vmcnt(0) lgkmcnt(0)
	v_pk_mul_f32 v[8:9], v[20:21], s[14:15] op_sel:[1,0] op_sel_hi:[0,0]
	v_pk_fma_f32 v[22:23], v[20:21], s[12:13], v[8:9] neg_lo:[0,0,1] neg_hi:[0,0,1]
	v_pk_fma_f32 v[8:9], v[20:21], s[12:13], v[8:9] op_sel_hi:[1,0,1]
	s_nop 0
	v_mov_b32_e32 v23, v9
	v_pk_add_f32 v[6:7], v[6:7], v[22:23]
	s_nop 0
	v_mov_b32_e32 v9, v7
.LBB388_19:
	v_mov_b32_e32 v7, v9
	flat_store_dwordx2 v[4:5], v[6:7]
.LBB388_20:
	s_or_b64 exec, exec, s[8:9]
	v_add_u32_e32 v10, 16, v10
	v_mad_i64_i32 v[4:5], s[8:9], v10, s18, 0
	v_cmp_le_i32_e32 vcc, v10, v0
	v_lshl_add_u64 v[4:5], v[4:5], 3, s[6:7]
	s_and_b64 s[6:7], vcc, s[2:3]
	s_and_saveexec_b64 s[2:3], s[6:7]
	s_cbranch_execz .LBB388_24
; %bb.21:
	v_pk_mul_f32 v[8:9], v[18:19], s[10:11] op_sel:[0,1] op_sel_hi:[0,0]
	v_pk_fma_f32 v[6:7], v[16:17], s[10:11], v[8:9] op_sel_hi:[0,1,1] neg_lo:[0,0,1] neg_hi:[0,0,1]
	v_pk_fma_f32 v[8:9], v[16:17], s[10:11], v[8:9] op_sel_hi:[0,1,1]
	s_and_b64 vcc, exec, s[0:1]
	v_lshl_add_u64 v[0:1], v[0:1], 3, v[4:5]
	s_cbranch_vccnz .LBB388_23
; %bb.22:
	flat_load_dwordx2 v[16:17], v[0:1]
	s_mov_b32 s6, s13
	v_mov_b32_e32 v7, v9
	s_waitcnt vmcnt(0) lgkmcnt(0)
	v_pk_mul_f32 v[8:9], v[16:17], s[6:7] op_sel:[1,0] op_sel_hi:[0,0]
	v_pk_fma_f32 v[18:19], v[16:17], s[12:13], v[8:9] neg_lo:[0,0,1] neg_hi:[0,0,1]
	v_pk_fma_f32 v[8:9], v[16:17], s[12:13], v[8:9] op_sel_hi:[1,0,1]
	s_nop 0
	v_mov_b32_e32 v19, v9
	v_pk_add_f32 v[6:7], v[6:7], v[18:19]
	s_nop 0
	v_mov_b32_e32 v9, v7
.LBB388_23:
	v_mov_b32_e32 v7, v9
	flat_store_dwordx2 v[0:1], v[6:7]
.LBB388_24:
	s_or_b64 exec, exec, s[2:3]
	v_cmp_le_i32_e32 vcc, v10, v2
	s_and_b64 s[2:3], vcc, s[4:5]
	s_and_saveexec_b64 s[4:5], s[2:3]
	s_cbranch_execz .LBB388_28
; %bb.25:
	v_pk_mul_f32 v[6:7], v[12:13], s[10:11] op_sel:[0,1] op_sel_hi:[0,0]
	v_pk_fma_f32 v[0:1], v[14:15], s[10:11], v[6:7] op_sel_hi:[0,1,1] neg_lo:[0,0,1] neg_hi:[0,0,1]
	v_pk_fma_f32 v[6:7], v[14:15], s[10:11], v[6:7] op_sel_hi:[0,1,1]
	s_and_b64 vcc, exec, s[0:1]
	v_lshl_add_u64 v[2:3], v[2:3], 3, v[4:5]
	s_cbranch_vccnz .LBB388_27
; %bb.26:
	flat_load_dwordx2 v[4:5], v[2:3]
	s_mov_b32 s0, s13
	v_mov_b32_e32 v1, v7
	s_waitcnt vmcnt(0) lgkmcnt(0)
	v_pk_mul_f32 v[6:7], v[4:5], s[0:1] op_sel:[1,0] op_sel_hi:[0,0]
	v_pk_fma_f32 v[8:9], v[4:5], s[12:13], v[6:7] neg_lo:[0,0,1] neg_hi:[0,0,1]
	v_pk_fma_f32 v[4:5], v[4:5], s[12:13], v[6:7] op_sel_hi:[1,0,1]
	s_nop 0
	v_mov_b32_e32 v9, v5
	v_pk_add_f32 v[0:1], v[0:1], v[8:9]
	s_nop 0
	v_mov_b32_e32 v7, v1
.LBB388_27:
	v_mov_b32_e32 v1, v7
	flat_store_dwordx2 v[2:3], v[0:1]
.LBB388_28:
	s_endpgm
	.section	.rodata,"a",@progbits
	.p2align	6, 0x0
	.amdhsa_kernel _ZL29rocblas_internal_gemmt_kernelIiLi16ELi32ELi8ELc78ELc84ELc76ELb0ELb0E19rocblas_complex_numIfES1_PKPKS1_PKPS1_EviT_T9_T10_S9_lSB_S9_lSA_T11_S9_li
		.amdhsa_group_segment_fixed_size 4096
		.amdhsa_private_segment_fixed_size 0
		.amdhsa_kernarg_size 100
		.amdhsa_user_sgpr_count 2
		.amdhsa_user_sgpr_dispatch_ptr 0
		.amdhsa_user_sgpr_queue_ptr 0
		.amdhsa_user_sgpr_kernarg_segment_ptr 1
		.amdhsa_user_sgpr_dispatch_id 0
		.amdhsa_user_sgpr_kernarg_preload_length 0
		.amdhsa_user_sgpr_kernarg_preload_offset 0
		.amdhsa_user_sgpr_private_segment_size 0
		.amdhsa_uses_dynamic_stack 0
		.amdhsa_enable_private_segment 0
		.amdhsa_system_sgpr_workgroup_id_x 1
		.amdhsa_system_sgpr_workgroup_id_y 1
		.amdhsa_system_sgpr_workgroup_id_z 1
		.amdhsa_system_sgpr_workgroup_info 0
		.amdhsa_system_vgpr_workitem_id 1
		.amdhsa_next_free_vgpr 52
		.amdhsa_next_free_sgpr 32
		.amdhsa_accum_offset 52
		.amdhsa_reserve_vcc 1
		.amdhsa_float_round_mode_32 0
		.amdhsa_float_round_mode_16_64 0
		.amdhsa_float_denorm_mode_32 3
		.amdhsa_float_denorm_mode_16_64 3
		.amdhsa_dx10_clamp 1
		.amdhsa_ieee_mode 1
		.amdhsa_fp16_overflow 0
		.amdhsa_tg_split 0
		.amdhsa_exception_fp_ieee_invalid_op 0
		.amdhsa_exception_fp_denorm_src 0
		.amdhsa_exception_fp_ieee_div_zero 0
		.amdhsa_exception_fp_ieee_overflow 0
		.amdhsa_exception_fp_ieee_underflow 0
		.amdhsa_exception_fp_ieee_inexact 0
		.amdhsa_exception_int_div_zero 0
	.end_amdhsa_kernel
	.section	.text._ZL29rocblas_internal_gemmt_kernelIiLi16ELi32ELi8ELc78ELc84ELc76ELb0ELb0E19rocblas_complex_numIfES1_PKPKS1_PKPS1_EviT_T9_T10_S9_lSB_S9_lSA_T11_S9_li,"axG",@progbits,_ZL29rocblas_internal_gemmt_kernelIiLi16ELi32ELi8ELc78ELc84ELc76ELb0ELb0E19rocblas_complex_numIfES1_PKPKS1_PKPS1_EviT_T9_T10_S9_lSB_S9_lSA_T11_S9_li,comdat
.Lfunc_end388:
	.size	_ZL29rocblas_internal_gemmt_kernelIiLi16ELi32ELi8ELc78ELc84ELc76ELb0ELb0E19rocblas_complex_numIfES1_PKPKS1_PKPS1_EviT_T9_T10_S9_lSB_S9_lSA_T11_S9_li, .Lfunc_end388-_ZL29rocblas_internal_gemmt_kernelIiLi16ELi32ELi8ELc78ELc84ELc76ELb0ELb0E19rocblas_complex_numIfES1_PKPKS1_PKPS1_EviT_T9_T10_S9_lSB_S9_lSA_T11_S9_li
                                        ; -- End function
	.set _ZL29rocblas_internal_gemmt_kernelIiLi16ELi32ELi8ELc78ELc84ELc76ELb0ELb0E19rocblas_complex_numIfES1_PKPKS1_PKPS1_EviT_T9_T10_S9_lSB_S9_lSA_T11_S9_li.num_vgpr, 52
	.set _ZL29rocblas_internal_gemmt_kernelIiLi16ELi32ELi8ELc78ELc84ELc76ELb0ELb0E19rocblas_complex_numIfES1_PKPKS1_PKPS1_EviT_T9_T10_S9_lSB_S9_lSA_T11_S9_li.num_agpr, 0
	.set _ZL29rocblas_internal_gemmt_kernelIiLi16ELi32ELi8ELc78ELc84ELc76ELb0ELb0E19rocblas_complex_numIfES1_PKPKS1_PKPS1_EviT_T9_T10_S9_lSB_S9_lSA_T11_S9_li.numbered_sgpr, 32
	.set _ZL29rocblas_internal_gemmt_kernelIiLi16ELi32ELi8ELc78ELc84ELc76ELb0ELb0E19rocblas_complex_numIfES1_PKPKS1_PKPS1_EviT_T9_T10_S9_lSB_S9_lSA_T11_S9_li.num_named_barrier, 0
	.set _ZL29rocblas_internal_gemmt_kernelIiLi16ELi32ELi8ELc78ELc84ELc76ELb0ELb0E19rocblas_complex_numIfES1_PKPKS1_PKPS1_EviT_T9_T10_S9_lSB_S9_lSA_T11_S9_li.private_seg_size, 0
	.set _ZL29rocblas_internal_gemmt_kernelIiLi16ELi32ELi8ELc78ELc84ELc76ELb0ELb0E19rocblas_complex_numIfES1_PKPKS1_PKPS1_EviT_T9_T10_S9_lSB_S9_lSA_T11_S9_li.uses_vcc, 1
	.set _ZL29rocblas_internal_gemmt_kernelIiLi16ELi32ELi8ELc78ELc84ELc76ELb0ELb0E19rocblas_complex_numIfES1_PKPKS1_PKPS1_EviT_T9_T10_S9_lSB_S9_lSA_T11_S9_li.uses_flat_scratch, 0
	.set _ZL29rocblas_internal_gemmt_kernelIiLi16ELi32ELi8ELc78ELc84ELc76ELb0ELb0E19rocblas_complex_numIfES1_PKPKS1_PKPS1_EviT_T9_T10_S9_lSB_S9_lSA_T11_S9_li.has_dyn_sized_stack, 0
	.set _ZL29rocblas_internal_gemmt_kernelIiLi16ELi32ELi8ELc78ELc84ELc76ELb0ELb0E19rocblas_complex_numIfES1_PKPKS1_PKPS1_EviT_T9_T10_S9_lSB_S9_lSA_T11_S9_li.has_recursion, 0
	.set _ZL29rocblas_internal_gemmt_kernelIiLi16ELi32ELi8ELc78ELc84ELc76ELb0ELb0E19rocblas_complex_numIfES1_PKPKS1_PKPS1_EviT_T9_T10_S9_lSB_S9_lSA_T11_S9_li.has_indirect_call, 0
	.section	.AMDGPU.csdata,"",@progbits
; Kernel info:
; codeLenInByte = 2468
; TotalNumSgprs: 38
; NumVgprs: 52
; NumAgprs: 0
; TotalNumVgprs: 52
; ScratchSize: 0
; MemoryBound: 0
; FloatMode: 240
; IeeeMode: 1
; LDSByteSize: 4096 bytes/workgroup (compile time only)
; SGPRBlocks: 4
; VGPRBlocks: 6
; NumSGPRsForWavesPerEU: 38
; NumVGPRsForWavesPerEU: 52
; AccumOffset: 52
; Occupancy: 8
; WaveLimiterHint : 1
; COMPUTE_PGM_RSRC2:SCRATCH_EN: 0
; COMPUTE_PGM_RSRC2:USER_SGPR: 2
; COMPUTE_PGM_RSRC2:TRAP_HANDLER: 0
; COMPUTE_PGM_RSRC2:TGID_X_EN: 1
; COMPUTE_PGM_RSRC2:TGID_Y_EN: 1
; COMPUTE_PGM_RSRC2:TGID_Z_EN: 1
; COMPUTE_PGM_RSRC2:TIDIG_COMP_CNT: 1
; COMPUTE_PGM_RSRC3_GFX90A:ACCUM_OFFSET: 12
; COMPUTE_PGM_RSRC3_GFX90A:TG_SPLIT: 0
	.section	.text._ZL29rocblas_internal_gemmt_kernelIiLi16ELi32ELi8ELc78ELc67ELc76ELb0ELb1E19rocblas_complex_numIfES1_PKPKS1_PKPS1_EviT_T9_T10_S9_lSB_S9_lSA_T11_S9_li,"axG",@progbits,_ZL29rocblas_internal_gemmt_kernelIiLi16ELi32ELi8ELc78ELc67ELc76ELb0ELb1E19rocblas_complex_numIfES1_PKPKS1_PKPS1_EviT_T9_T10_S9_lSB_S9_lSA_T11_S9_li,comdat
	.globl	_ZL29rocblas_internal_gemmt_kernelIiLi16ELi32ELi8ELc78ELc67ELc76ELb0ELb1E19rocblas_complex_numIfES1_PKPKS1_PKPS1_EviT_T9_T10_S9_lSB_S9_lSA_T11_S9_li ; -- Begin function _ZL29rocblas_internal_gemmt_kernelIiLi16ELi32ELi8ELc78ELc67ELc76ELb0ELb1E19rocblas_complex_numIfES1_PKPKS1_PKPS1_EviT_T9_T10_S9_lSB_S9_lSA_T11_S9_li
	.p2align	8
	.type	_ZL29rocblas_internal_gemmt_kernelIiLi16ELi32ELi8ELc78ELc67ELc76ELb0ELb1E19rocblas_complex_numIfES1_PKPKS1_PKPS1_EviT_T9_T10_S9_lSB_S9_lSA_T11_S9_li,@function
_ZL29rocblas_internal_gemmt_kernelIiLi16ELi32ELi8ELc78ELc67ELc76ELb0ELb1E19rocblas_complex_numIfES1_PKPKS1_PKPS1_EviT_T9_T10_S9_lSB_S9_lSA_T11_S9_li: ; @_ZL29rocblas_internal_gemmt_kernelIiLi16ELi32ELi8ELc78ELc67ELc76ELb0ELb1E19rocblas_complex_numIfES1_PKPKS1_PKPS1_EviT_T9_T10_S9_lSB_S9_lSA_T11_S9_li
; %bb.0:
	s_load_dwordx2 s[6:7], s[0:1], 0x40
	s_load_dwordx4 s[8:11], s[0:1], 0x0
	s_waitcnt lgkmcnt(0)
	s_and_b32 s5, s7, 0x7fffffff
	s_cmp_eq_u32 s5, 0
	v_cmp_eq_f32_e64 s[14:15], s6, 1.0
	s_cselect_b64 s[12:13], -1, 0
	s_and_b64 s[14:15], s[14:15], s[12:13]
	s_and_b64 vcc, exec, s[14:15]
	s_cbranch_vccnz .LBB389_2
; %bb.1:
	s_mov_b64 s[14:15], -1
	s_cbranch_execz .LBB389_3
	s_branch .LBB389_4
.LBB389_2:
	s_mov_b64 s[14:15], 0
.LBB389_3:
	s_cmp_lg_u32 s9, 0
	v_cmp_neq_f32_e64 s[16:17], s10, 0
	v_cmp_neq_f32_e64 s[18:19], s11, 0
	s_cselect_b64 s[14:15], -1, 0
	s_or_b64 s[16:17], s[16:17], s[18:19]
	s_and_b64 s[14:15], s[14:15], s[16:17]
.LBB389_4:
	s_andn2_b64 vcc, exec, s[14:15]
	s_cbranch_vccnz .LBB389_30
; %bb.5:
	s_load_dwordx2 s[14:15], s[0:1], 0x48
	s_mov_b32 s5, 0
	s_lshl_b64 s[16:17], s[4:5], 3
	v_cmp_eq_f32_e64 s[18:19], s11, 0
	v_and_b32_e32 v13, 0x3ff, v0
	s_waitcnt lgkmcnt(0)
	s_add_u32 s14, s14, s16
	s_addc_u32 s15, s15, s17
	s_lshl_b32 s4, s2, 5
	s_lshl_b32 s22, s3, 5
	v_cmp_eq_f32_e64 s[2:3], s10, 0
	s_load_dwordx2 s[14:15], s[14:15], 0x0
	s_and_b64 s[2:3], s[2:3], s[18:19]
	s_cmp_lt_i32 s9, 1
	s_cselect_b64 s[18:19], -1, 0
	s_or_b64 s[2:3], s[2:3], s[18:19]
	v_bfe_u32 v15, v0, 10, 10
	v_mov_b32_e32 v24, 0
	s_and_b64 vcc, exec, s[2:3]
	v_mov_b32_e32 v26, 0
	v_mov_b32_e32 v20, 0
	;; [unrolled: 1-line block ×7, first 2 shown]
	s_cbranch_vccnz .LBB389_14
; %bb.6:
	s_load_dwordx2 s[2:3], s[0:1], 0x10
	s_load_dword s18, s[0:1], 0x18
	s_load_dwordx4 s[24:27], s[0:1], 0x20
	s_load_dword s20, s[0:1], 0x30
	v_lshl_add_u32 v1, v15, 4, v13
	v_and_b32_e32 v4, 31, v1
	s_waitcnt lgkmcnt(0)
	s_ashr_i32 s19, s18, 31
	v_lshrrev_b32_e32 v19, 5, v1
	s_ashr_i32 s21, s20, 31
	s_add_u32 s26, s26, s16
	s_addc_u32 s27, s27, s17
	v_lshrrev_b32_e32 v2, 3, v1
	v_or_b32_e32 v1, s4, v4
	s_add_u32 s2, s2, s16
	v_and_b32_e32 v17, 7, v13
	s_addc_u32 s3, s3, s17
	v_cmp_gt_i32_e32 vcc, s8, v1
	v_lshlrev_b32_e32 v1, 3, v4
	s_load_dwordx2 s[16:17], s[2:3], 0x0
	v_lshl_or_b32 v21, v19, 8, v1
	v_lshlrev_b32_e32 v1, 3, v17
	s_load_dwordx2 s[28:29], s[0:1], 0x38
	v_add_u32_e32 v0, s22, v2
	v_lshl_or_b32 v1, v2, 6, v1
	v_mov_b32_e32 v2, 0x800
	v_lshl_add_u32 v27, v15, 6, v2
	v_mad_i64_i32 v[2:3], s[30:31], v19, s18, 0
	s_lshl_b64 s[24:25], s[24:25], 3
	v_add_u32_e32 v4, s4, v4
	v_lshl_add_u64 v[2:3], v[2:3], 3, s[24:25]
	v_ashrrev_i32_e32 v5, 31, v4
	s_load_dwordx2 s[26:27], s[26:27], 0x0
	v_lshl_add_u64 v[2:3], v[4:5], 3, v[2:3]
	s_waitcnt lgkmcnt(0)
	v_lshl_add_u64 v[8:9], s[16:17], 0, v[2:3]
	s_lshl_b64 s[16:17], s[18:19], 6
	v_mad_i64_i32 v[2:3], s[18:19], s20, v17, 0
	s_lshl_b64 s[18:19], s[28:29], 3
	v_add_u32_e32 v23, 0x800, v1
	v_ashrrev_i32_e32 v1, 31, v0
	v_lshl_add_u64 v[2:3], v[2:3], 3, s[18:19]
	v_cmp_gt_i32_e64 s[2:3], s8, v0
	v_lshl_add_u64 v[0:1], v[0:1], 3, v[2:3]
	v_lshlrev_b32_e32 v25, 3, v13
	v_lshl_add_u64 v[10:11], s[26:27], 0, v[0:1]
	s_lshl_b64 s[18:19], s[20:21], 6
	v_mov_b32_e32 v28, 0
	s_xor_b64 s[20:21], s[2:3], -1
	v_mov_b32_e32 v14, 0
	v_mov_b32_e32 v12, 0
	;; [unrolled: 1-line block ×8, first 2 shown]
	s_branch .LBB389_8
.LBB389_7:                              ;   in Loop: Header=BB389_8 Depth=1
	s_or_b64 exec, exec, s[2:3]
	ds_write_b32 v23, v0 offset:4
	s_waitcnt lgkmcnt(0)
	s_barrier
	ds_read2_b64 v[30:33], v25 offset1:16
	ds_read_b128 v[34:37], v27
	ds_read_b128 v[38:41], v27 offset:16
	ds_read_b128 v[4:7], v27 offset:32
	ds_read_b128 v[0:3], v27 offset:48
	ds_read2_b64 v[50:53], v25 offset0:32 offset1:48
	s_waitcnt lgkmcnt(4)
	v_mul_f32_e32 v42, v34, v31
	v_fmac_f32_e32 v42, v35, v30
	v_add_f32_e32 v26, v26, v42
	ds_read_b128 v[42:45], v27 offset:1024
	ds_read_b128 v[46:49], v27 offset:1040
	v_mul_f32_e32 v29, v35, v31
	v_fma_f32 v29, v34, v30, -v29
	v_add_f32_e32 v24, v24, v29
	v_mul_f32_e32 v29, v35, v33
	v_fma_f32 v29, v34, v32, -v29
	v_add_f32_e32 v20, v20, v29
	s_waitcnt lgkmcnt(1)
	v_mul_f32_e32 v29, v43, v31
	v_mul_f32_e32 v31, v42, v31
	v_fma_f32 v29, v42, v30, -v29
	v_fmac_f32_e32 v31, v43, v30
	v_mul_f32_e32 v30, v42, v33
	v_fmac_f32_e32 v30, v43, v32
	v_add_f32_e32 v14, v14, v30
	v_mul_f32_e32 v30, v36, v51
	v_mul_f32_e32 v34, v34, v33
	v_fmac_f32_e32 v30, v37, v50
	v_fmac_f32_e32 v34, v35, v32
	v_add_f32_e32 v26, v26, v30
	v_mul_f32_e32 v30, v36, v53
	v_add_f32_e32 v22, v22, v34
	v_add_f32_e32 v16, v16, v29
	v_mul_f32_e32 v29, v43, v33
	v_fmac_f32_e32 v30, v37, v52
	v_fma_f32 v29, v42, v32, -v29
	v_add_f32_e32 v22, v22, v30
	v_mul_f32_e32 v30, v44, v51
	v_add_f32_e32 v18, v18, v31
	v_add_f32_e32 v12, v12, v29
	v_mul_f32_e32 v29, v37, v51
	v_fmac_f32_e32 v30, v45, v50
	v_fma_f32 v29, v36, v50, -v29
	v_add_f32_e32 v18, v18, v30
	ds_read2_b64 v[30:33], v25 offset0:64 offset1:80
	v_add_f32_e32 v24, v24, v29
	v_mul_f32_e32 v29, v37, v53
	v_fma_f32 v29, v36, v52, -v29
	v_add_f32_e32 v20, v20, v29
	v_mul_f32_e32 v29, v45, v51
	v_mul_f32_e32 v34, v44, v53
	v_fma_f32 v29, v44, v50, -v29
	v_fmac_f32_e32 v34, v45, v52
	v_add_f32_e32 v16, v16, v29
	v_mul_f32_e32 v29, v45, v53
	v_add_f32_e32 v14, v14, v34
	s_waitcnt lgkmcnt(0)
	v_mul_f32_e32 v34, v38, v31
	v_fma_f32 v29, v44, v52, -v29
	v_fmac_f32_e32 v34, v39, v30
	v_add_f32_e32 v12, v12, v29
	v_mul_f32_e32 v29, v39, v31
	v_add_f32_e32 v26, v26, v34
	v_mul_f32_e32 v34, v38, v33
	v_fma_f32 v29, v38, v30, -v29
	v_fmac_f32_e32 v34, v39, v32
	v_add_f32_e32 v24, v24, v29
	v_mul_f32_e32 v29, v39, v33
	v_add_f32_e32 v22, v22, v34
	ds_read2_b64 v[34:37], v25 offset0:96 offset1:112
	v_fma_f32 v29, v38, v32, -v29
	v_add_f32_e32 v20, v20, v29
	v_mul_f32_e32 v29, v47, v31
	v_mul_f32_e32 v31, v46, v31
	v_fma_f32 v29, v46, v30, -v29
	v_fmac_f32_e32 v31, v47, v30
	v_mul_f32_e32 v30, v46, v33
	v_fmac_f32_e32 v30, v47, v32
	v_add_f32_e32 v14, v14, v30
	s_waitcnt lgkmcnt(0)
	v_mul_f32_e32 v30, v40, v35
	v_fmac_f32_e32 v30, v41, v34
	v_add_f32_e32 v16, v16, v29
	v_mul_f32_e32 v29, v47, v33
	v_add_f32_e32 v26, v26, v30
	v_mul_f32_e32 v30, v40, v37
	v_fma_f32 v29, v46, v32, -v29
	v_fmac_f32_e32 v30, v41, v36
	v_add_f32_e32 v12, v12, v29
	v_mul_f32_e32 v29, v41, v35
	v_add_f32_e32 v22, v22, v30
	v_mul_f32_e32 v30, v48, v35
	v_add_f32_e32 v18, v18, v31
	v_fma_f32 v29, v40, v34, -v29
	v_fmac_f32_e32 v30, v49, v34
	v_add_f32_e32 v24, v24, v29
	v_mul_f32_e32 v29, v41, v37
	v_add_f32_e32 v18, v18, v30
	ds_read2_b64 v[30:33], v25 offset0:128 offset1:144
	v_fma_f32 v29, v40, v36, -v29
	v_add_f32_e32 v20, v20, v29
	v_mul_f32_e32 v29, v49, v35
	v_fma_f32 v29, v48, v34, -v29
	v_mul_f32_e32 v34, v48, v37
	v_fmac_f32_e32 v34, v49, v36
	v_add_f32_e32 v14, v14, v34
	s_waitcnt lgkmcnt(0)
	v_mul_f32_e32 v34, v4, v31
	v_add_f32_e32 v16, v16, v29
	v_mul_f32_e32 v29, v49, v37
	v_fmac_f32_e32 v34, v5, v30
	v_fma_f32 v29, v48, v36, -v29
	v_add_f32_e32 v26, v26, v34
	ds_read_b128 v[34:37], v27 offset:1056
	ds_read_b128 v[38:41], v27 offset:1072
	v_add_f32_e32 v12, v12, v29
	v_mul_f32_e32 v29, v5, v31
	v_fma_f32 v29, v4, v30, -v29
	v_add_f32_e32 v24, v24, v29
	v_mul_f32_e32 v29, v5, v33
	v_fma_f32 v29, v4, v32, -v29
	v_mul_f32_e32 v4, v4, v33
	ds_read2_b64 v[42:45], v25 offset0:160 offset1:176
	v_fmac_f32_e32 v4, v5, v32
	v_add_f32_e32 v5, v20, v29
	s_waitcnt lgkmcnt(2)
	v_mul_f32_e32 v20, v35, v31
	v_fma_f32 v20, v34, v30, -v20
	v_add_f32_e32 v16, v16, v20
	v_mul_f32_e32 v20, v35, v33
	v_add_f32_e32 v4, v22, v4
	v_mul_f32_e32 v22, v34, v31
	v_fma_f32 v20, v34, v32, -v20
	v_fmac_f32_e32 v22, v35, v30
	v_add_f32_e32 v12, v12, v20
	s_waitcnt lgkmcnt(0)
	v_mul_f32_e32 v20, v7, v43
	v_add_f32_e32 v18, v18, v22
	v_mul_f32_e32 v22, v34, v33
	v_fma_f32 v20, v6, v42, -v20
	v_fmac_f32_e32 v22, v35, v32
	v_add_f32_e32 v20, v24, v20
	v_mul_f32_e32 v24, v7, v45
	v_add_f32_e32 v14, v14, v22
	v_mul_f32_e32 v22, v6, v43
	v_fma_f32 v24, v6, v44, -v24
	v_mul_f32_e32 v6, v6, v45
	v_fmac_f32_e32 v22, v7, v42
	v_fmac_f32_e32 v6, v7, v44
	v_add_f32_e32 v22, v26, v22
	v_add_f32_e32 v26, v4, v6
	v_mul_f32_e32 v4, v37, v43
	v_add_f32_e32 v24, v5, v24
	v_fma_f32 v4, v36, v42, -v4
	v_mul_f32_e32 v5, v36, v43
	v_fmac_f32_e32 v5, v37, v42
	v_add_f32_e32 v16, v16, v4
	v_mul_f32_e32 v4, v37, v45
	v_add_f32_e32 v18, v18, v5
	v_fma_f32 v29, v36, v44, -v4
	ds_read2_b64 v[4:7], v25 offset0:192 offset1:208
	v_mul_f32_e32 v30, v36, v45
	v_fmac_f32_e32 v30, v37, v44
	v_add_f32_e32 v12, v12, v29
	v_add_f32_e32 v14, v14, v30
	s_waitcnt lgkmcnt(0)
	v_mul_f32_e32 v29, v1, v5
	v_fma_f32 v29, v0, v4, -v29
	v_mul_f32_e32 v30, v0, v5
	v_fmac_f32_e32 v30, v1, v4
	v_add_f32_e32 v20, v20, v29
	v_mul_f32_e32 v29, v1, v7
	v_add_f32_e32 v22, v22, v30
	v_fma_f32 v29, v0, v6, -v29
	v_mul_f32_e32 v0, v0, v7
	ds_read2_b64 v[30:33], v25 offset0:224 offset1:240
	v_fmac_f32_e32 v0, v1, v6
	v_add_f32_e32 v1, v24, v29
	v_mul_f32_e32 v24, v39, v5
	v_fma_f32 v24, v38, v4, -v24
	v_mul_f32_e32 v5, v38, v5
	v_fmac_f32_e32 v5, v39, v4
	v_add_f32_e32 v4, v16, v24
	v_mul_f32_e32 v16, v39, v7
	v_fma_f32 v16, v38, v6, -v16
	v_mul_f32_e32 v7, v38, v7
	v_fmac_f32_e32 v7, v39, v6
	v_add_f32_e32 v6, v12, v16
	s_waitcnt lgkmcnt(0)
	v_mul_f32_e32 v12, v3, v31
	v_fma_f32 v12, v2, v30, -v12
	v_add_f32_e32 v24, v20, v12
	v_mul_f32_e32 v12, v3, v33
	v_add_f32_e32 v7, v14, v7
	v_mul_f32_e32 v14, v2, v31
	v_fma_f32 v12, v2, v32, -v12
	v_mul_f32_e32 v2, v2, v33
	v_add_f32_e32 v0, v26, v0
	v_fmac_f32_e32 v14, v3, v30
	v_fmac_f32_e32 v2, v3, v32
	v_add_f32_e32 v26, v22, v14
	v_add_f32_e32 v20, v1, v12
	;; [unrolled: 1-line block ×3, first 2 shown]
	v_mul_f32_e32 v0, v41, v31
	v_mul_f32_e32 v1, v40, v31
	v_add_f32_e32 v5, v18, v5
	v_fma_f32 v0, v40, v30, -v0
	v_fmac_f32_e32 v1, v41, v30
	v_add_f32_e32 v16, v4, v0
	v_add_f32_e32 v18, v5, v1
	v_mul_f32_e32 v0, v41, v33
	v_mul_f32_e32 v1, v40, v33
	v_fma_f32 v0, v40, v32, -v0
	v_fmac_f32_e32 v1, v41, v32
	s_add_i32 s5, s5, 8
	v_add_f32_e32 v12, v6, v0
	v_add_f32_e32 v14, v7, v1
	v_lshl_add_u64 v[8:9], v[8:9], 0, s[16:17]
	s_cmp_lt_i32 s5, s9
	v_lshl_add_u64 v[10:11], v[10:11], 0, s[18:19]
	s_barrier
	s_cbranch_scc0 .LBB389_14
.LBB389_8:                              ; =>This Inner Loop Header: Depth=1
	v_add_u32_e32 v0, s5, v19
	v_cmp_gt_i32_e64 s[2:3], s9, v0
	s_and_b64 s[24:25], vcc, s[2:3]
	v_mov_b32_e32 v0, 0
	v_mov_b32_e32 v1, 0
	s_and_saveexec_b64 s[2:3], s[24:25]
	s_cbranch_execz .LBB389_10
; %bb.9:                                ;   in Loop: Header=BB389_8 Depth=1
	flat_load_dwordx2 v[0:1], v[8:9]
.LBB389_10:                             ;   in Loop: Header=BB389_8 Depth=1
	s_or_b64 exec, exec, s[2:3]
	s_waitcnt vmcnt(0) lgkmcnt(0)
	ds_write_b64 v21, v[0:1]
	v_add_u32_e32 v0, s5, v17
	v_cmp_le_i32_e64 s[2:3], s9, v0
	s_or_b64 s[2:3], s[2:3], s[20:21]
	s_and_saveexec_b64 s[24:25], s[2:3]
	s_xor_b64 s[2:3], exec, s[24:25]
; %bb.11:                               ;   in Loop: Header=BB389_8 Depth=1
	ds_write_b32 v23, v28
; %bb.12:                               ;   in Loop: Header=BB389_8 Depth=1
	s_or_saveexec_b64 s[2:3], s[2:3]
	v_mov_b32_e32 v0, 0
	s_xor_b64 exec, exec, s[2:3]
	s_cbranch_execz .LBB389_7
; %bb.13:                               ;   in Loop: Header=BB389_8 Depth=1
	flat_load_dwordx2 v[2:3], v[10:11]
	s_waitcnt vmcnt(0) lgkmcnt(0)
	v_xor_b32_e32 v0, 0x80000000, v3
	ds_write_b32 v23, v2
	s_branch .LBB389_7
.LBB389_14:
	s_load_dwordx2 s[2:3], s[0:1], 0x58
	s_load_dword s16, s[0:1], 0x50
	v_add_u32_e32 v0, s4, v13
	v_add_u32_e32 v10, s22, v15
	v_cmp_neq_f32_e64 s[0:1], s6, 0
	s_waitcnt lgkmcnt(0)
	s_lshl_b64 s[2:3], s[2:3], 3
	s_add_u32 s14, s14, s2
	s_addc_u32 s15, s15, s3
	s_xor_b64 s[4:5], s[12:13], -1
	v_mad_i64_i32 v[2:3], s[2:3], v10, s16, 0
	s_or_b64 s[0:1], s[0:1], s[4:5]
	v_lshl_add_u64 v[4:5], v[2:3], 3, s[14:15]
	v_cmp_le_i32_e32 vcc, v10, v0
	v_cmp_gt_i32_e64 s[2:3], s8, v0
	v_cndmask_b32_e64 v2, 0, 1, s[0:1]
	s_and_b64 s[12:13], vcc, s[2:3]
	v_ashrrev_i32_e32 v1, 31, v0
	v_cmp_ne_u32_e64 s[0:1], 1, v2
	s_and_saveexec_b64 s[4:5], s[12:13]
	s_cbranch_execz .LBB389_18
; %bb.15:
	v_pk_mul_f32 v[6:7], v[26:27], s[10:11] op_sel:[0,1] op_sel_hi:[0,0]
	v_pk_fma_f32 v[2:3], v[24:25], s[10:11], v[6:7] op_sel_hi:[0,1,1] neg_lo:[0,0,1] neg_hi:[0,0,1]
	v_pk_fma_f32 v[8:9], v[24:25], s[10:11], v[6:7] op_sel_hi:[0,1,1]
	s_and_b64 vcc, exec, s[0:1]
	v_lshl_add_u64 v[6:7], v[0:1], 3, v[4:5]
	s_cbranch_vccnz .LBB389_17
; %bb.16:
	flat_load_dwordx2 v[24:25], v[6:7]
	s_mov_b32 s12, s7
	v_mov_b32_e32 v3, v9
	s_waitcnt vmcnt(0) lgkmcnt(0)
	v_pk_mul_f32 v[8:9], v[24:25], s[12:13] op_sel:[1,0] op_sel_hi:[0,0]
	v_pk_fma_f32 v[26:27], v[24:25], s[6:7], v[8:9] neg_lo:[0,0,1] neg_hi:[0,0,1]
	v_pk_fma_f32 v[8:9], v[24:25], s[6:7], v[8:9] op_sel_hi:[1,0,1]
	s_nop 0
	v_mov_b32_e32 v27, v9
	v_pk_add_f32 v[2:3], v[2:3], v[26:27]
	s_nop 0
	v_mov_b32_e32 v9, v3
.LBB389_17:
	v_mov_b32_e32 v3, v9
	flat_store_dwordx2 v[6:7], v[2:3]
.LBB389_18:
	s_or_b64 exec, exec, s[4:5]
	v_add_u32_e32 v2, 16, v0
	v_cmp_le_i32_e32 vcc, v10, v2
	v_cmp_gt_i32_e64 s[4:5], s8, v2
	s_and_b64 s[12:13], vcc, s[4:5]
	v_ashrrev_i32_e32 v3, 31, v2
	s_and_saveexec_b64 s[8:9], s[12:13]
	s_cbranch_execz .LBB389_22
; %bb.19:
	v_pk_mul_f32 v[8:9], v[22:23], s[10:11] op_sel:[0,1] op_sel_hi:[0,0]
	v_pk_fma_f32 v[6:7], v[20:21], s[10:11], v[8:9] op_sel_hi:[0,1,1] neg_lo:[0,0,1] neg_hi:[0,0,1]
	v_pk_fma_f32 v[8:9], v[20:21], s[10:11], v[8:9] op_sel_hi:[0,1,1]
	s_and_b64 vcc, exec, s[0:1]
	v_lshl_add_u64 v[4:5], v[2:3], 3, v[4:5]
	s_cbranch_vccnz .LBB389_21
; %bb.20:
	flat_load_dwordx2 v[20:21], v[4:5]
	s_mov_b32 s12, s7
	v_mov_b32_e32 v7, v9
	s_waitcnt vmcnt(0) lgkmcnt(0)
	v_pk_mul_f32 v[8:9], v[20:21], s[12:13] op_sel:[1,0] op_sel_hi:[0,0]
	v_pk_fma_f32 v[22:23], v[20:21], s[6:7], v[8:9] neg_lo:[0,0,1] neg_hi:[0,0,1]
	v_pk_fma_f32 v[8:9], v[20:21], s[6:7], v[8:9] op_sel_hi:[1,0,1]
	s_nop 0
	v_mov_b32_e32 v23, v9
	v_pk_add_f32 v[6:7], v[6:7], v[22:23]
	s_nop 0
	v_mov_b32_e32 v9, v7
.LBB389_21:
	v_mov_b32_e32 v7, v9
	flat_store_dwordx2 v[4:5], v[6:7]
.LBB389_22:
	s_or_b64 exec, exec, s[8:9]
	v_add_u32_e32 v10, 16, v10
	v_mad_i64_i32 v[4:5], s[8:9], v10, s16, 0
	v_cmp_le_i32_e32 vcc, v10, v0
	v_lshl_add_u64 v[4:5], v[4:5], 3, s[14:15]
	s_and_b64 s[8:9], vcc, s[2:3]
	s_and_saveexec_b64 s[2:3], s[8:9]
	s_cbranch_execz .LBB389_26
; %bb.23:
	v_pk_mul_f32 v[8:9], v[18:19], s[10:11] op_sel:[0,1] op_sel_hi:[0,0]
	v_pk_fma_f32 v[6:7], v[16:17], s[10:11], v[8:9] op_sel_hi:[0,1,1] neg_lo:[0,0,1] neg_hi:[0,0,1]
	v_pk_fma_f32 v[8:9], v[16:17], s[10:11], v[8:9] op_sel_hi:[0,1,1]
	s_and_b64 vcc, exec, s[0:1]
	v_lshl_add_u64 v[0:1], v[0:1], 3, v[4:5]
	s_cbranch_vccnz .LBB389_25
; %bb.24:
	flat_load_dwordx2 v[16:17], v[0:1]
	s_mov_b32 s8, s7
	v_mov_b32_e32 v7, v9
	s_waitcnt vmcnt(0) lgkmcnt(0)
	v_pk_mul_f32 v[8:9], v[16:17], s[8:9] op_sel:[1,0] op_sel_hi:[0,0]
	v_pk_fma_f32 v[18:19], v[16:17], s[6:7], v[8:9] neg_lo:[0,0,1] neg_hi:[0,0,1]
	v_pk_fma_f32 v[8:9], v[16:17], s[6:7], v[8:9] op_sel_hi:[1,0,1]
	s_nop 0
	v_mov_b32_e32 v19, v9
	v_pk_add_f32 v[6:7], v[6:7], v[18:19]
	s_nop 0
	v_mov_b32_e32 v9, v7
.LBB389_25:
	v_mov_b32_e32 v7, v9
	flat_store_dwordx2 v[0:1], v[6:7]
.LBB389_26:
	s_or_b64 exec, exec, s[2:3]
	v_cmp_le_i32_e32 vcc, v10, v2
	s_and_b64 s[2:3], vcc, s[4:5]
	s_and_saveexec_b64 s[4:5], s[2:3]
	s_cbranch_execz .LBB389_30
; %bb.27:
	v_pk_mul_f32 v[6:7], v[14:15], s[10:11] op_sel:[0,1] op_sel_hi:[0,0]
	v_pk_fma_f32 v[0:1], v[12:13], s[10:11], v[6:7] op_sel_hi:[0,1,1] neg_lo:[0,0,1] neg_hi:[0,0,1]
	v_pk_fma_f32 v[6:7], v[12:13], s[10:11], v[6:7] op_sel_hi:[0,1,1]
	s_and_b64 vcc, exec, s[0:1]
	v_lshl_add_u64 v[2:3], v[2:3], 3, v[4:5]
	s_cbranch_vccnz .LBB389_29
; %bb.28:
	flat_load_dwordx2 v[4:5], v[2:3]
	s_mov_b32 s0, s7
	v_mov_b32_e32 v1, v7
	s_waitcnt vmcnt(0) lgkmcnt(0)
	v_pk_mul_f32 v[6:7], v[4:5], s[0:1] op_sel:[1,0] op_sel_hi:[0,0]
	v_pk_fma_f32 v[8:9], v[4:5], s[6:7], v[6:7] neg_lo:[0,0,1] neg_hi:[0,0,1]
	v_pk_fma_f32 v[4:5], v[4:5], s[6:7], v[6:7] op_sel_hi:[1,0,1]
	s_nop 0
	v_mov_b32_e32 v9, v5
	v_pk_add_f32 v[0:1], v[0:1], v[8:9]
	s_nop 0
	v_mov_b32_e32 v7, v1
.LBB389_29:
	v_mov_b32_e32 v1, v7
	flat_store_dwordx2 v[2:3], v[0:1]
.LBB389_30:
	s_endpgm
	.section	.rodata,"a",@progbits
	.p2align	6, 0x0
	.amdhsa_kernel _ZL29rocblas_internal_gemmt_kernelIiLi16ELi32ELi8ELc78ELc67ELc76ELb0ELb1E19rocblas_complex_numIfES1_PKPKS1_PKPS1_EviT_T9_T10_S9_lSB_S9_lSA_T11_S9_li
		.amdhsa_group_segment_fixed_size 4096
		.amdhsa_private_segment_fixed_size 0
		.amdhsa_kernarg_size 100
		.amdhsa_user_sgpr_count 2
		.amdhsa_user_sgpr_dispatch_ptr 0
		.amdhsa_user_sgpr_queue_ptr 0
		.amdhsa_user_sgpr_kernarg_segment_ptr 1
		.amdhsa_user_sgpr_dispatch_id 0
		.amdhsa_user_sgpr_kernarg_preload_length 0
		.amdhsa_user_sgpr_kernarg_preload_offset 0
		.amdhsa_user_sgpr_private_segment_size 0
		.amdhsa_uses_dynamic_stack 0
		.amdhsa_enable_private_segment 0
		.amdhsa_system_sgpr_workgroup_id_x 1
		.amdhsa_system_sgpr_workgroup_id_y 1
		.amdhsa_system_sgpr_workgroup_id_z 1
		.amdhsa_system_sgpr_workgroup_info 0
		.amdhsa_system_vgpr_workitem_id 1
		.amdhsa_next_free_vgpr 54
		.amdhsa_next_free_sgpr 32
		.amdhsa_accum_offset 56
		.amdhsa_reserve_vcc 1
		.amdhsa_float_round_mode_32 0
		.amdhsa_float_round_mode_16_64 0
		.amdhsa_float_denorm_mode_32 3
		.amdhsa_float_denorm_mode_16_64 3
		.amdhsa_dx10_clamp 1
		.amdhsa_ieee_mode 1
		.amdhsa_fp16_overflow 0
		.amdhsa_tg_split 0
		.amdhsa_exception_fp_ieee_invalid_op 0
		.amdhsa_exception_fp_denorm_src 0
		.amdhsa_exception_fp_ieee_div_zero 0
		.amdhsa_exception_fp_ieee_overflow 0
		.amdhsa_exception_fp_ieee_underflow 0
		.amdhsa_exception_fp_ieee_inexact 0
		.amdhsa_exception_int_div_zero 0
	.end_amdhsa_kernel
	.section	.text._ZL29rocblas_internal_gemmt_kernelIiLi16ELi32ELi8ELc78ELc67ELc76ELb0ELb1E19rocblas_complex_numIfES1_PKPKS1_PKPS1_EviT_T9_T10_S9_lSB_S9_lSA_T11_S9_li,"axG",@progbits,_ZL29rocblas_internal_gemmt_kernelIiLi16ELi32ELi8ELc78ELc67ELc76ELb0ELb1E19rocblas_complex_numIfES1_PKPKS1_PKPS1_EviT_T9_T10_S9_lSB_S9_lSA_T11_S9_li,comdat
.Lfunc_end389:
	.size	_ZL29rocblas_internal_gemmt_kernelIiLi16ELi32ELi8ELc78ELc67ELc76ELb0ELb1E19rocblas_complex_numIfES1_PKPKS1_PKPS1_EviT_T9_T10_S9_lSB_S9_lSA_T11_S9_li, .Lfunc_end389-_ZL29rocblas_internal_gemmt_kernelIiLi16ELi32ELi8ELc78ELc67ELc76ELb0ELb1E19rocblas_complex_numIfES1_PKPKS1_PKPS1_EviT_T9_T10_S9_lSB_S9_lSA_T11_S9_li
                                        ; -- End function
	.set _ZL29rocblas_internal_gemmt_kernelIiLi16ELi32ELi8ELc78ELc67ELc76ELb0ELb1E19rocblas_complex_numIfES1_PKPKS1_PKPS1_EviT_T9_T10_S9_lSB_S9_lSA_T11_S9_li.num_vgpr, 54
	.set _ZL29rocblas_internal_gemmt_kernelIiLi16ELi32ELi8ELc78ELc67ELc76ELb0ELb1E19rocblas_complex_numIfES1_PKPKS1_PKPS1_EviT_T9_T10_S9_lSB_S9_lSA_T11_S9_li.num_agpr, 0
	.set _ZL29rocblas_internal_gemmt_kernelIiLi16ELi32ELi8ELc78ELc67ELc76ELb0ELb1E19rocblas_complex_numIfES1_PKPKS1_PKPS1_EviT_T9_T10_S9_lSB_S9_lSA_T11_S9_li.numbered_sgpr, 32
	.set _ZL29rocblas_internal_gemmt_kernelIiLi16ELi32ELi8ELc78ELc67ELc76ELb0ELb1E19rocblas_complex_numIfES1_PKPKS1_PKPS1_EviT_T9_T10_S9_lSB_S9_lSA_T11_S9_li.num_named_barrier, 0
	.set _ZL29rocblas_internal_gemmt_kernelIiLi16ELi32ELi8ELc78ELc67ELc76ELb0ELb1E19rocblas_complex_numIfES1_PKPKS1_PKPS1_EviT_T9_T10_S9_lSB_S9_lSA_T11_S9_li.private_seg_size, 0
	.set _ZL29rocblas_internal_gemmt_kernelIiLi16ELi32ELi8ELc78ELc67ELc76ELb0ELb1E19rocblas_complex_numIfES1_PKPKS1_PKPS1_EviT_T9_T10_S9_lSB_S9_lSA_T11_S9_li.uses_vcc, 1
	.set _ZL29rocblas_internal_gemmt_kernelIiLi16ELi32ELi8ELc78ELc67ELc76ELb0ELb1E19rocblas_complex_numIfES1_PKPKS1_PKPS1_EviT_T9_T10_S9_lSB_S9_lSA_T11_S9_li.uses_flat_scratch, 0
	.set _ZL29rocblas_internal_gemmt_kernelIiLi16ELi32ELi8ELc78ELc67ELc76ELb0ELb1E19rocblas_complex_numIfES1_PKPKS1_PKPS1_EviT_T9_T10_S9_lSB_S9_lSA_T11_S9_li.has_dyn_sized_stack, 0
	.set _ZL29rocblas_internal_gemmt_kernelIiLi16ELi32ELi8ELc78ELc67ELc76ELb0ELb1E19rocblas_complex_numIfES1_PKPKS1_PKPS1_EviT_T9_T10_S9_lSB_S9_lSA_T11_S9_li.has_recursion, 0
	.set _ZL29rocblas_internal_gemmt_kernelIiLi16ELi32ELi8ELc78ELc67ELc76ELb0ELb1E19rocblas_complex_numIfES1_PKPKS1_PKPS1_EviT_T9_T10_S9_lSB_S9_lSA_T11_S9_li.has_indirect_call, 0
	.section	.AMDGPU.csdata,"",@progbits
; Kernel info:
; codeLenInByte = 2508
; TotalNumSgprs: 38
; NumVgprs: 54
; NumAgprs: 0
; TotalNumVgprs: 54
; ScratchSize: 0
; MemoryBound: 0
; FloatMode: 240
; IeeeMode: 1
; LDSByteSize: 4096 bytes/workgroup (compile time only)
; SGPRBlocks: 4
; VGPRBlocks: 6
; NumSGPRsForWavesPerEU: 38
; NumVGPRsForWavesPerEU: 54
; AccumOffset: 56
; Occupancy: 8
; WaveLimiterHint : 1
; COMPUTE_PGM_RSRC2:SCRATCH_EN: 0
; COMPUTE_PGM_RSRC2:USER_SGPR: 2
; COMPUTE_PGM_RSRC2:TRAP_HANDLER: 0
; COMPUTE_PGM_RSRC2:TGID_X_EN: 1
; COMPUTE_PGM_RSRC2:TGID_Y_EN: 1
; COMPUTE_PGM_RSRC2:TGID_Z_EN: 1
; COMPUTE_PGM_RSRC2:TIDIG_COMP_CNT: 1
; COMPUTE_PGM_RSRC3_GFX90A:ACCUM_OFFSET: 13
; COMPUTE_PGM_RSRC3_GFX90A:TG_SPLIT: 0
	.section	.text._ZL29rocblas_internal_gemmt_kernelIiLi16ELi32ELi8ELc84ELc78ELc76ELb0ELb0E19rocblas_complex_numIfES1_PKPKS1_PKPS1_EviT_T9_T10_S9_lSB_S9_lSA_T11_S9_li,"axG",@progbits,_ZL29rocblas_internal_gemmt_kernelIiLi16ELi32ELi8ELc84ELc78ELc76ELb0ELb0E19rocblas_complex_numIfES1_PKPKS1_PKPS1_EviT_T9_T10_S9_lSB_S9_lSA_T11_S9_li,comdat
	.globl	_ZL29rocblas_internal_gemmt_kernelIiLi16ELi32ELi8ELc84ELc78ELc76ELb0ELb0E19rocblas_complex_numIfES1_PKPKS1_PKPS1_EviT_T9_T10_S9_lSB_S9_lSA_T11_S9_li ; -- Begin function _ZL29rocblas_internal_gemmt_kernelIiLi16ELi32ELi8ELc84ELc78ELc76ELb0ELb0E19rocblas_complex_numIfES1_PKPKS1_PKPS1_EviT_T9_T10_S9_lSB_S9_lSA_T11_S9_li
	.p2align	8
	.type	_ZL29rocblas_internal_gemmt_kernelIiLi16ELi32ELi8ELc84ELc78ELc76ELb0ELb0E19rocblas_complex_numIfES1_PKPKS1_PKPS1_EviT_T9_T10_S9_lSB_S9_lSA_T11_S9_li,@function
_ZL29rocblas_internal_gemmt_kernelIiLi16ELi32ELi8ELc84ELc78ELc76ELb0ELb0E19rocblas_complex_numIfES1_PKPKS1_PKPS1_EviT_T9_T10_S9_lSB_S9_lSA_T11_S9_li: ; @_ZL29rocblas_internal_gemmt_kernelIiLi16ELi32ELi8ELc84ELc78ELc76ELb0ELb0E19rocblas_complex_numIfES1_PKPKS1_PKPS1_EviT_T9_T10_S9_lSB_S9_lSA_T11_S9_li
; %bb.0:
	s_load_dwordx2 s[12:13], s[0:1], 0x40
	s_load_dwordx4 s[8:11], s[0:1], 0x0
	s_waitcnt lgkmcnt(0)
	s_and_b32 s5, s13, 0x7fffffff
	s_cmp_eq_u32 s5, 0
	v_cmp_eq_f32_e64 s[6:7], s12, 1.0
	s_cselect_b64 s[14:15], -1, 0
	s_and_b64 s[6:7], s[6:7], s[14:15]
	s_and_b64 vcc, exec, s[6:7]
	s_cbranch_vccnz .LBB390_2
; %bb.1:
	s_mov_b64 s[6:7], -1
	s_cbranch_execz .LBB390_3
	s_branch .LBB390_4
.LBB390_2:
	s_mov_b64 s[6:7], 0
.LBB390_3:
	s_cmp_lg_u32 s9, 0
	v_cmp_neq_f32_e64 s[16:17], s10, 0
	v_cmp_neq_f32_e64 s[18:19], s11, 0
	s_cselect_b64 s[6:7], -1, 0
	s_or_b64 s[16:17], s[16:17], s[18:19]
	s_and_b64 s[6:7], s[6:7], s[16:17]
.LBB390_4:
	s_andn2_b64 vcc, exec, s[6:7]
	s_cbranch_vccnz .LBB390_28
; %bb.5:
	s_load_dwordx2 s[16:17], s[0:1], 0x48
	s_mov_b32 s5, 0
	s_lshl_b64 s[6:7], s[4:5], 3
	v_cmp_eq_f32_e64 s[20:21], s11, 0
	v_and_b32_e32 v13, 0x3ff, v0
	s_waitcnt lgkmcnt(0)
	s_add_u32 s16, s16, s6
	s_addc_u32 s17, s17, s7
	s_lshl_b32 s4, s2, 5
	s_lshl_b32 s18, s3, 5
	v_cmp_eq_f32_e64 s[2:3], s10, 0
	s_load_dwordx2 s[16:17], s[16:17], 0x0
	s_and_b64 s[2:3], s[2:3], s[20:21]
	s_cmp_lt_i32 s9, 1
	s_cselect_b64 s[20:21], -1, 0
	s_or_b64 s[2:3], s[2:3], s[20:21]
	v_bfe_u32 v15, v0, 10, 10
	v_mov_b32_e32 v24, 0
	s_and_b64 vcc, exec, s[2:3]
	v_mov_b32_e32 v26, 0
	v_mov_b32_e32 v20, 0
	;; [unrolled: 1-line block ×7, first 2 shown]
	s_cbranch_vccnz .LBB390_12
; %bb.6:
	s_load_dwordx2 s[2:3], s[0:1], 0x10
	s_load_dword s19, s[0:1], 0x18
	s_load_dwordx4 s[20:23], s[0:1], 0x20
	s_load_dword s28, s[0:1], 0x30
	s_load_dwordx2 s[24:25], s[0:1], 0x38
	v_lshl_add_u32 v0, v15, 4, v13
	v_and_b32_e32 v2, 31, v0
	v_lshrrev_b32_e32 v19, 5, v0
	v_lshrrev_b32_e32 v1, 3, v0
	v_or_b32_e32 v0, s4, v2
	s_waitcnt lgkmcnt(0)
	s_add_u32 s22, s22, s6
	v_and_b32_e32 v17, 7, v13
	s_addc_u32 s23, s23, s7
	v_cmp_gt_i32_e32 vcc, s8, v0
	v_lshlrev_b32_e32 v0, 3, v2
	s_add_u32 s2, s2, s6
	v_lshl_or_b32 v21, v19, 8, v0
	v_lshlrev_b32_e32 v0, 3, v17
	v_add_u32_e32 v6, s18, v1
	s_addc_u32 s3, s3, s7
	v_lshl_or_b32 v1, v1, 6, v0
	s_load_dwordx2 s[6:7], s[2:3], 0x0
	v_add_u32_e32 v23, 0x800, v1
	v_mov_b32_e32 v1, 0x800
	v_lshl_add_u32 v27, v15, 6, v1
	v_add_u32_e32 v1, s4, v2
	v_mad_i64_i32 v[2:3], s[26:27], s19, v1, 0
	s_lshl_b64 s[20:21], s[20:21], 3
	v_lshl_add_u64 v[2:3], v[2:3], 3, s[20:21]
	v_lshlrev_b32_e32 v4, 3, v19
	v_mov_b32_e32 v5, 0
	s_load_dwordx2 s[22:23], s[22:23], 0x0
	v_lshl_add_u64 v[2:3], v[2:3], 0, v[4:5]
	s_waitcnt lgkmcnt(0)
	v_lshl_add_u64 v[8:9], s[6:7], 0, v[2:3]
	v_mad_i64_i32 v[2:3], s[6:7], s28, v6, 0
	s_lshl_b64 s[6:7], s[24:25], 3
	s_nop 0
	v_lshl_add_u64 v[2:3], v[2:3], 3, s[6:7]
	v_mov_b32_e32 v1, v5
	v_lshl_add_u64 v[0:1], v[2:3], 0, v[0:1]
	v_cmp_gt_i32_e64 s[2:3], s8, v6
	v_lshlrev_b32_e32 v25, 3, v13
	v_lshl_add_u64 v[10:11], s[22:23], 0, v[0:1]
	v_mov_b32_e32 v14, v5
	v_mov_b32_e32 v12, v5
	;; [unrolled: 1-line block ×8, first 2 shown]
	s_branch .LBB390_8
.LBB390_7:                              ;   in Loop: Header=BB390_8 Depth=1
	s_or_b64 exec, exec, s[6:7]
	s_waitcnt vmcnt(0) lgkmcnt(0)
	ds_write_b64 v23, v[0:1]
	s_waitcnt lgkmcnt(0)
	s_barrier
	ds_read2_b64 v[28:31], v25 offset1:16
	ds_read_b128 v[32:35], v27
	ds_read_b128 v[36:39], v27 offset:16
	ds_read_b128 v[4:7], v27 offset:32
	;; [unrolled: 1-line block ×3, first 2 shown]
	ds_read2_b64 v[48:51], v25 offset0:32 offset1:48
	s_waitcnt lgkmcnt(4)
	v_mul_f32_e32 v40, v33, v29
	v_fma_f32 v40, v32, v28, -v40
	v_mul_f32_e32 v41, v32, v29
	v_fmac_f32_e32 v41, v33, v28
	v_add_f32_e32 v24, v24, v40
	v_mul_f32_e32 v40, v33, v31
	v_add_f32_e32 v26, v26, v41
	v_fma_f32 v44, v32, v30, -v40
	ds_read_b128 v[40:43], v27 offset:1024
	v_mul_f32_e32 v32, v32, v31
	v_fmac_f32_e32 v32, v33, v30
	v_add_f32_e32 v20, v20, v44
	v_add_f32_e32 v22, v22, v32
	ds_read_b128 v[44:47], v27 offset:1040
	s_waitcnt lgkmcnt(1)
	v_mul_f32_e32 v32, v41, v29
	v_mul_f32_e32 v29, v40, v29
	v_fma_f32 v32, v40, v28, -v32
	v_fmac_f32_e32 v29, v41, v28
	v_mul_f32_e32 v28, v41, v31
	v_add_f32_e32 v18, v18, v29
	v_fma_f32 v28, v40, v30, -v28
	v_mul_f32_e32 v29, v40, v31
	v_fmac_f32_e32 v29, v41, v30
	v_add_f32_e32 v12, v12, v28
	v_mul_f32_e32 v28, v35, v49
	v_add_f32_e32 v14, v14, v29
	v_fma_f32 v28, v34, v48, -v28
	v_mul_f32_e32 v29, v34, v49
	v_fmac_f32_e32 v29, v35, v48
	v_add_f32_e32 v24, v24, v28
	;; [unrolled: 6-line block ×3, first 2 shown]
	v_mul_f32_e32 v28, v43, v49
	v_add_f32_e32 v16, v16, v32
	v_add_f32_e32 v22, v22, v29
	v_fma_f32 v28, v42, v48, -v28
	v_mul_f32_e32 v29, v42, v49
	v_fmac_f32_e32 v29, v43, v48
	v_add_f32_e32 v16, v16, v28
	v_mul_f32_e32 v28, v43, v51
	v_add_f32_e32 v18, v18, v29
	v_fma_f32 v32, v42, v50, -v28
	ds_read2_b64 v[28:31], v25 offset0:64 offset1:80
	v_mul_f32_e32 v33, v42, v51
	v_add_f32_e32 v12, v12, v32
	v_fmac_f32_e32 v33, v43, v50
	v_add_f32_e32 v14, v14, v33
	s_waitcnt lgkmcnt(0)
	v_mul_f32_e32 v32, v37, v29
	v_fma_f32 v32, v36, v28, -v32
	v_mul_f32_e32 v33, v36, v29
	v_add_f32_e32 v24, v24, v32
	v_mul_f32_e32 v32, v37, v31
	v_fmac_f32_e32 v33, v37, v28
	v_fma_f32 v32, v36, v30, -v32
	v_add_f32_e32 v26, v26, v33
	v_mul_f32_e32 v33, v36, v31
	v_add_f32_e32 v20, v20, v32
	v_mul_f32_e32 v32, v45, v29
	v_fmac_f32_e32 v33, v37, v30
	v_fma_f32 v32, v44, v28, -v32
	v_add_f32_e32 v22, v22, v33
	v_add_f32_e32 v16, v16, v32
	ds_read2_b64 v[32:35], v25 offset0:96 offset1:112
	v_mul_f32_e32 v29, v44, v29
	v_fmac_f32_e32 v29, v45, v28
	v_mul_f32_e32 v28, v45, v31
	v_add_f32_e32 v18, v18, v29
	v_fma_f32 v28, v44, v30, -v28
	v_mul_f32_e32 v29, v44, v31
	v_fmac_f32_e32 v29, v45, v30
	v_add_f32_e32 v12, v12, v28
	s_waitcnt lgkmcnt(0)
	v_mul_f32_e32 v28, v39, v33
	v_add_f32_e32 v14, v14, v29
	v_fma_f32 v28, v38, v32, -v28
	v_mul_f32_e32 v29, v38, v33
	v_fmac_f32_e32 v29, v39, v32
	v_add_f32_e32 v24, v24, v28
	v_mul_f32_e32 v28, v39, v35
	v_add_f32_e32 v26, v26, v29
	v_fma_f32 v28, v38, v34, -v28
	v_mul_f32_e32 v29, v38, v35
	v_fmac_f32_e32 v29, v39, v34
	v_add_f32_e32 v20, v20, v28
	;; [unrolled: 6-line block ×3, first 2 shown]
	v_mul_f32_e32 v28, v47, v35
	v_add_f32_e32 v18, v18, v29
	v_fma_f32 v32, v46, v34, -v28
	ds_read2_b64 v[28:31], v25 offset0:128 offset1:144
	v_mul_f32_e32 v33, v46, v35
	v_fmac_f32_e32 v33, v47, v34
	v_add_f32_e32 v12, v12, v32
	v_add_f32_e32 v14, v14, v33
	s_waitcnt lgkmcnt(0)
	v_mul_f32_e32 v32, v5, v29
	v_fma_f32 v32, v4, v28, -v32
	v_mul_f32_e32 v33, v4, v29
	v_fmac_f32_e32 v33, v5, v28
	v_add_f32_e32 v24, v24, v32
	v_mul_f32_e32 v32, v5, v31
	v_add_f32_e32 v26, v26, v33
	v_fma_f32 v36, v4, v30, -v32
	ds_read_b128 v[32:35], v27 offset:1056
	v_mul_f32_e32 v4, v4, v31
	ds_read2_b64 v[40:43], v25 offset0:160 offset1:176
	v_fmac_f32_e32 v4, v5, v30
	v_add_f32_e32 v5, v20, v36
	ds_read_b128 v[36:39], v27 offset:1072
	s_waitcnt lgkmcnt(2)
	v_mul_f32_e32 v20, v33, v29
	v_fma_f32 v20, v32, v28, -v20
	v_add_f32_e32 v16, v16, v20
	v_mul_f32_e32 v20, v33, v31
	v_add_f32_e32 v4, v22, v4
	v_mul_f32_e32 v22, v32, v29
	v_fma_f32 v20, v32, v30, -v20
	v_fmac_f32_e32 v22, v33, v28
	v_add_f32_e32 v12, v12, v20
	s_waitcnt lgkmcnt(1)
	v_mul_f32_e32 v20, v7, v41
	v_add_f32_e32 v18, v18, v22
	v_mul_f32_e32 v22, v32, v31
	v_fma_f32 v20, v6, v40, -v20
	v_fmac_f32_e32 v22, v33, v30
	v_add_f32_e32 v20, v24, v20
	v_mul_f32_e32 v24, v7, v43
	v_add_f32_e32 v14, v14, v22
	v_mul_f32_e32 v22, v6, v41
	v_fma_f32 v24, v6, v42, -v24
	v_mul_f32_e32 v6, v6, v43
	v_fmac_f32_e32 v22, v7, v40
	v_fmac_f32_e32 v6, v7, v42
	v_add_f32_e32 v22, v26, v22
	v_add_f32_e32 v26, v4, v6
	v_mul_f32_e32 v4, v35, v41
	v_add_f32_e32 v24, v5, v24
	v_fma_f32 v4, v34, v40, -v4
	v_mul_f32_e32 v5, v34, v41
	v_fmac_f32_e32 v5, v35, v40
	v_add_f32_e32 v16, v16, v4
	v_mul_f32_e32 v4, v35, v43
	v_add_f32_e32 v18, v18, v5
	v_fma_f32 v28, v34, v42, -v4
	ds_read2_b64 v[4:7], v25 offset0:192 offset1:208
	v_mul_f32_e32 v29, v34, v43
	v_add_f32_e32 v12, v12, v28
	v_fmac_f32_e32 v29, v35, v42
	v_add_f32_e32 v14, v14, v29
	s_waitcnt lgkmcnt(0)
	v_mul_f32_e32 v28, v1, v5
	v_fma_f32 v28, v0, v4, -v28
	v_mul_f32_e32 v29, v0, v5
	v_add_f32_e32 v20, v20, v28
	v_mul_f32_e32 v28, v1, v7
	v_fmac_f32_e32 v29, v1, v4
	v_fma_f32 v28, v0, v6, -v28
	v_mul_f32_e32 v0, v0, v7
	v_add_f32_e32 v22, v22, v29
	v_fmac_f32_e32 v0, v1, v6
	v_add_f32_e32 v1, v24, v28
	ds_read2_b64 v[28:31], v25 offset0:224 offset1:240
	v_mul_f32_e32 v24, v37, v5
	v_fma_f32 v24, v36, v4, -v24
	v_mul_f32_e32 v5, v36, v5
	v_fmac_f32_e32 v5, v37, v4
	v_add_f32_e32 v4, v16, v24
	v_mul_f32_e32 v16, v37, v7
	v_fma_f32 v16, v36, v6, -v16
	v_mul_f32_e32 v7, v36, v7
	v_fmac_f32_e32 v7, v37, v6
	v_add_f32_e32 v6, v12, v16
	s_waitcnt lgkmcnt(0)
	v_mul_f32_e32 v12, v3, v29
	v_fma_f32 v12, v2, v28, -v12
	v_add_f32_e32 v24, v20, v12
	v_mul_f32_e32 v12, v3, v31
	v_add_f32_e32 v7, v14, v7
	v_mul_f32_e32 v14, v2, v29
	v_fma_f32 v12, v2, v30, -v12
	v_mul_f32_e32 v2, v2, v31
	v_add_f32_e32 v0, v26, v0
	v_fmac_f32_e32 v14, v3, v28
	v_fmac_f32_e32 v2, v3, v30
	v_add_f32_e32 v26, v22, v14
	v_add_f32_e32 v20, v1, v12
	;; [unrolled: 1-line block ×3, first 2 shown]
	v_mul_f32_e32 v0, v39, v29
	v_mul_f32_e32 v1, v38, v29
	v_add_f32_e32 v5, v18, v5
	v_fma_f32 v0, v38, v28, -v0
	v_fmac_f32_e32 v1, v39, v28
	v_add_f32_e32 v16, v4, v0
	v_add_f32_e32 v18, v5, v1
	v_mul_f32_e32 v0, v39, v31
	v_mul_f32_e32 v1, v38, v31
	v_fma_f32 v0, v38, v30, -v0
	v_fmac_f32_e32 v1, v39, v30
	s_add_i32 s5, s5, 8
	v_add_f32_e32 v12, v6, v0
	v_add_f32_e32 v14, v7, v1
	v_lshl_add_u64 v[8:9], v[8:9], 0, 64
	s_cmp_lt_i32 s5, s9
	v_lshl_add_u64 v[10:11], v[10:11], 0, 64
	s_barrier
	s_cbranch_scc0 .LBB390_12
.LBB390_8:                              ; =>This Inner Loop Header: Depth=1
	v_add_u32_e32 v0, s5, v19
	v_cmp_gt_i32_e64 s[6:7], s9, v0
	s_and_b64 s[20:21], vcc, s[6:7]
	v_mov_b32_e32 v0, 0
	v_mov_b32_e32 v1, 0
	s_and_saveexec_b64 s[6:7], s[20:21]
	s_cbranch_execz .LBB390_10
; %bb.9:                                ;   in Loop: Header=BB390_8 Depth=1
	flat_load_dwordx2 v[0:1], v[8:9]
.LBB390_10:                             ;   in Loop: Header=BB390_8 Depth=1
	s_or_b64 exec, exec, s[6:7]
	s_waitcnt vmcnt(0) lgkmcnt(0)
	ds_write_b64 v21, v[0:1]
	v_add_u32_e32 v0, s5, v17
	v_cmp_gt_i32_e64 s[6:7], s9, v0
	s_and_b64 s[20:21], s[6:7], s[2:3]
	v_mov_b32_e32 v0, 0
	v_mov_b32_e32 v1, 0
	s_and_saveexec_b64 s[6:7], s[20:21]
	s_cbranch_execz .LBB390_7
; %bb.11:                               ;   in Loop: Header=BB390_8 Depth=1
	flat_load_dwordx2 v[0:1], v[10:11]
	s_branch .LBB390_7
.LBB390_12:
	s_load_dwordx2 s[2:3], s[0:1], 0x58
	s_load_dword s19, s[0:1], 0x50
	v_add_u32_e32 v0, s4, v13
	v_add_u32_e32 v10, s18, v15
	v_cmp_neq_f32_e64 s[0:1], s12, 0
	s_waitcnt lgkmcnt(0)
	s_lshl_b64 s[2:3], s[2:3], 3
	s_add_u32 s6, s16, s2
	s_addc_u32 s7, s17, s3
	s_xor_b64 s[4:5], s[14:15], -1
	v_mad_i64_i32 v[2:3], s[2:3], v10, s19, 0
	s_or_b64 s[0:1], s[0:1], s[4:5]
	v_lshl_add_u64 v[4:5], v[2:3], 3, s[6:7]
	v_cmp_le_i32_e32 vcc, v10, v0
	v_cmp_gt_i32_e64 s[2:3], s8, v0
	v_cndmask_b32_e64 v2, 0, 1, s[0:1]
	s_and_b64 s[14:15], vcc, s[2:3]
	v_ashrrev_i32_e32 v1, 31, v0
	v_cmp_ne_u32_e64 s[0:1], 1, v2
	s_and_saveexec_b64 s[4:5], s[14:15]
	s_cbranch_execz .LBB390_16
; %bb.13:
	v_pk_mul_f32 v[6:7], v[26:27], s[10:11] op_sel:[0,1] op_sel_hi:[0,0]
	v_pk_fma_f32 v[2:3], v[24:25], s[10:11], v[6:7] op_sel_hi:[0,1,1] neg_lo:[0,0,1] neg_hi:[0,0,1]
	v_pk_fma_f32 v[8:9], v[24:25], s[10:11], v[6:7] op_sel_hi:[0,1,1]
	s_and_b64 vcc, exec, s[0:1]
	v_lshl_add_u64 v[6:7], v[0:1], 3, v[4:5]
	s_cbranch_vccnz .LBB390_15
; %bb.14:
	flat_load_dwordx2 v[24:25], v[6:7]
	s_mov_b32 s14, s13
	v_mov_b32_e32 v3, v9
	s_waitcnt vmcnt(0) lgkmcnt(0)
	v_pk_mul_f32 v[8:9], v[24:25], s[14:15] op_sel:[1,0] op_sel_hi:[0,0]
	v_pk_fma_f32 v[26:27], v[24:25], s[12:13], v[8:9] neg_lo:[0,0,1] neg_hi:[0,0,1]
	v_pk_fma_f32 v[8:9], v[24:25], s[12:13], v[8:9] op_sel_hi:[1,0,1]
	s_nop 0
	v_mov_b32_e32 v27, v9
	v_pk_add_f32 v[2:3], v[2:3], v[26:27]
	s_nop 0
	v_mov_b32_e32 v9, v3
.LBB390_15:
	v_mov_b32_e32 v3, v9
	flat_store_dwordx2 v[6:7], v[2:3]
.LBB390_16:
	s_or_b64 exec, exec, s[4:5]
	v_add_u32_e32 v2, 16, v0
	v_cmp_le_i32_e32 vcc, v10, v2
	v_cmp_gt_i32_e64 s[4:5], s8, v2
	s_and_b64 s[14:15], vcc, s[4:5]
	v_ashrrev_i32_e32 v3, 31, v2
	s_and_saveexec_b64 s[8:9], s[14:15]
	s_cbranch_execz .LBB390_20
; %bb.17:
	v_pk_mul_f32 v[8:9], v[22:23], s[10:11] op_sel:[0,1] op_sel_hi:[0,0]
	v_pk_fma_f32 v[6:7], v[20:21], s[10:11], v[8:9] op_sel_hi:[0,1,1] neg_lo:[0,0,1] neg_hi:[0,0,1]
	v_pk_fma_f32 v[8:9], v[20:21], s[10:11], v[8:9] op_sel_hi:[0,1,1]
	s_and_b64 vcc, exec, s[0:1]
	v_lshl_add_u64 v[4:5], v[2:3], 3, v[4:5]
	s_cbranch_vccnz .LBB390_19
; %bb.18:
	flat_load_dwordx2 v[20:21], v[4:5]
	s_mov_b32 s14, s13
	v_mov_b32_e32 v7, v9
	s_waitcnt vmcnt(0) lgkmcnt(0)
	v_pk_mul_f32 v[8:9], v[20:21], s[14:15] op_sel:[1,0] op_sel_hi:[0,0]
	v_pk_fma_f32 v[22:23], v[20:21], s[12:13], v[8:9] neg_lo:[0,0,1] neg_hi:[0,0,1]
	v_pk_fma_f32 v[8:9], v[20:21], s[12:13], v[8:9] op_sel_hi:[1,0,1]
	s_nop 0
	v_mov_b32_e32 v23, v9
	v_pk_add_f32 v[6:7], v[6:7], v[22:23]
	s_nop 0
	v_mov_b32_e32 v9, v7
.LBB390_19:
	v_mov_b32_e32 v7, v9
	flat_store_dwordx2 v[4:5], v[6:7]
.LBB390_20:
	s_or_b64 exec, exec, s[8:9]
	v_add_u32_e32 v10, 16, v10
	v_mad_i64_i32 v[4:5], s[8:9], v10, s19, 0
	v_cmp_le_i32_e32 vcc, v10, v0
	v_lshl_add_u64 v[4:5], v[4:5], 3, s[6:7]
	s_and_b64 s[6:7], vcc, s[2:3]
	s_and_saveexec_b64 s[2:3], s[6:7]
	s_cbranch_execz .LBB390_24
; %bb.21:
	v_pk_mul_f32 v[8:9], v[18:19], s[10:11] op_sel:[0,1] op_sel_hi:[0,0]
	v_pk_fma_f32 v[6:7], v[16:17], s[10:11], v[8:9] op_sel_hi:[0,1,1] neg_lo:[0,0,1] neg_hi:[0,0,1]
	v_pk_fma_f32 v[8:9], v[16:17], s[10:11], v[8:9] op_sel_hi:[0,1,1]
	s_and_b64 vcc, exec, s[0:1]
	v_lshl_add_u64 v[0:1], v[0:1], 3, v[4:5]
	s_cbranch_vccnz .LBB390_23
; %bb.22:
	flat_load_dwordx2 v[16:17], v[0:1]
	s_mov_b32 s6, s13
	v_mov_b32_e32 v7, v9
	s_waitcnt vmcnt(0) lgkmcnt(0)
	v_pk_mul_f32 v[8:9], v[16:17], s[6:7] op_sel:[1,0] op_sel_hi:[0,0]
	v_pk_fma_f32 v[18:19], v[16:17], s[12:13], v[8:9] neg_lo:[0,0,1] neg_hi:[0,0,1]
	v_pk_fma_f32 v[8:9], v[16:17], s[12:13], v[8:9] op_sel_hi:[1,0,1]
	s_nop 0
	v_mov_b32_e32 v19, v9
	v_pk_add_f32 v[6:7], v[6:7], v[18:19]
	s_nop 0
	v_mov_b32_e32 v9, v7
.LBB390_23:
	v_mov_b32_e32 v7, v9
	flat_store_dwordx2 v[0:1], v[6:7]
.LBB390_24:
	s_or_b64 exec, exec, s[2:3]
	v_cmp_le_i32_e32 vcc, v10, v2
	s_and_b64 s[2:3], vcc, s[4:5]
	s_and_saveexec_b64 s[4:5], s[2:3]
	s_cbranch_execz .LBB390_28
; %bb.25:
	v_pk_mul_f32 v[6:7], v[14:15], s[10:11] op_sel:[0,1] op_sel_hi:[0,0]
	v_pk_fma_f32 v[0:1], v[12:13], s[10:11], v[6:7] op_sel_hi:[0,1,1] neg_lo:[0,0,1] neg_hi:[0,0,1]
	v_pk_fma_f32 v[6:7], v[12:13], s[10:11], v[6:7] op_sel_hi:[0,1,1]
	s_and_b64 vcc, exec, s[0:1]
	v_lshl_add_u64 v[2:3], v[2:3], 3, v[4:5]
	s_cbranch_vccnz .LBB390_27
; %bb.26:
	flat_load_dwordx2 v[4:5], v[2:3]
	s_mov_b32 s0, s13
	v_mov_b32_e32 v1, v7
	s_waitcnt vmcnt(0) lgkmcnt(0)
	v_pk_mul_f32 v[6:7], v[4:5], s[0:1] op_sel:[1,0] op_sel_hi:[0,0]
	v_pk_fma_f32 v[8:9], v[4:5], s[12:13], v[6:7] neg_lo:[0,0,1] neg_hi:[0,0,1]
	v_pk_fma_f32 v[4:5], v[4:5], s[12:13], v[6:7] op_sel_hi:[1,0,1]
	s_nop 0
	v_mov_b32_e32 v9, v5
	v_pk_add_f32 v[0:1], v[0:1], v[8:9]
	s_nop 0
	v_mov_b32_e32 v7, v1
.LBB390_27:
	v_mov_b32_e32 v1, v7
	flat_store_dwordx2 v[2:3], v[0:1]
.LBB390_28:
	s_endpgm
	.section	.rodata,"a",@progbits
	.p2align	6, 0x0
	.amdhsa_kernel _ZL29rocblas_internal_gemmt_kernelIiLi16ELi32ELi8ELc84ELc78ELc76ELb0ELb0E19rocblas_complex_numIfES1_PKPKS1_PKPS1_EviT_T9_T10_S9_lSB_S9_lSA_T11_S9_li
		.amdhsa_group_segment_fixed_size 4096
		.amdhsa_private_segment_fixed_size 0
		.amdhsa_kernarg_size 100
		.amdhsa_user_sgpr_count 2
		.amdhsa_user_sgpr_dispatch_ptr 0
		.amdhsa_user_sgpr_queue_ptr 0
		.amdhsa_user_sgpr_kernarg_segment_ptr 1
		.amdhsa_user_sgpr_dispatch_id 0
		.amdhsa_user_sgpr_kernarg_preload_length 0
		.amdhsa_user_sgpr_kernarg_preload_offset 0
		.amdhsa_user_sgpr_private_segment_size 0
		.amdhsa_uses_dynamic_stack 0
		.amdhsa_enable_private_segment 0
		.amdhsa_system_sgpr_workgroup_id_x 1
		.amdhsa_system_sgpr_workgroup_id_y 1
		.amdhsa_system_sgpr_workgroup_id_z 1
		.amdhsa_system_sgpr_workgroup_info 0
		.amdhsa_system_vgpr_workitem_id 1
		.amdhsa_next_free_vgpr 52
		.amdhsa_next_free_sgpr 29
		.amdhsa_accum_offset 52
		.amdhsa_reserve_vcc 1
		.amdhsa_float_round_mode_32 0
		.amdhsa_float_round_mode_16_64 0
		.amdhsa_float_denorm_mode_32 3
		.amdhsa_float_denorm_mode_16_64 3
		.amdhsa_dx10_clamp 1
		.amdhsa_ieee_mode 1
		.amdhsa_fp16_overflow 0
		.amdhsa_tg_split 0
		.amdhsa_exception_fp_ieee_invalid_op 0
		.amdhsa_exception_fp_denorm_src 0
		.amdhsa_exception_fp_ieee_div_zero 0
		.amdhsa_exception_fp_ieee_overflow 0
		.amdhsa_exception_fp_ieee_underflow 0
		.amdhsa_exception_fp_ieee_inexact 0
		.amdhsa_exception_int_div_zero 0
	.end_amdhsa_kernel
	.section	.text._ZL29rocblas_internal_gemmt_kernelIiLi16ELi32ELi8ELc84ELc78ELc76ELb0ELb0E19rocblas_complex_numIfES1_PKPKS1_PKPS1_EviT_T9_T10_S9_lSB_S9_lSA_T11_S9_li,"axG",@progbits,_ZL29rocblas_internal_gemmt_kernelIiLi16ELi32ELi8ELc84ELc78ELc76ELb0ELb0E19rocblas_complex_numIfES1_PKPKS1_PKPS1_EviT_T9_T10_S9_lSB_S9_lSA_T11_S9_li,comdat
.Lfunc_end390:
	.size	_ZL29rocblas_internal_gemmt_kernelIiLi16ELi32ELi8ELc84ELc78ELc76ELb0ELb0E19rocblas_complex_numIfES1_PKPKS1_PKPS1_EviT_T9_T10_S9_lSB_S9_lSA_T11_S9_li, .Lfunc_end390-_ZL29rocblas_internal_gemmt_kernelIiLi16ELi32ELi8ELc84ELc78ELc76ELb0ELb0E19rocblas_complex_numIfES1_PKPKS1_PKPS1_EviT_T9_T10_S9_lSB_S9_lSA_T11_S9_li
                                        ; -- End function
	.set _ZL29rocblas_internal_gemmt_kernelIiLi16ELi32ELi8ELc84ELc78ELc76ELb0ELb0E19rocblas_complex_numIfES1_PKPKS1_PKPS1_EviT_T9_T10_S9_lSB_S9_lSA_T11_S9_li.num_vgpr, 52
	.set _ZL29rocblas_internal_gemmt_kernelIiLi16ELi32ELi8ELc84ELc78ELc76ELb0ELb0E19rocblas_complex_numIfES1_PKPKS1_PKPS1_EviT_T9_T10_S9_lSB_S9_lSA_T11_S9_li.num_agpr, 0
	.set _ZL29rocblas_internal_gemmt_kernelIiLi16ELi32ELi8ELc84ELc78ELc76ELb0ELb0E19rocblas_complex_numIfES1_PKPKS1_PKPS1_EviT_T9_T10_S9_lSB_S9_lSA_T11_S9_li.numbered_sgpr, 29
	.set _ZL29rocblas_internal_gemmt_kernelIiLi16ELi32ELi8ELc84ELc78ELc76ELb0ELb0E19rocblas_complex_numIfES1_PKPKS1_PKPS1_EviT_T9_T10_S9_lSB_S9_lSA_T11_S9_li.num_named_barrier, 0
	.set _ZL29rocblas_internal_gemmt_kernelIiLi16ELi32ELi8ELc84ELc78ELc76ELb0ELb0E19rocblas_complex_numIfES1_PKPKS1_PKPS1_EviT_T9_T10_S9_lSB_S9_lSA_T11_S9_li.private_seg_size, 0
	.set _ZL29rocblas_internal_gemmt_kernelIiLi16ELi32ELi8ELc84ELc78ELc76ELb0ELb0E19rocblas_complex_numIfES1_PKPKS1_PKPS1_EviT_T9_T10_S9_lSB_S9_lSA_T11_S9_li.uses_vcc, 1
	.set _ZL29rocblas_internal_gemmt_kernelIiLi16ELi32ELi8ELc84ELc78ELc76ELb0ELb0E19rocblas_complex_numIfES1_PKPKS1_PKPS1_EviT_T9_T10_S9_lSB_S9_lSA_T11_S9_li.uses_flat_scratch, 0
	.set _ZL29rocblas_internal_gemmt_kernelIiLi16ELi32ELi8ELc84ELc78ELc76ELb0ELb0E19rocblas_complex_numIfES1_PKPKS1_PKPS1_EviT_T9_T10_S9_lSB_S9_lSA_T11_S9_li.has_dyn_sized_stack, 0
	.set _ZL29rocblas_internal_gemmt_kernelIiLi16ELi32ELi8ELc84ELc78ELc76ELb0ELb0E19rocblas_complex_numIfES1_PKPKS1_PKPS1_EviT_T9_T10_S9_lSB_S9_lSA_T11_S9_li.has_recursion, 0
	.set _ZL29rocblas_internal_gemmt_kernelIiLi16ELi32ELi8ELc84ELc78ELc76ELb0ELb0E19rocblas_complex_numIfES1_PKPKS1_PKPS1_EviT_T9_T10_S9_lSB_S9_lSA_T11_S9_li.has_indirect_call, 0
	.section	.AMDGPU.csdata,"",@progbits
; Kernel info:
; codeLenInByte = 2460
; TotalNumSgprs: 35
; NumVgprs: 52
; NumAgprs: 0
; TotalNumVgprs: 52
; ScratchSize: 0
; MemoryBound: 0
; FloatMode: 240
; IeeeMode: 1
; LDSByteSize: 4096 bytes/workgroup (compile time only)
; SGPRBlocks: 4
; VGPRBlocks: 6
; NumSGPRsForWavesPerEU: 35
; NumVGPRsForWavesPerEU: 52
; AccumOffset: 52
; Occupancy: 8
; WaveLimiterHint : 1
; COMPUTE_PGM_RSRC2:SCRATCH_EN: 0
; COMPUTE_PGM_RSRC2:USER_SGPR: 2
; COMPUTE_PGM_RSRC2:TRAP_HANDLER: 0
; COMPUTE_PGM_RSRC2:TGID_X_EN: 1
; COMPUTE_PGM_RSRC2:TGID_Y_EN: 1
; COMPUTE_PGM_RSRC2:TGID_Z_EN: 1
; COMPUTE_PGM_RSRC2:TIDIG_COMP_CNT: 1
; COMPUTE_PGM_RSRC3_GFX90A:ACCUM_OFFSET: 12
; COMPUTE_PGM_RSRC3_GFX90A:TG_SPLIT: 0
	.section	.text._ZL29rocblas_internal_gemmt_kernelIiLi16ELi32ELi8ELc84ELc84ELc76ELb0ELb0E19rocblas_complex_numIfES1_PKPKS1_PKPS1_EviT_T9_T10_S9_lSB_S9_lSA_T11_S9_li,"axG",@progbits,_ZL29rocblas_internal_gemmt_kernelIiLi16ELi32ELi8ELc84ELc84ELc76ELb0ELb0E19rocblas_complex_numIfES1_PKPKS1_PKPS1_EviT_T9_T10_S9_lSB_S9_lSA_T11_S9_li,comdat
	.globl	_ZL29rocblas_internal_gemmt_kernelIiLi16ELi32ELi8ELc84ELc84ELc76ELb0ELb0E19rocblas_complex_numIfES1_PKPKS1_PKPS1_EviT_T9_T10_S9_lSB_S9_lSA_T11_S9_li ; -- Begin function _ZL29rocblas_internal_gemmt_kernelIiLi16ELi32ELi8ELc84ELc84ELc76ELb0ELb0E19rocblas_complex_numIfES1_PKPKS1_PKPS1_EviT_T9_T10_S9_lSB_S9_lSA_T11_S9_li
	.p2align	8
	.type	_ZL29rocblas_internal_gemmt_kernelIiLi16ELi32ELi8ELc84ELc84ELc76ELb0ELb0E19rocblas_complex_numIfES1_PKPKS1_PKPS1_EviT_T9_T10_S9_lSB_S9_lSA_T11_S9_li,@function
_ZL29rocblas_internal_gemmt_kernelIiLi16ELi32ELi8ELc84ELc84ELc76ELb0ELb0E19rocblas_complex_numIfES1_PKPKS1_PKPS1_EviT_T9_T10_S9_lSB_S9_lSA_T11_S9_li: ; @_ZL29rocblas_internal_gemmt_kernelIiLi16ELi32ELi8ELc84ELc84ELc76ELb0ELb0E19rocblas_complex_numIfES1_PKPKS1_PKPS1_EviT_T9_T10_S9_lSB_S9_lSA_T11_S9_li
; %bb.0:
	s_load_dwordx2 s[12:13], s[0:1], 0x40
	s_load_dwordx4 s[8:11], s[0:1], 0x0
	s_waitcnt lgkmcnt(0)
	s_and_b32 s5, s13, 0x7fffffff
	s_cmp_eq_u32 s5, 0
	v_cmp_eq_f32_e64 s[6:7], s12, 1.0
	s_cselect_b64 s[14:15], -1, 0
	s_and_b64 s[6:7], s[6:7], s[14:15]
	s_and_b64 vcc, exec, s[6:7]
	s_cbranch_vccnz .LBB391_2
; %bb.1:
	s_mov_b64 s[6:7], -1
	s_cbranch_execz .LBB391_3
	s_branch .LBB391_4
.LBB391_2:
	s_mov_b64 s[6:7], 0
.LBB391_3:
	s_cmp_lg_u32 s9, 0
	v_cmp_neq_f32_e64 s[16:17], s10, 0
	v_cmp_neq_f32_e64 s[18:19], s11, 0
	s_cselect_b64 s[6:7], -1, 0
	s_or_b64 s[16:17], s[16:17], s[18:19]
	s_and_b64 s[6:7], s[6:7], s[16:17]
.LBB391_4:
	s_andn2_b64 vcc, exec, s[6:7]
	s_cbranch_vccnz .LBB391_28
; %bb.5:
	s_load_dwordx2 s[16:17], s[0:1], 0x48
	s_mov_b32 s5, 0
	s_lshl_b64 s[6:7], s[4:5], 3
	v_cmp_eq_f32_e64 s[18:19], s11, 0
	v_and_b32_e32 v13, 0x3ff, v0
	s_waitcnt lgkmcnt(0)
	s_add_u32 s16, s16, s6
	s_addc_u32 s17, s17, s7
	s_lshl_b32 s4, s2, 5
	s_lshl_b32 s20, s3, 5
	v_cmp_eq_f32_e64 s[2:3], s10, 0
	s_load_dwordx2 s[16:17], s[16:17], 0x0
	s_and_b64 s[2:3], s[2:3], s[18:19]
	s_cmp_lt_i32 s9, 1
	s_cselect_b64 s[18:19], -1, 0
	s_or_b64 s[2:3], s[2:3], s[18:19]
	v_bfe_u32 v15, v0, 10, 10
	v_mov_b32_e32 v24, 0
	s_and_b64 vcc, exec, s[2:3]
	v_mov_b32_e32 v26, 0
	v_mov_b32_e32 v20, 0
	;; [unrolled: 1-line block ×7, first 2 shown]
	s_cbranch_vccnz .LBB391_12
; %bb.6:
	s_load_dwordx4 s[24:27], s[0:1], 0x20
	s_load_dword s18, s[0:1], 0x30
	v_lshl_add_u32 v1, v15, 4, v13
	s_load_dwordx2 s[2:3], s[0:1], 0x10
	s_load_dword s21, s[0:1], 0x18
	s_load_dwordx2 s[22:23], s[0:1], 0x38
	v_and_b32_e32 v3, 31, v1
	v_lshrrev_b32_e32 v19, 5, v1
	s_waitcnt lgkmcnt(0)
	s_ashr_i32 s19, s18, 31
	s_add_u32 s26, s26, s6
	v_lshrrev_b32_e32 v2, 3, v1
	v_or_b32_e32 v1, s4, v3
	s_addc_u32 s27, s27, s7
	v_and_b32_e32 v17, 7, v13
	s_add_u32 s2, s2, s6
	v_cmp_gt_i32_e32 vcc, s8, v1
	v_lshlrev_b32_e32 v1, 3, v3
	s_addc_u32 s3, s3, s7
	v_lshl_or_b32 v21, v19, 8, v1
	v_lshlrev_b32_e32 v1, 3, v17
	v_add_u32_e32 v0, s20, v2
	s_load_dwordx2 s[6:7], s[2:3], 0x0
	v_lshl_or_b32 v1, v2, 6, v1
	v_mov_b32_e32 v2, 0x800
	v_lshl_add_u32 v27, v15, 6, v2
	v_add_u32_e32 v2, s4, v3
	v_mad_i64_i32 v[2:3], s[28:29], s21, v2, 0
	s_lshl_b64 s[24:25], s[24:25], 3
	v_lshl_add_u64 v[2:3], v[2:3], 3, s[24:25]
	v_lshlrev_b32_e32 v4, 3, v19
	v_mov_b32_e32 v5, 0
	s_load_dwordx2 s[26:27], s[26:27], 0x0
	v_lshl_add_u64 v[2:3], v[2:3], 0, v[4:5]
	s_waitcnt lgkmcnt(0)
	v_lshl_add_u64 v[8:9], s[6:7], 0, v[2:3]
	v_mad_i64_i32 v[2:3], s[6:7], s18, v17, 0
	s_lshl_b64 s[6:7], s[22:23], 3
	v_add_u32_e32 v23, 0x800, v1
	v_ashrrev_i32_e32 v1, 31, v0
	v_lshl_add_u64 v[2:3], v[2:3], 3, s[6:7]
	v_cmp_gt_i32_e64 s[2:3], s8, v0
	v_lshl_add_u64 v[0:1], v[0:1], 3, v[2:3]
	v_lshlrev_b32_e32 v25, 3, v13
	v_lshl_add_u64 v[10:11], s[26:27], 0, v[0:1]
	s_lshl_b64 s[18:19], s[18:19], 6
	v_mov_b32_e32 v14, v5
	v_mov_b32_e32 v12, v5
	;; [unrolled: 1-line block ×8, first 2 shown]
	s_branch .LBB391_8
.LBB391_7:                              ;   in Loop: Header=BB391_8 Depth=1
	s_or_b64 exec, exec, s[6:7]
	s_waitcnt vmcnt(0) lgkmcnt(0)
	ds_write_b64 v23, v[0:1]
	s_waitcnt lgkmcnt(0)
	s_barrier
	ds_read2_b64 v[28:31], v25 offset1:16
	ds_read_b128 v[32:35], v27
	ds_read_b128 v[36:39], v27 offset:16
	ds_read_b128 v[4:7], v27 offset:32
	;; [unrolled: 1-line block ×3, first 2 shown]
	ds_read2_b64 v[48:51], v25 offset0:32 offset1:48
	s_waitcnt lgkmcnt(4)
	v_mul_f32_e32 v40, v33, v29
	v_fma_f32 v40, v32, v28, -v40
	v_mul_f32_e32 v41, v32, v29
	v_fmac_f32_e32 v41, v33, v28
	v_add_f32_e32 v24, v24, v40
	v_mul_f32_e32 v40, v33, v31
	v_add_f32_e32 v26, v26, v41
	v_fma_f32 v44, v32, v30, -v40
	ds_read_b128 v[40:43], v27 offset:1024
	v_mul_f32_e32 v32, v32, v31
	v_fmac_f32_e32 v32, v33, v30
	v_add_f32_e32 v20, v20, v44
	v_add_f32_e32 v22, v22, v32
	ds_read_b128 v[44:47], v27 offset:1040
	s_waitcnt lgkmcnt(1)
	v_mul_f32_e32 v32, v41, v29
	v_mul_f32_e32 v29, v40, v29
	v_fma_f32 v32, v40, v28, -v32
	v_fmac_f32_e32 v29, v41, v28
	v_mul_f32_e32 v28, v41, v31
	v_add_f32_e32 v18, v18, v29
	v_fma_f32 v28, v40, v30, -v28
	v_mul_f32_e32 v29, v40, v31
	v_fmac_f32_e32 v29, v41, v30
	v_add_f32_e32 v12, v12, v28
	v_mul_f32_e32 v28, v35, v49
	v_add_f32_e32 v14, v14, v29
	v_fma_f32 v28, v34, v48, -v28
	v_mul_f32_e32 v29, v34, v49
	v_fmac_f32_e32 v29, v35, v48
	v_add_f32_e32 v24, v24, v28
	;; [unrolled: 6-line block ×3, first 2 shown]
	v_mul_f32_e32 v28, v43, v49
	v_add_f32_e32 v16, v16, v32
	v_add_f32_e32 v22, v22, v29
	v_fma_f32 v28, v42, v48, -v28
	v_mul_f32_e32 v29, v42, v49
	v_fmac_f32_e32 v29, v43, v48
	v_add_f32_e32 v16, v16, v28
	v_mul_f32_e32 v28, v43, v51
	v_add_f32_e32 v18, v18, v29
	v_fma_f32 v32, v42, v50, -v28
	ds_read2_b64 v[28:31], v25 offset0:64 offset1:80
	v_mul_f32_e32 v33, v42, v51
	v_add_f32_e32 v12, v12, v32
	v_fmac_f32_e32 v33, v43, v50
	v_add_f32_e32 v14, v14, v33
	s_waitcnt lgkmcnt(0)
	v_mul_f32_e32 v32, v37, v29
	v_fma_f32 v32, v36, v28, -v32
	v_mul_f32_e32 v33, v36, v29
	v_add_f32_e32 v24, v24, v32
	v_mul_f32_e32 v32, v37, v31
	v_fmac_f32_e32 v33, v37, v28
	v_fma_f32 v32, v36, v30, -v32
	v_add_f32_e32 v26, v26, v33
	v_mul_f32_e32 v33, v36, v31
	v_add_f32_e32 v20, v20, v32
	v_mul_f32_e32 v32, v45, v29
	v_fmac_f32_e32 v33, v37, v30
	v_fma_f32 v32, v44, v28, -v32
	v_add_f32_e32 v22, v22, v33
	v_add_f32_e32 v16, v16, v32
	ds_read2_b64 v[32:35], v25 offset0:96 offset1:112
	v_mul_f32_e32 v29, v44, v29
	v_fmac_f32_e32 v29, v45, v28
	v_mul_f32_e32 v28, v45, v31
	v_add_f32_e32 v18, v18, v29
	v_fma_f32 v28, v44, v30, -v28
	v_mul_f32_e32 v29, v44, v31
	v_fmac_f32_e32 v29, v45, v30
	v_add_f32_e32 v12, v12, v28
	s_waitcnt lgkmcnt(0)
	v_mul_f32_e32 v28, v39, v33
	v_add_f32_e32 v14, v14, v29
	v_fma_f32 v28, v38, v32, -v28
	v_mul_f32_e32 v29, v38, v33
	v_fmac_f32_e32 v29, v39, v32
	v_add_f32_e32 v24, v24, v28
	v_mul_f32_e32 v28, v39, v35
	v_add_f32_e32 v26, v26, v29
	v_fma_f32 v28, v38, v34, -v28
	v_mul_f32_e32 v29, v38, v35
	v_fmac_f32_e32 v29, v39, v34
	v_add_f32_e32 v20, v20, v28
	;; [unrolled: 6-line block ×3, first 2 shown]
	v_mul_f32_e32 v28, v47, v35
	v_add_f32_e32 v18, v18, v29
	v_fma_f32 v32, v46, v34, -v28
	ds_read2_b64 v[28:31], v25 offset0:128 offset1:144
	v_mul_f32_e32 v33, v46, v35
	v_fmac_f32_e32 v33, v47, v34
	v_add_f32_e32 v12, v12, v32
	v_add_f32_e32 v14, v14, v33
	s_waitcnt lgkmcnt(0)
	v_mul_f32_e32 v32, v5, v29
	v_fma_f32 v32, v4, v28, -v32
	v_mul_f32_e32 v33, v4, v29
	v_fmac_f32_e32 v33, v5, v28
	v_add_f32_e32 v24, v24, v32
	v_mul_f32_e32 v32, v5, v31
	v_add_f32_e32 v26, v26, v33
	v_fma_f32 v36, v4, v30, -v32
	ds_read_b128 v[32:35], v27 offset:1056
	v_mul_f32_e32 v4, v4, v31
	ds_read2_b64 v[40:43], v25 offset0:160 offset1:176
	v_fmac_f32_e32 v4, v5, v30
	v_add_f32_e32 v5, v20, v36
	ds_read_b128 v[36:39], v27 offset:1072
	s_waitcnt lgkmcnt(2)
	v_mul_f32_e32 v20, v33, v29
	v_fma_f32 v20, v32, v28, -v20
	v_add_f32_e32 v16, v16, v20
	v_mul_f32_e32 v20, v33, v31
	v_add_f32_e32 v4, v22, v4
	v_mul_f32_e32 v22, v32, v29
	v_fma_f32 v20, v32, v30, -v20
	v_fmac_f32_e32 v22, v33, v28
	v_add_f32_e32 v12, v12, v20
	s_waitcnt lgkmcnt(1)
	v_mul_f32_e32 v20, v7, v41
	v_add_f32_e32 v18, v18, v22
	v_mul_f32_e32 v22, v32, v31
	v_fma_f32 v20, v6, v40, -v20
	v_fmac_f32_e32 v22, v33, v30
	v_add_f32_e32 v20, v24, v20
	v_mul_f32_e32 v24, v7, v43
	v_add_f32_e32 v14, v14, v22
	v_mul_f32_e32 v22, v6, v41
	v_fma_f32 v24, v6, v42, -v24
	v_mul_f32_e32 v6, v6, v43
	v_fmac_f32_e32 v22, v7, v40
	v_fmac_f32_e32 v6, v7, v42
	v_add_f32_e32 v22, v26, v22
	v_add_f32_e32 v26, v4, v6
	v_mul_f32_e32 v4, v35, v41
	v_add_f32_e32 v24, v5, v24
	v_fma_f32 v4, v34, v40, -v4
	v_mul_f32_e32 v5, v34, v41
	v_fmac_f32_e32 v5, v35, v40
	v_add_f32_e32 v16, v16, v4
	v_mul_f32_e32 v4, v35, v43
	v_add_f32_e32 v18, v18, v5
	v_fma_f32 v28, v34, v42, -v4
	ds_read2_b64 v[4:7], v25 offset0:192 offset1:208
	v_mul_f32_e32 v29, v34, v43
	v_add_f32_e32 v12, v12, v28
	v_fmac_f32_e32 v29, v35, v42
	v_add_f32_e32 v14, v14, v29
	s_waitcnt lgkmcnt(0)
	v_mul_f32_e32 v28, v1, v5
	v_fma_f32 v28, v0, v4, -v28
	v_mul_f32_e32 v29, v0, v5
	v_add_f32_e32 v20, v20, v28
	v_mul_f32_e32 v28, v1, v7
	v_fmac_f32_e32 v29, v1, v4
	v_fma_f32 v28, v0, v6, -v28
	v_mul_f32_e32 v0, v0, v7
	v_add_f32_e32 v22, v22, v29
	v_fmac_f32_e32 v0, v1, v6
	v_add_f32_e32 v1, v24, v28
	ds_read2_b64 v[28:31], v25 offset0:224 offset1:240
	v_mul_f32_e32 v24, v37, v5
	v_fma_f32 v24, v36, v4, -v24
	v_mul_f32_e32 v5, v36, v5
	v_fmac_f32_e32 v5, v37, v4
	v_add_f32_e32 v4, v16, v24
	v_mul_f32_e32 v16, v37, v7
	v_fma_f32 v16, v36, v6, -v16
	v_mul_f32_e32 v7, v36, v7
	v_fmac_f32_e32 v7, v37, v6
	v_add_f32_e32 v6, v12, v16
	s_waitcnt lgkmcnt(0)
	v_mul_f32_e32 v12, v3, v29
	v_fma_f32 v12, v2, v28, -v12
	v_add_f32_e32 v24, v20, v12
	v_mul_f32_e32 v12, v3, v31
	v_add_f32_e32 v7, v14, v7
	v_mul_f32_e32 v14, v2, v29
	v_fma_f32 v12, v2, v30, -v12
	v_mul_f32_e32 v2, v2, v31
	v_add_f32_e32 v0, v26, v0
	v_fmac_f32_e32 v14, v3, v28
	v_fmac_f32_e32 v2, v3, v30
	v_add_f32_e32 v26, v22, v14
	v_add_f32_e32 v20, v1, v12
	;; [unrolled: 1-line block ×3, first 2 shown]
	v_mul_f32_e32 v0, v39, v29
	v_mul_f32_e32 v1, v38, v29
	v_add_f32_e32 v5, v18, v5
	v_fma_f32 v0, v38, v28, -v0
	v_fmac_f32_e32 v1, v39, v28
	v_add_f32_e32 v16, v4, v0
	v_add_f32_e32 v18, v5, v1
	v_mul_f32_e32 v0, v39, v31
	v_mul_f32_e32 v1, v38, v31
	v_fma_f32 v0, v38, v30, -v0
	v_fmac_f32_e32 v1, v39, v30
	s_add_i32 s5, s5, 8
	v_add_f32_e32 v12, v6, v0
	v_add_f32_e32 v14, v7, v1
	v_lshl_add_u64 v[8:9], v[8:9], 0, 64
	s_cmp_lt_i32 s5, s9
	v_lshl_add_u64 v[10:11], v[10:11], 0, s[18:19]
	s_barrier
	s_cbranch_scc0 .LBB391_12
.LBB391_8:                              ; =>This Inner Loop Header: Depth=1
	v_add_u32_e32 v0, s5, v19
	v_cmp_gt_i32_e64 s[6:7], s9, v0
	s_and_b64 s[22:23], vcc, s[6:7]
	v_mov_b32_e32 v0, 0
	v_mov_b32_e32 v1, 0
	s_and_saveexec_b64 s[6:7], s[22:23]
	s_cbranch_execz .LBB391_10
; %bb.9:                                ;   in Loop: Header=BB391_8 Depth=1
	flat_load_dwordx2 v[0:1], v[8:9]
.LBB391_10:                             ;   in Loop: Header=BB391_8 Depth=1
	s_or_b64 exec, exec, s[6:7]
	s_waitcnt vmcnt(0) lgkmcnt(0)
	ds_write_b64 v21, v[0:1]
	v_add_u32_e32 v0, s5, v17
	v_cmp_gt_i32_e64 s[6:7], s9, v0
	s_and_b64 s[22:23], s[6:7], s[2:3]
	v_mov_b32_e32 v0, 0
	v_mov_b32_e32 v1, 0
	s_and_saveexec_b64 s[6:7], s[22:23]
	s_cbranch_execz .LBB391_7
; %bb.11:                               ;   in Loop: Header=BB391_8 Depth=1
	flat_load_dwordx2 v[0:1], v[10:11]
	s_branch .LBB391_7
.LBB391_12:
	s_load_dwordx2 s[2:3], s[0:1], 0x58
	s_load_dword s18, s[0:1], 0x50
	v_add_u32_e32 v0, s4, v13
	v_add_u32_e32 v10, s20, v15
	v_cmp_neq_f32_e64 s[0:1], s12, 0
	s_waitcnt lgkmcnt(0)
	s_lshl_b64 s[2:3], s[2:3], 3
	s_add_u32 s6, s16, s2
	s_addc_u32 s7, s17, s3
	s_xor_b64 s[4:5], s[14:15], -1
	v_mad_i64_i32 v[2:3], s[2:3], v10, s18, 0
	s_or_b64 s[0:1], s[0:1], s[4:5]
	v_lshl_add_u64 v[4:5], v[2:3], 3, s[6:7]
	v_cmp_le_i32_e32 vcc, v10, v0
	v_cmp_gt_i32_e64 s[2:3], s8, v0
	v_cndmask_b32_e64 v2, 0, 1, s[0:1]
	s_and_b64 s[14:15], vcc, s[2:3]
	v_ashrrev_i32_e32 v1, 31, v0
	v_cmp_ne_u32_e64 s[0:1], 1, v2
	s_and_saveexec_b64 s[4:5], s[14:15]
	s_cbranch_execz .LBB391_16
; %bb.13:
	v_pk_mul_f32 v[6:7], v[26:27], s[10:11] op_sel:[0,1] op_sel_hi:[0,0]
	v_pk_fma_f32 v[2:3], v[24:25], s[10:11], v[6:7] op_sel_hi:[0,1,1] neg_lo:[0,0,1] neg_hi:[0,0,1]
	v_pk_fma_f32 v[8:9], v[24:25], s[10:11], v[6:7] op_sel_hi:[0,1,1]
	s_and_b64 vcc, exec, s[0:1]
	v_lshl_add_u64 v[6:7], v[0:1], 3, v[4:5]
	s_cbranch_vccnz .LBB391_15
; %bb.14:
	flat_load_dwordx2 v[24:25], v[6:7]
	s_mov_b32 s14, s13
	v_mov_b32_e32 v3, v9
	s_waitcnt vmcnt(0) lgkmcnt(0)
	v_pk_mul_f32 v[8:9], v[24:25], s[14:15] op_sel:[1,0] op_sel_hi:[0,0]
	v_pk_fma_f32 v[26:27], v[24:25], s[12:13], v[8:9] neg_lo:[0,0,1] neg_hi:[0,0,1]
	v_pk_fma_f32 v[8:9], v[24:25], s[12:13], v[8:9] op_sel_hi:[1,0,1]
	s_nop 0
	v_mov_b32_e32 v27, v9
	v_pk_add_f32 v[2:3], v[2:3], v[26:27]
	s_nop 0
	v_mov_b32_e32 v9, v3
.LBB391_15:
	v_mov_b32_e32 v3, v9
	flat_store_dwordx2 v[6:7], v[2:3]
.LBB391_16:
	s_or_b64 exec, exec, s[4:5]
	v_add_u32_e32 v2, 16, v0
	v_cmp_le_i32_e32 vcc, v10, v2
	v_cmp_gt_i32_e64 s[4:5], s8, v2
	s_and_b64 s[14:15], vcc, s[4:5]
	v_ashrrev_i32_e32 v3, 31, v2
	s_and_saveexec_b64 s[8:9], s[14:15]
	s_cbranch_execz .LBB391_20
; %bb.17:
	v_pk_mul_f32 v[8:9], v[22:23], s[10:11] op_sel:[0,1] op_sel_hi:[0,0]
	v_pk_fma_f32 v[6:7], v[20:21], s[10:11], v[8:9] op_sel_hi:[0,1,1] neg_lo:[0,0,1] neg_hi:[0,0,1]
	v_pk_fma_f32 v[8:9], v[20:21], s[10:11], v[8:9] op_sel_hi:[0,1,1]
	s_and_b64 vcc, exec, s[0:1]
	v_lshl_add_u64 v[4:5], v[2:3], 3, v[4:5]
	s_cbranch_vccnz .LBB391_19
; %bb.18:
	flat_load_dwordx2 v[20:21], v[4:5]
	s_mov_b32 s14, s13
	v_mov_b32_e32 v7, v9
	s_waitcnt vmcnt(0) lgkmcnt(0)
	v_pk_mul_f32 v[8:9], v[20:21], s[14:15] op_sel:[1,0] op_sel_hi:[0,0]
	v_pk_fma_f32 v[22:23], v[20:21], s[12:13], v[8:9] neg_lo:[0,0,1] neg_hi:[0,0,1]
	v_pk_fma_f32 v[8:9], v[20:21], s[12:13], v[8:9] op_sel_hi:[1,0,1]
	s_nop 0
	v_mov_b32_e32 v23, v9
	v_pk_add_f32 v[6:7], v[6:7], v[22:23]
	s_nop 0
	v_mov_b32_e32 v9, v7
.LBB391_19:
	v_mov_b32_e32 v7, v9
	flat_store_dwordx2 v[4:5], v[6:7]
.LBB391_20:
	s_or_b64 exec, exec, s[8:9]
	v_add_u32_e32 v10, 16, v10
	v_mad_i64_i32 v[4:5], s[8:9], v10, s18, 0
	v_cmp_le_i32_e32 vcc, v10, v0
	v_lshl_add_u64 v[4:5], v[4:5], 3, s[6:7]
	s_and_b64 s[6:7], vcc, s[2:3]
	s_and_saveexec_b64 s[2:3], s[6:7]
	s_cbranch_execz .LBB391_24
; %bb.21:
	v_pk_mul_f32 v[8:9], v[18:19], s[10:11] op_sel:[0,1] op_sel_hi:[0,0]
	v_pk_fma_f32 v[6:7], v[16:17], s[10:11], v[8:9] op_sel_hi:[0,1,1] neg_lo:[0,0,1] neg_hi:[0,0,1]
	v_pk_fma_f32 v[8:9], v[16:17], s[10:11], v[8:9] op_sel_hi:[0,1,1]
	s_and_b64 vcc, exec, s[0:1]
	v_lshl_add_u64 v[0:1], v[0:1], 3, v[4:5]
	s_cbranch_vccnz .LBB391_23
; %bb.22:
	flat_load_dwordx2 v[16:17], v[0:1]
	s_mov_b32 s6, s13
	v_mov_b32_e32 v7, v9
	s_waitcnt vmcnt(0) lgkmcnt(0)
	v_pk_mul_f32 v[8:9], v[16:17], s[6:7] op_sel:[1,0] op_sel_hi:[0,0]
	v_pk_fma_f32 v[18:19], v[16:17], s[12:13], v[8:9] neg_lo:[0,0,1] neg_hi:[0,0,1]
	v_pk_fma_f32 v[8:9], v[16:17], s[12:13], v[8:9] op_sel_hi:[1,0,1]
	s_nop 0
	v_mov_b32_e32 v19, v9
	v_pk_add_f32 v[6:7], v[6:7], v[18:19]
	s_nop 0
	v_mov_b32_e32 v9, v7
.LBB391_23:
	v_mov_b32_e32 v7, v9
	flat_store_dwordx2 v[0:1], v[6:7]
.LBB391_24:
	s_or_b64 exec, exec, s[2:3]
	v_cmp_le_i32_e32 vcc, v10, v2
	s_and_b64 s[2:3], vcc, s[4:5]
	s_and_saveexec_b64 s[4:5], s[2:3]
	s_cbranch_execz .LBB391_28
; %bb.25:
	v_pk_mul_f32 v[6:7], v[14:15], s[10:11] op_sel:[0,1] op_sel_hi:[0,0]
	v_pk_fma_f32 v[0:1], v[12:13], s[10:11], v[6:7] op_sel_hi:[0,1,1] neg_lo:[0,0,1] neg_hi:[0,0,1]
	v_pk_fma_f32 v[6:7], v[12:13], s[10:11], v[6:7] op_sel_hi:[0,1,1]
	s_and_b64 vcc, exec, s[0:1]
	v_lshl_add_u64 v[2:3], v[2:3], 3, v[4:5]
	s_cbranch_vccnz .LBB391_27
; %bb.26:
	flat_load_dwordx2 v[4:5], v[2:3]
	s_mov_b32 s0, s13
	v_mov_b32_e32 v1, v7
	s_waitcnt vmcnt(0) lgkmcnt(0)
	v_pk_mul_f32 v[6:7], v[4:5], s[0:1] op_sel:[1,0] op_sel_hi:[0,0]
	v_pk_fma_f32 v[8:9], v[4:5], s[12:13], v[6:7] neg_lo:[0,0,1] neg_hi:[0,0,1]
	v_pk_fma_f32 v[4:5], v[4:5], s[12:13], v[6:7] op_sel_hi:[1,0,1]
	s_nop 0
	v_mov_b32_e32 v9, v5
	v_pk_add_f32 v[0:1], v[0:1], v[8:9]
	s_nop 0
	v_mov_b32_e32 v7, v1
.LBB391_27:
	v_mov_b32_e32 v1, v7
	flat_store_dwordx2 v[2:3], v[0:1]
.LBB391_28:
	s_endpgm
	.section	.rodata,"a",@progbits
	.p2align	6, 0x0
	.amdhsa_kernel _ZL29rocblas_internal_gemmt_kernelIiLi16ELi32ELi8ELc84ELc84ELc76ELb0ELb0E19rocblas_complex_numIfES1_PKPKS1_PKPS1_EviT_T9_T10_S9_lSB_S9_lSA_T11_S9_li
		.amdhsa_group_segment_fixed_size 4096
		.amdhsa_private_segment_fixed_size 0
		.amdhsa_kernarg_size 100
		.amdhsa_user_sgpr_count 2
		.amdhsa_user_sgpr_dispatch_ptr 0
		.amdhsa_user_sgpr_queue_ptr 0
		.amdhsa_user_sgpr_kernarg_segment_ptr 1
		.amdhsa_user_sgpr_dispatch_id 0
		.amdhsa_user_sgpr_kernarg_preload_length 0
		.amdhsa_user_sgpr_kernarg_preload_offset 0
		.amdhsa_user_sgpr_private_segment_size 0
		.amdhsa_uses_dynamic_stack 0
		.amdhsa_enable_private_segment 0
		.amdhsa_system_sgpr_workgroup_id_x 1
		.amdhsa_system_sgpr_workgroup_id_y 1
		.amdhsa_system_sgpr_workgroup_id_z 1
		.amdhsa_system_sgpr_workgroup_info 0
		.amdhsa_system_vgpr_workitem_id 1
		.amdhsa_next_free_vgpr 52
		.amdhsa_next_free_sgpr 30
		.amdhsa_accum_offset 52
		.amdhsa_reserve_vcc 1
		.amdhsa_float_round_mode_32 0
		.amdhsa_float_round_mode_16_64 0
		.amdhsa_float_denorm_mode_32 3
		.amdhsa_float_denorm_mode_16_64 3
		.amdhsa_dx10_clamp 1
		.amdhsa_ieee_mode 1
		.amdhsa_fp16_overflow 0
		.amdhsa_tg_split 0
		.amdhsa_exception_fp_ieee_invalid_op 0
		.amdhsa_exception_fp_denorm_src 0
		.amdhsa_exception_fp_ieee_div_zero 0
		.amdhsa_exception_fp_ieee_overflow 0
		.amdhsa_exception_fp_ieee_underflow 0
		.amdhsa_exception_fp_ieee_inexact 0
		.amdhsa_exception_int_div_zero 0
	.end_amdhsa_kernel
	.section	.text._ZL29rocblas_internal_gemmt_kernelIiLi16ELi32ELi8ELc84ELc84ELc76ELb0ELb0E19rocblas_complex_numIfES1_PKPKS1_PKPS1_EviT_T9_T10_S9_lSB_S9_lSA_T11_S9_li,"axG",@progbits,_ZL29rocblas_internal_gemmt_kernelIiLi16ELi32ELi8ELc84ELc84ELc76ELb0ELb0E19rocblas_complex_numIfES1_PKPKS1_PKPS1_EviT_T9_T10_S9_lSB_S9_lSA_T11_S9_li,comdat
.Lfunc_end391:
	.size	_ZL29rocblas_internal_gemmt_kernelIiLi16ELi32ELi8ELc84ELc84ELc76ELb0ELb0E19rocblas_complex_numIfES1_PKPKS1_PKPS1_EviT_T9_T10_S9_lSB_S9_lSA_T11_S9_li, .Lfunc_end391-_ZL29rocblas_internal_gemmt_kernelIiLi16ELi32ELi8ELc84ELc84ELc76ELb0ELb0E19rocblas_complex_numIfES1_PKPKS1_PKPS1_EviT_T9_T10_S9_lSB_S9_lSA_T11_S9_li
                                        ; -- End function
	.set _ZL29rocblas_internal_gemmt_kernelIiLi16ELi32ELi8ELc84ELc84ELc76ELb0ELb0E19rocblas_complex_numIfES1_PKPKS1_PKPS1_EviT_T9_T10_S9_lSB_S9_lSA_T11_S9_li.num_vgpr, 52
	.set _ZL29rocblas_internal_gemmt_kernelIiLi16ELi32ELi8ELc84ELc84ELc76ELb0ELb0E19rocblas_complex_numIfES1_PKPKS1_PKPS1_EviT_T9_T10_S9_lSB_S9_lSA_T11_S9_li.num_agpr, 0
	.set _ZL29rocblas_internal_gemmt_kernelIiLi16ELi32ELi8ELc84ELc84ELc76ELb0ELb0E19rocblas_complex_numIfES1_PKPKS1_PKPS1_EviT_T9_T10_S9_lSB_S9_lSA_T11_S9_li.numbered_sgpr, 30
	.set _ZL29rocblas_internal_gemmt_kernelIiLi16ELi32ELi8ELc84ELc84ELc76ELb0ELb0E19rocblas_complex_numIfES1_PKPKS1_PKPS1_EviT_T9_T10_S9_lSB_S9_lSA_T11_S9_li.num_named_barrier, 0
	.set _ZL29rocblas_internal_gemmt_kernelIiLi16ELi32ELi8ELc84ELc84ELc76ELb0ELb0E19rocblas_complex_numIfES1_PKPKS1_PKPS1_EviT_T9_T10_S9_lSB_S9_lSA_T11_S9_li.private_seg_size, 0
	.set _ZL29rocblas_internal_gemmt_kernelIiLi16ELi32ELi8ELc84ELc84ELc76ELb0ELb0E19rocblas_complex_numIfES1_PKPKS1_PKPS1_EviT_T9_T10_S9_lSB_S9_lSA_T11_S9_li.uses_vcc, 1
	.set _ZL29rocblas_internal_gemmt_kernelIiLi16ELi32ELi8ELc84ELc84ELc76ELb0ELb0E19rocblas_complex_numIfES1_PKPKS1_PKPS1_EviT_T9_T10_S9_lSB_S9_lSA_T11_S9_li.uses_flat_scratch, 0
	.set _ZL29rocblas_internal_gemmt_kernelIiLi16ELi32ELi8ELc84ELc84ELc76ELb0ELb0E19rocblas_complex_numIfES1_PKPKS1_PKPS1_EviT_T9_T10_S9_lSB_S9_lSA_T11_S9_li.has_dyn_sized_stack, 0
	.set _ZL29rocblas_internal_gemmt_kernelIiLi16ELi32ELi8ELc84ELc84ELc76ELb0ELb0E19rocblas_complex_numIfES1_PKPKS1_PKPS1_EviT_T9_T10_S9_lSB_S9_lSA_T11_S9_li.has_recursion, 0
	.set _ZL29rocblas_internal_gemmt_kernelIiLi16ELi32ELi8ELc84ELc84ELc76ELb0ELb0E19rocblas_complex_numIfES1_PKPKS1_PKPS1_EviT_T9_T10_S9_lSB_S9_lSA_T11_S9_li.has_indirect_call, 0
	.section	.AMDGPU.csdata,"",@progbits
; Kernel info:
; codeLenInByte = 2464
; TotalNumSgprs: 36
; NumVgprs: 52
; NumAgprs: 0
; TotalNumVgprs: 52
; ScratchSize: 0
; MemoryBound: 0
; FloatMode: 240
; IeeeMode: 1
; LDSByteSize: 4096 bytes/workgroup (compile time only)
; SGPRBlocks: 4
; VGPRBlocks: 6
; NumSGPRsForWavesPerEU: 36
; NumVGPRsForWavesPerEU: 52
; AccumOffset: 52
; Occupancy: 8
; WaveLimiterHint : 1
; COMPUTE_PGM_RSRC2:SCRATCH_EN: 0
; COMPUTE_PGM_RSRC2:USER_SGPR: 2
; COMPUTE_PGM_RSRC2:TRAP_HANDLER: 0
; COMPUTE_PGM_RSRC2:TGID_X_EN: 1
; COMPUTE_PGM_RSRC2:TGID_Y_EN: 1
; COMPUTE_PGM_RSRC2:TGID_Z_EN: 1
; COMPUTE_PGM_RSRC2:TIDIG_COMP_CNT: 1
; COMPUTE_PGM_RSRC3_GFX90A:ACCUM_OFFSET: 12
; COMPUTE_PGM_RSRC3_GFX90A:TG_SPLIT: 0
	.section	.text._ZL29rocblas_internal_gemmt_kernelIiLi16ELi32ELi8ELc84ELc67ELc76ELb0ELb1E19rocblas_complex_numIfES1_PKPKS1_PKPS1_EviT_T9_T10_S9_lSB_S9_lSA_T11_S9_li,"axG",@progbits,_ZL29rocblas_internal_gemmt_kernelIiLi16ELi32ELi8ELc84ELc67ELc76ELb0ELb1E19rocblas_complex_numIfES1_PKPKS1_PKPS1_EviT_T9_T10_S9_lSB_S9_lSA_T11_S9_li,comdat
	.globl	_ZL29rocblas_internal_gemmt_kernelIiLi16ELi32ELi8ELc84ELc67ELc76ELb0ELb1E19rocblas_complex_numIfES1_PKPKS1_PKPS1_EviT_T9_T10_S9_lSB_S9_lSA_T11_S9_li ; -- Begin function _ZL29rocblas_internal_gemmt_kernelIiLi16ELi32ELi8ELc84ELc67ELc76ELb0ELb1E19rocblas_complex_numIfES1_PKPKS1_PKPS1_EviT_T9_T10_S9_lSB_S9_lSA_T11_S9_li
	.p2align	8
	.type	_ZL29rocblas_internal_gemmt_kernelIiLi16ELi32ELi8ELc84ELc67ELc76ELb0ELb1E19rocblas_complex_numIfES1_PKPKS1_PKPS1_EviT_T9_T10_S9_lSB_S9_lSA_T11_S9_li,@function
_ZL29rocblas_internal_gemmt_kernelIiLi16ELi32ELi8ELc84ELc67ELc76ELb0ELb1E19rocblas_complex_numIfES1_PKPKS1_PKPS1_EviT_T9_T10_S9_lSB_S9_lSA_T11_S9_li: ; @_ZL29rocblas_internal_gemmt_kernelIiLi16ELi32ELi8ELc84ELc67ELc76ELb0ELb1E19rocblas_complex_numIfES1_PKPKS1_PKPS1_EviT_T9_T10_S9_lSB_S9_lSA_T11_S9_li
; %bb.0:
	s_load_dwordx2 s[6:7], s[0:1], 0x40
	s_load_dwordx4 s[8:11], s[0:1], 0x0
	s_waitcnt lgkmcnt(0)
	s_and_b32 s5, s7, 0x7fffffff
	s_cmp_eq_u32 s5, 0
	v_cmp_eq_f32_e64 s[14:15], s6, 1.0
	s_cselect_b64 s[12:13], -1, 0
	s_and_b64 s[14:15], s[14:15], s[12:13]
	s_and_b64 vcc, exec, s[14:15]
	s_cbranch_vccnz .LBB392_2
; %bb.1:
	s_mov_b64 s[14:15], -1
	s_cbranch_execz .LBB392_3
	s_branch .LBB392_4
.LBB392_2:
	s_mov_b64 s[14:15], 0
.LBB392_3:
	s_cmp_lg_u32 s9, 0
	v_cmp_neq_f32_e64 s[16:17], s10, 0
	v_cmp_neq_f32_e64 s[18:19], s11, 0
	s_cselect_b64 s[14:15], -1, 0
	s_or_b64 s[16:17], s[16:17], s[18:19]
	s_and_b64 s[14:15], s[14:15], s[16:17]
.LBB392_4:
	s_andn2_b64 vcc, exec, s[14:15]
	s_cbranch_vccnz .LBB392_30
; %bb.5:
	s_load_dwordx2 s[14:15], s[0:1], 0x48
	s_mov_b32 s5, 0
	s_lshl_b64 s[16:17], s[4:5], 3
	v_cmp_eq_f32_e64 s[18:19], s11, 0
	v_and_b32_e32 v15, 0x3ff, v0
	s_waitcnt lgkmcnt(0)
	s_add_u32 s14, s14, s16
	s_addc_u32 s15, s15, s17
	s_lshl_b32 s4, s2, 5
	s_lshl_b32 s20, s3, 5
	v_cmp_eq_f32_e64 s[2:3], s10, 0
	s_load_dwordx2 s[14:15], s[14:15], 0x0
	s_and_b64 s[2:3], s[2:3], s[18:19]
	s_cmp_lt_i32 s9, 1
	s_cselect_b64 s[18:19], -1, 0
	s_or_b64 s[2:3], s[2:3], s[18:19]
	v_bfe_u32 v17, v0, 10, 10
	v_mov_b32_e32 v24, 0
	s_and_b64 vcc, exec, s[2:3]
	v_mov_b32_e32 v26, 0
	v_mov_b32_e32 v20, 0
	;; [unrolled: 1-line block ×7, first 2 shown]
	s_cbranch_vccnz .LBB392_14
; %bb.6:
	s_load_dwordx4 s[24:27], s[0:1], 0x20
	s_load_dword s18, s[0:1], 0x30
	v_lshl_add_u32 v1, v17, 4, v15
	s_load_dwordx2 s[2:3], s[0:1], 0x10
	s_load_dword s21, s[0:1], 0x18
	s_load_dwordx2 s[22:23], s[0:1], 0x38
	v_and_b32_e32 v3, 31, v1
	v_lshrrev_b32_e32 v21, 5, v1
	s_waitcnt lgkmcnt(0)
	s_ashr_i32 s19, s18, 31
	s_add_u32 s26, s26, s16
	v_lshrrev_b32_e32 v2, 3, v1
	v_or_b32_e32 v1, s4, v3
	s_addc_u32 s27, s27, s17
	v_and_b32_e32 v19, 7, v15
	s_add_u32 s2, s2, s16
	v_cmp_gt_i32_e32 vcc, s8, v1
	v_lshlrev_b32_e32 v1, 3, v3
	s_addc_u32 s3, s3, s17
	v_lshl_or_b32 v23, v21, 8, v1
	v_lshlrev_b32_e32 v1, 3, v19
	v_add_u32_e32 v0, s20, v2
	s_load_dwordx2 s[16:17], s[2:3], 0x0
	v_lshl_or_b32 v1, v2, 6, v1
	v_mov_b32_e32 v2, 0x800
	v_lshl_add_u32 v28, v17, 6, v2
	v_add_u32_e32 v2, s4, v3
	v_mad_i64_i32 v[2:3], s[28:29], s21, v2, 0
	s_lshl_b64 s[24:25], s[24:25], 3
	v_lshl_add_u64 v[2:3], v[2:3], 3, s[24:25]
	v_lshlrev_b32_e32 v8, 3, v21
	v_mov_b32_e32 v9, 0
	s_load_dwordx2 s[26:27], s[26:27], 0x0
	v_lshl_add_u64 v[2:3], v[2:3], 0, v[8:9]
	s_waitcnt lgkmcnt(0)
	v_lshl_add_u64 v[10:11], s[16:17], 0, v[2:3]
	v_mad_i64_i32 v[2:3], s[16:17], s18, v19, 0
	s_lshl_b64 s[16:17], s[22:23], 3
	v_add_u32_e32 v25, 0x800, v1
	v_ashrrev_i32_e32 v1, 31, v0
	v_lshl_add_u64 v[2:3], v[2:3], 3, s[16:17]
	v_cmp_gt_i32_e64 s[2:3], s8, v0
	v_lshl_add_u64 v[0:1], v[0:1], 3, v[2:3]
	v_lshlrev_b32_e32 v27, 3, v15
	v_lshl_add_u64 v[12:13], s[26:27], 0, v[0:1]
	s_lshl_b64 s[16:17], s[18:19], 6
	s_xor_b64 s[18:19], s[2:3], -1
	v_mov_b32_e32 v14, 0
	v_mov_b32_e32 v8, 0
	;; [unrolled: 1-line block ×8, first 2 shown]
	s_branch .LBB392_8
.LBB392_7:                              ;   in Loop: Header=BB392_8 Depth=1
	s_or_b64 exec, exec, s[2:3]
	ds_write_b32 v25, v0 offset:4
	s_waitcnt lgkmcnt(0)
	s_barrier
	ds_read2_b64 v[30:33], v27 offset1:16
	ds_read_b128 v[34:37], v28
	ds_read_b128 v[38:41], v28 offset:16
	ds_read_b128 v[4:7], v28 offset:32
	ds_read_b128 v[0:3], v28 offset:48
	ds_read2_b64 v[50:53], v27 offset0:32 offset1:48
	s_waitcnt lgkmcnt(4)
	v_mul_f32_e32 v42, v34, v31
	v_fmac_f32_e32 v42, v35, v30
	v_add_f32_e32 v26, v26, v42
	ds_read_b128 v[42:45], v28 offset:1024
	ds_read_b128 v[46:49], v28 offset:1040
	v_mul_f32_e32 v29, v35, v31
	v_fma_f32 v29, v34, v30, -v29
	v_add_f32_e32 v24, v24, v29
	v_mul_f32_e32 v29, v35, v33
	v_fma_f32 v29, v34, v32, -v29
	v_add_f32_e32 v20, v20, v29
	s_waitcnt lgkmcnt(1)
	v_mul_f32_e32 v29, v43, v31
	v_mul_f32_e32 v31, v42, v31
	v_fma_f32 v29, v42, v30, -v29
	v_fmac_f32_e32 v31, v43, v30
	v_mul_f32_e32 v30, v42, v33
	v_fmac_f32_e32 v30, v43, v32
	v_add_f32_e32 v14, v14, v30
	v_mul_f32_e32 v30, v36, v51
	v_mul_f32_e32 v34, v34, v33
	v_fmac_f32_e32 v30, v37, v50
	v_fmac_f32_e32 v34, v35, v32
	v_add_f32_e32 v26, v26, v30
	v_mul_f32_e32 v30, v36, v53
	v_add_f32_e32 v22, v22, v34
	v_add_f32_e32 v16, v16, v29
	v_mul_f32_e32 v29, v43, v33
	v_fmac_f32_e32 v30, v37, v52
	v_fma_f32 v29, v42, v32, -v29
	v_add_f32_e32 v22, v22, v30
	v_mul_f32_e32 v30, v44, v51
	v_add_f32_e32 v18, v18, v31
	v_add_f32_e32 v8, v8, v29
	v_mul_f32_e32 v29, v37, v51
	v_fmac_f32_e32 v30, v45, v50
	v_fma_f32 v29, v36, v50, -v29
	v_add_f32_e32 v18, v18, v30
	ds_read2_b64 v[30:33], v27 offset0:64 offset1:80
	v_add_f32_e32 v24, v24, v29
	v_mul_f32_e32 v29, v37, v53
	v_fma_f32 v29, v36, v52, -v29
	v_add_f32_e32 v20, v20, v29
	v_mul_f32_e32 v29, v45, v51
	v_mul_f32_e32 v34, v44, v53
	v_fma_f32 v29, v44, v50, -v29
	v_fmac_f32_e32 v34, v45, v52
	v_add_f32_e32 v16, v16, v29
	v_mul_f32_e32 v29, v45, v53
	v_add_f32_e32 v14, v14, v34
	s_waitcnt lgkmcnt(0)
	v_mul_f32_e32 v34, v38, v31
	v_fma_f32 v29, v44, v52, -v29
	v_fmac_f32_e32 v34, v39, v30
	v_add_f32_e32 v8, v8, v29
	v_mul_f32_e32 v29, v39, v31
	v_add_f32_e32 v26, v26, v34
	v_mul_f32_e32 v34, v38, v33
	v_fma_f32 v29, v38, v30, -v29
	v_fmac_f32_e32 v34, v39, v32
	v_add_f32_e32 v24, v24, v29
	v_mul_f32_e32 v29, v39, v33
	v_add_f32_e32 v22, v22, v34
	ds_read2_b64 v[34:37], v27 offset0:96 offset1:112
	v_fma_f32 v29, v38, v32, -v29
	v_add_f32_e32 v20, v20, v29
	v_mul_f32_e32 v29, v47, v31
	v_mul_f32_e32 v31, v46, v31
	v_fma_f32 v29, v46, v30, -v29
	v_fmac_f32_e32 v31, v47, v30
	v_mul_f32_e32 v30, v46, v33
	v_fmac_f32_e32 v30, v47, v32
	v_add_f32_e32 v14, v14, v30
	s_waitcnt lgkmcnt(0)
	v_mul_f32_e32 v30, v40, v35
	v_fmac_f32_e32 v30, v41, v34
	v_add_f32_e32 v16, v16, v29
	v_mul_f32_e32 v29, v47, v33
	v_add_f32_e32 v26, v26, v30
	v_mul_f32_e32 v30, v40, v37
	v_fma_f32 v29, v46, v32, -v29
	v_fmac_f32_e32 v30, v41, v36
	v_add_f32_e32 v8, v8, v29
	v_mul_f32_e32 v29, v41, v35
	v_add_f32_e32 v22, v22, v30
	v_mul_f32_e32 v30, v48, v35
	v_add_f32_e32 v18, v18, v31
	v_fma_f32 v29, v40, v34, -v29
	v_fmac_f32_e32 v30, v49, v34
	v_add_f32_e32 v24, v24, v29
	v_mul_f32_e32 v29, v41, v37
	v_add_f32_e32 v18, v18, v30
	ds_read2_b64 v[30:33], v27 offset0:128 offset1:144
	v_fma_f32 v29, v40, v36, -v29
	v_add_f32_e32 v20, v20, v29
	v_mul_f32_e32 v29, v49, v35
	v_fma_f32 v29, v48, v34, -v29
	v_mul_f32_e32 v34, v48, v37
	v_fmac_f32_e32 v34, v49, v36
	v_add_f32_e32 v14, v14, v34
	s_waitcnt lgkmcnt(0)
	v_mul_f32_e32 v34, v4, v31
	v_add_f32_e32 v16, v16, v29
	v_mul_f32_e32 v29, v49, v37
	v_fmac_f32_e32 v34, v5, v30
	v_fma_f32 v29, v48, v36, -v29
	v_add_f32_e32 v26, v26, v34
	ds_read_b128 v[34:37], v28 offset:1056
	ds_read_b128 v[38:41], v28 offset:1072
	v_add_f32_e32 v8, v8, v29
	v_mul_f32_e32 v29, v5, v31
	v_fma_f32 v29, v4, v30, -v29
	v_add_f32_e32 v24, v24, v29
	v_mul_f32_e32 v29, v5, v33
	v_fma_f32 v29, v4, v32, -v29
	v_mul_f32_e32 v4, v4, v33
	ds_read2_b64 v[42:45], v27 offset0:160 offset1:176
	v_fmac_f32_e32 v4, v5, v32
	v_add_f32_e32 v5, v20, v29
	s_waitcnt lgkmcnt(2)
	v_mul_f32_e32 v20, v35, v31
	v_fma_f32 v20, v34, v30, -v20
	v_add_f32_e32 v16, v16, v20
	v_mul_f32_e32 v20, v35, v33
	v_add_f32_e32 v4, v22, v4
	v_mul_f32_e32 v22, v34, v31
	v_fma_f32 v20, v34, v32, -v20
	v_fmac_f32_e32 v22, v35, v30
	v_add_f32_e32 v8, v8, v20
	s_waitcnt lgkmcnt(0)
	v_mul_f32_e32 v20, v7, v43
	v_add_f32_e32 v18, v18, v22
	v_mul_f32_e32 v22, v34, v33
	v_fma_f32 v20, v6, v42, -v20
	v_fmac_f32_e32 v22, v35, v32
	v_add_f32_e32 v20, v24, v20
	v_mul_f32_e32 v24, v7, v45
	v_add_f32_e32 v14, v14, v22
	v_mul_f32_e32 v22, v6, v43
	v_fma_f32 v24, v6, v44, -v24
	v_mul_f32_e32 v6, v6, v45
	v_fmac_f32_e32 v22, v7, v42
	v_fmac_f32_e32 v6, v7, v44
	v_add_f32_e32 v22, v26, v22
	v_add_f32_e32 v26, v4, v6
	v_mul_f32_e32 v4, v37, v43
	v_add_f32_e32 v24, v5, v24
	v_fma_f32 v4, v36, v42, -v4
	v_mul_f32_e32 v5, v36, v43
	v_fmac_f32_e32 v5, v37, v42
	v_add_f32_e32 v16, v16, v4
	v_mul_f32_e32 v4, v37, v45
	v_add_f32_e32 v18, v18, v5
	v_fma_f32 v29, v36, v44, -v4
	ds_read2_b64 v[4:7], v27 offset0:192 offset1:208
	v_mul_f32_e32 v30, v36, v45
	v_fmac_f32_e32 v30, v37, v44
	v_add_f32_e32 v8, v8, v29
	v_add_f32_e32 v14, v14, v30
	s_waitcnt lgkmcnt(0)
	v_mul_f32_e32 v29, v1, v5
	v_fma_f32 v29, v0, v4, -v29
	v_mul_f32_e32 v30, v0, v5
	v_fmac_f32_e32 v30, v1, v4
	v_add_f32_e32 v20, v20, v29
	v_mul_f32_e32 v29, v1, v7
	v_add_f32_e32 v22, v22, v30
	v_fma_f32 v29, v0, v6, -v29
	v_mul_f32_e32 v0, v0, v7
	ds_read2_b64 v[30:33], v27 offset0:224 offset1:240
	v_fmac_f32_e32 v0, v1, v6
	v_add_f32_e32 v1, v24, v29
	v_mul_f32_e32 v24, v39, v5
	v_fma_f32 v24, v38, v4, -v24
	v_mul_f32_e32 v5, v38, v5
	v_fmac_f32_e32 v5, v39, v4
	v_add_f32_e32 v4, v16, v24
	v_mul_f32_e32 v16, v39, v7
	v_fma_f32 v16, v38, v6, -v16
	v_mul_f32_e32 v7, v38, v7
	v_fmac_f32_e32 v7, v39, v6
	v_add_f32_e32 v6, v8, v16
	s_waitcnt lgkmcnt(0)
	v_mul_f32_e32 v8, v3, v31
	v_fma_f32 v8, v2, v30, -v8
	v_add_f32_e32 v24, v20, v8
	v_mul_f32_e32 v8, v3, v33
	v_add_f32_e32 v7, v14, v7
	v_mul_f32_e32 v14, v2, v31
	v_fma_f32 v8, v2, v32, -v8
	v_mul_f32_e32 v2, v2, v33
	v_add_f32_e32 v0, v26, v0
	v_fmac_f32_e32 v14, v3, v30
	v_fmac_f32_e32 v2, v3, v32
	v_add_f32_e32 v26, v22, v14
	v_add_f32_e32 v20, v1, v8
	v_add_f32_e32 v22, v0, v2
	v_mul_f32_e32 v0, v41, v31
	v_mul_f32_e32 v1, v40, v31
	v_add_f32_e32 v5, v18, v5
	v_fma_f32 v0, v40, v30, -v0
	v_fmac_f32_e32 v1, v41, v30
	v_add_f32_e32 v16, v4, v0
	v_add_f32_e32 v18, v5, v1
	v_mul_f32_e32 v0, v41, v33
	v_mul_f32_e32 v1, v40, v33
	v_fma_f32 v0, v40, v32, -v0
	v_fmac_f32_e32 v1, v41, v32
	s_add_i32 s5, s5, 8
	v_add_f32_e32 v8, v6, v0
	v_add_f32_e32 v14, v7, v1
	v_lshl_add_u64 v[10:11], v[10:11], 0, 64
	s_cmp_lt_i32 s5, s9
	v_lshl_add_u64 v[12:13], v[12:13], 0, s[16:17]
	s_barrier
	s_cbranch_scc0 .LBB392_14
.LBB392_8:                              ; =>This Inner Loop Header: Depth=1
	v_add_u32_e32 v0, s5, v21
	v_cmp_gt_i32_e64 s[2:3], s9, v0
	s_and_b64 s[22:23], vcc, s[2:3]
	v_mov_b32_e32 v0, 0
	v_mov_b32_e32 v1, 0
	s_and_saveexec_b64 s[2:3], s[22:23]
	s_cbranch_execz .LBB392_10
; %bb.9:                                ;   in Loop: Header=BB392_8 Depth=1
	flat_load_dwordx2 v[0:1], v[10:11]
.LBB392_10:                             ;   in Loop: Header=BB392_8 Depth=1
	s_or_b64 exec, exec, s[2:3]
	s_waitcnt vmcnt(0) lgkmcnt(0)
	ds_write_b64 v23, v[0:1]
	v_add_u32_e32 v0, s5, v19
	v_cmp_le_i32_e64 s[2:3], s9, v0
	s_or_b64 s[2:3], s[2:3], s[18:19]
	s_and_saveexec_b64 s[22:23], s[2:3]
	s_xor_b64 s[2:3], exec, s[22:23]
; %bb.11:                               ;   in Loop: Header=BB392_8 Depth=1
	ds_write_b32 v25, v9
; %bb.12:                               ;   in Loop: Header=BB392_8 Depth=1
	s_or_saveexec_b64 s[2:3], s[2:3]
	v_mov_b32_e32 v0, 0
	s_xor_b64 exec, exec, s[2:3]
	s_cbranch_execz .LBB392_7
; %bb.13:                               ;   in Loop: Header=BB392_8 Depth=1
	flat_load_dwordx2 v[2:3], v[12:13]
	s_waitcnt vmcnt(0) lgkmcnt(0)
	v_xor_b32_e32 v0, 0x80000000, v3
	ds_write_b32 v25, v2
	s_branch .LBB392_7
.LBB392_14:
	s_load_dwordx2 s[2:3], s[0:1], 0x58
	s_load_dword s16, s[0:1], 0x50
	v_add_u32_e32 v0, s4, v15
	v_add_u32_e32 v9, s20, v17
	v_cmp_neq_f32_e64 s[0:1], s6, 0
	s_waitcnt lgkmcnt(0)
	s_lshl_b64 s[2:3], s[2:3], 3
	s_add_u32 s14, s14, s2
	s_addc_u32 s15, s15, s3
	s_xor_b64 s[4:5], s[12:13], -1
	v_mad_i64_i32 v[2:3], s[2:3], v9, s16, 0
	s_or_b64 s[0:1], s[0:1], s[4:5]
	v_lshl_add_u64 v[4:5], v[2:3], 3, s[14:15]
	v_cmp_le_i32_e32 vcc, v9, v0
	v_cmp_gt_i32_e64 s[2:3], s8, v0
	v_cndmask_b32_e64 v2, 0, 1, s[0:1]
	s_and_b64 s[12:13], vcc, s[2:3]
	v_ashrrev_i32_e32 v1, 31, v0
	v_cmp_ne_u32_e64 s[0:1], 1, v2
	s_and_saveexec_b64 s[4:5], s[12:13]
	s_cbranch_execz .LBB392_18
; %bb.15:
	v_pk_mul_f32 v[6:7], v[26:27], s[10:11] op_sel:[0,1] op_sel_hi:[0,0]
	v_pk_fma_f32 v[2:3], v[24:25], s[10:11], v[6:7] op_sel_hi:[0,1,1] neg_lo:[0,0,1] neg_hi:[0,0,1]
	v_pk_fma_f32 v[10:11], v[24:25], s[10:11], v[6:7] op_sel_hi:[0,1,1]
	s_and_b64 vcc, exec, s[0:1]
	v_lshl_add_u64 v[6:7], v[0:1], 3, v[4:5]
	s_cbranch_vccnz .LBB392_17
; %bb.16:
	flat_load_dwordx2 v[12:13], v[6:7]
	s_mov_b32 s12, s7
	v_mov_b32_e32 v3, v11
	s_waitcnt vmcnt(0) lgkmcnt(0)
	v_pk_mul_f32 v[10:11], v[12:13], s[12:13] op_sel:[1,0] op_sel_hi:[0,0]
	v_pk_fma_f32 v[24:25], v[12:13], s[6:7], v[10:11] neg_lo:[0,0,1] neg_hi:[0,0,1]
	v_pk_fma_f32 v[10:11], v[12:13], s[6:7], v[10:11] op_sel_hi:[1,0,1]
	s_nop 0
	v_mov_b32_e32 v25, v11
	v_pk_add_f32 v[2:3], v[2:3], v[24:25]
	s_nop 0
	v_mov_b32_e32 v11, v3
.LBB392_17:
	v_mov_b32_e32 v3, v11
	flat_store_dwordx2 v[6:7], v[2:3]
.LBB392_18:
	s_or_b64 exec, exec, s[4:5]
	v_add_u32_e32 v2, 16, v0
	v_cmp_le_i32_e32 vcc, v9, v2
	v_cmp_gt_i32_e64 s[4:5], s8, v2
	s_and_b64 s[12:13], vcc, s[4:5]
	v_ashrrev_i32_e32 v3, 31, v2
	s_and_saveexec_b64 s[8:9], s[12:13]
	s_cbranch_execz .LBB392_22
; %bb.19:
	v_pk_mul_f32 v[10:11], v[22:23], s[10:11] op_sel:[0,1] op_sel_hi:[0,0]
	v_pk_fma_f32 v[6:7], v[20:21], s[10:11], v[10:11] op_sel_hi:[0,1,1] neg_lo:[0,0,1] neg_hi:[0,0,1]
	v_pk_fma_f32 v[10:11], v[20:21], s[10:11], v[10:11] op_sel_hi:[0,1,1]
	s_and_b64 vcc, exec, s[0:1]
	v_lshl_add_u64 v[4:5], v[2:3], 3, v[4:5]
	s_cbranch_vccnz .LBB392_21
; %bb.20:
	flat_load_dwordx2 v[12:13], v[4:5]
	s_mov_b32 s12, s7
	v_mov_b32_e32 v7, v11
	s_waitcnt vmcnt(0) lgkmcnt(0)
	v_pk_mul_f32 v[10:11], v[12:13], s[12:13] op_sel:[1,0] op_sel_hi:[0,0]
	v_pk_fma_f32 v[20:21], v[12:13], s[6:7], v[10:11] neg_lo:[0,0,1] neg_hi:[0,0,1]
	v_pk_fma_f32 v[10:11], v[12:13], s[6:7], v[10:11] op_sel_hi:[1,0,1]
	s_nop 0
	v_mov_b32_e32 v21, v11
	v_pk_add_f32 v[6:7], v[6:7], v[20:21]
	s_nop 0
	v_mov_b32_e32 v11, v7
.LBB392_21:
	v_mov_b32_e32 v7, v11
	flat_store_dwordx2 v[4:5], v[6:7]
.LBB392_22:
	s_or_b64 exec, exec, s[8:9]
	v_add_u32_e32 v9, 16, v9
	v_mad_i64_i32 v[4:5], s[8:9], v9, s16, 0
	v_cmp_le_i32_e32 vcc, v9, v0
	v_lshl_add_u64 v[4:5], v[4:5], 3, s[14:15]
	s_and_b64 s[8:9], vcc, s[2:3]
	s_and_saveexec_b64 s[2:3], s[8:9]
	s_cbranch_execz .LBB392_26
; %bb.23:
	v_pk_mul_f32 v[10:11], v[18:19], s[10:11] op_sel:[0,1] op_sel_hi:[0,0]
	v_pk_fma_f32 v[6:7], v[16:17], s[10:11], v[10:11] op_sel_hi:[0,1,1] neg_lo:[0,0,1] neg_hi:[0,0,1]
	v_pk_fma_f32 v[10:11], v[16:17], s[10:11], v[10:11] op_sel_hi:[0,1,1]
	s_and_b64 vcc, exec, s[0:1]
	v_lshl_add_u64 v[0:1], v[0:1], 3, v[4:5]
	s_cbranch_vccnz .LBB392_25
; %bb.24:
	flat_load_dwordx2 v[12:13], v[0:1]
	s_mov_b32 s8, s7
	v_mov_b32_e32 v7, v11
	s_waitcnt vmcnt(0) lgkmcnt(0)
	v_pk_mul_f32 v[10:11], v[12:13], s[8:9] op_sel:[1,0] op_sel_hi:[0,0]
	v_pk_fma_f32 v[16:17], v[12:13], s[6:7], v[10:11] neg_lo:[0,0,1] neg_hi:[0,0,1]
	v_pk_fma_f32 v[10:11], v[12:13], s[6:7], v[10:11] op_sel_hi:[1,0,1]
	s_nop 0
	v_mov_b32_e32 v17, v11
	v_pk_add_f32 v[6:7], v[6:7], v[16:17]
	s_nop 0
	v_mov_b32_e32 v11, v7
.LBB392_25:
	v_mov_b32_e32 v7, v11
	flat_store_dwordx2 v[0:1], v[6:7]
.LBB392_26:
	s_or_b64 exec, exec, s[2:3]
	v_cmp_le_i32_e32 vcc, v9, v2
	s_and_b64 s[2:3], vcc, s[4:5]
	s_and_saveexec_b64 s[4:5], s[2:3]
	s_cbranch_execz .LBB392_30
; %bb.27:
	v_pk_mul_f32 v[6:7], v[14:15], s[10:11] op_sel:[0,1] op_sel_hi:[0,0]
	v_pk_fma_f32 v[0:1], v[8:9], s[10:11], v[6:7] op_sel_hi:[0,1,1] neg_lo:[0,0,1] neg_hi:[0,0,1]
	v_pk_fma_f32 v[6:7], v[8:9], s[10:11], v[6:7] op_sel_hi:[0,1,1]
	s_and_b64 vcc, exec, s[0:1]
	v_lshl_add_u64 v[2:3], v[2:3], 3, v[4:5]
	s_cbranch_vccnz .LBB392_29
; %bb.28:
	flat_load_dwordx2 v[4:5], v[2:3]
	s_mov_b32 s0, s7
	v_mov_b32_e32 v1, v7
	s_waitcnt vmcnt(0) lgkmcnt(0)
	v_pk_mul_f32 v[6:7], v[4:5], s[0:1] op_sel:[1,0] op_sel_hi:[0,0]
	v_pk_fma_f32 v[8:9], v[4:5], s[6:7], v[6:7] neg_lo:[0,0,1] neg_hi:[0,0,1]
	v_pk_fma_f32 v[4:5], v[4:5], s[6:7], v[6:7] op_sel_hi:[1,0,1]
	s_nop 0
	v_mov_b32_e32 v9, v5
	v_pk_add_f32 v[0:1], v[0:1], v[8:9]
	s_nop 0
	v_mov_b32_e32 v7, v1
.LBB392_29:
	v_mov_b32_e32 v1, v7
	flat_store_dwordx2 v[2:3], v[0:1]
.LBB392_30:
	s_endpgm
	.section	.rodata,"a",@progbits
	.p2align	6, 0x0
	.amdhsa_kernel _ZL29rocblas_internal_gemmt_kernelIiLi16ELi32ELi8ELc84ELc67ELc76ELb0ELb1E19rocblas_complex_numIfES1_PKPKS1_PKPS1_EviT_T9_T10_S9_lSB_S9_lSA_T11_S9_li
		.amdhsa_group_segment_fixed_size 4096
		.amdhsa_private_segment_fixed_size 0
		.amdhsa_kernarg_size 100
		.amdhsa_user_sgpr_count 2
		.amdhsa_user_sgpr_dispatch_ptr 0
		.amdhsa_user_sgpr_queue_ptr 0
		.amdhsa_user_sgpr_kernarg_segment_ptr 1
		.amdhsa_user_sgpr_dispatch_id 0
		.amdhsa_user_sgpr_kernarg_preload_length 0
		.amdhsa_user_sgpr_kernarg_preload_offset 0
		.amdhsa_user_sgpr_private_segment_size 0
		.amdhsa_uses_dynamic_stack 0
		.amdhsa_enable_private_segment 0
		.amdhsa_system_sgpr_workgroup_id_x 1
		.amdhsa_system_sgpr_workgroup_id_y 1
		.amdhsa_system_sgpr_workgroup_id_z 1
		.amdhsa_system_sgpr_workgroup_info 0
		.amdhsa_system_vgpr_workitem_id 1
		.amdhsa_next_free_vgpr 54
		.amdhsa_next_free_sgpr 30
		.amdhsa_accum_offset 56
		.amdhsa_reserve_vcc 1
		.amdhsa_float_round_mode_32 0
		.amdhsa_float_round_mode_16_64 0
		.amdhsa_float_denorm_mode_32 3
		.amdhsa_float_denorm_mode_16_64 3
		.amdhsa_dx10_clamp 1
		.amdhsa_ieee_mode 1
		.amdhsa_fp16_overflow 0
		.amdhsa_tg_split 0
		.amdhsa_exception_fp_ieee_invalid_op 0
		.amdhsa_exception_fp_denorm_src 0
		.amdhsa_exception_fp_ieee_div_zero 0
		.amdhsa_exception_fp_ieee_overflow 0
		.amdhsa_exception_fp_ieee_underflow 0
		.amdhsa_exception_fp_ieee_inexact 0
		.amdhsa_exception_int_div_zero 0
	.end_amdhsa_kernel
	.section	.text._ZL29rocblas_internal_gemmt_kernelIiLi16ELi32ELi8ELc84ELc67ELc76ELb0ELb1E19rocblas_complex_numIfES1_PKPKS1_PKPS1_EviT_T9_T10_S9_lSB_S9_lSA_T11_S9_li,"axG",@progbits,_ZL29rocblas_internal_gemmt_kernelIiLi16ELi32ELi8ELc84ELc67ELc76ELb0ELb1E19rocblas_complex_numIfES1_PKPKS1_PKPS1_EviT_T9_T10_S9_lSB_S9_lSA_T11_S9_li,comdat
.Lfunc_end392:
	.size	_ZL29rocblas_internal_gemmt_kernelIiLi16ELi32ELi8ELc84ELc67ELc76ELb0ELb1E19rocblas_complex_numIfES1_PKPKS1_PKPS1_EviT_T9_T10_S9_lSB_S9_lSA_T11_S9_li, .Lfunc_end392-_ZL29rocblas_internal_gemmt_kernelIiLi16ELi32ELi8ELc84ELc67ELc76ELb0ELb1E19rocblas_complex_numIfES1_PKPKS1_PKPS1_EviT_T9_T10_S9_lSB_S9_lSA_T11_S9_li
                                        ; -- End function
	.set _ZL29rocblas_internal_gemmt_kernelIiLi16ELi32ELi8ELc84ELc67ELc76ELb0ELb1E19rocblas_complex_numIfES1_PKPKS1_PKPS1_EviT_T9_T10_S9_lSB_S9_lSA_T11_S9_li.num_vgpr, 54
	.set _ZL29rocblas_internal_gemmt_kernelIiLi16ELi32ELi8ELc84ELc67ELc76ELb0ELb1E19rocblas_complex_numIfES1_PKPKS1_PKPS1_EviT_T9_T10_S9_lSB_S9_lSA_T11_S9_li.num_agpr, 0
	.set _ZL29rocblas_internal_gemmt_kernelIiLi16ELi32ELi8ELc84ELc67ELc76ELb0ELb1E19rocblas_complex_numIfES1_PKPKS1_PKPS1_EviT_T9_T10_S9_lSB_S9_lSA_T11_S9_li.numbered_sgpr, 30
	.set _ZL29rocblas_internal_gemmt_kernelIiLi16ELi32ELi8ELc84ELc67ELc76ELb0ELb1E19rocblas_complex_numIfES1_PKPKS1_PKPS1_EviT_T9_T10_S9_lSB_S9_lSA_T11_S9_li.num_named_barrier, 0
	.set _ZL29rocblas_internal_gemmt_kernelIiLi16ELi32ELi8ELc84ELc67ELc76ELb0ELb1E19rocblas_complex_numIfES1_PKPKS1_PKPS1_EviT_T9_T10_S9_lSB_S9_lSA_T11_S9_li.private_seg_size, 0
	.set _ZL29rocblas_internal_gemmt_kernelIiLi16ELi32ELi8ELc84ELc67ELc76ELb0ELb1E19rocblas_complex_numIfES1_PKPKS1_PKPS1_EviT_T9_T10_S9_lSB_S9_lSA_T11_S9_li.uses_vcc, 1
	.set _ZL29rocblas_internal_gemmt_kernelIiLi16ELi32ELi8ELc84ELc67ELc76ELb0ELb1E19rocblas_complex_numIfES1_PKPKS1_PKPS1_EviT_T9_T10_S9_lSB_S9_lSA_T11_S9_li.uses_flat_scratch, 0
	.set _ZL29rocblas_internal_gemmt_kernelIiLi16ELi32ELi8ELc84ELc67ELc76ELb0ELb1E19rocblas_complex_numIfES1_PKPKS1_PKPS1_EviT_T9_T10_S9_lSB_S9_lSA_T11_S9_li.has_dyn_sized_stack, 0
	.set _ZL29rocblas_internal_gemmt_kernelIiLi16ELi32ELi8ELc84ELc67ELc76ELb0ELb1E19rocblas_complex_numIfES1_PKPKS1_PKPS1_EviT_T9_T10_S9_lSB_S9_lSA_T11_S9_li.has_recursion, 0
	.set _ZL29rocblas_internal_gemmt_kernelIiLi16ELi32ELi8ELc84ELc67ELc76ELb0ELb1E19rocblas_complex_numIfES1_PKPKS1_PKPS1_EviT_T9_T10_S9_lSB_S9_lSA_T11_S9_li.has_indirect_call, 0
	.section	.AMDGPU.csdata,"",@progbits
; Kernel info:
; codeLenInByte = 2500
; TotalNumSgprs: 36
; NumVgprs: 54
; NumAgprs: 0
; TotalNumVgprs: 54
; ScratchSize: 0
; MemoryBound: 0
; FloatMode: 240
; IeeeMode: 1
; LDSByteSize: 4096 bytes/workgroup (compile time only)
; SGPRBlocks: 4
; VGPRBlocks: 6
; NumSGPRsForWavesPerEU: 36
; NumVGPRsForWavesPerEU: 54
; AccumOffset: 56
; Occupancy: 8
; WaveLimiterHint : 1
; COMPUTE_PGM_RSRC2:SCRATCH_EN: 0
; COMPUTE_PGM_RSRC2:USER_SGPR: 2
; COMPUTE_PGM_RSRC2:TRAP_HANDLER: 0
; COMPUTE_PGM_RSRC2:TGID_X_EN: 1
; COMPUTE_PGM_RSRC2:TGID_Y_EN: 1
; COMPUTE_PGM_RSRC2:TGID_Z_EN: 1
; COMPUTE_PGM_RSRC2:TIDIG_COMP_CNT: 1
; COMPUTE_PGM_RSRC3_GFX90A:ACCUM_OFFSET: 13
; COMPUTE_PGM_RSRC3_GFX90A:TG_SPLIT: 0
	.section	.text._ZL29rocblas_internal_gemmt_kernelIiLi16ELi32ELi8ELc67ELc78ELc76ELb1ELb0E19rocblas_complex_numIfES1_PKPKS1_PKPS1_EviT_T9_T10_S9_lSB_S9_lSA_T11_S9_li,"axG",@progbits,_ZL29rocblas_internal_gemmt_kernelIiLi16ELi32ELi8ELc67ELc78ELc76ELb1ELb0E19rocblas_complex_numIfES1_PKPKS1_PKPS1_EviT_T9_T10_S9_lSB_S9_lSA_T11_S9_li,comdat
	.globl	_ZL29rocblas_internal_gemmt_kernelIiLi16ELi32ELi8ELc67ELc78ELc76ELb1ELb0E19rocblas_complex_numIfES1_PKPKS1_PKPS1_EviT_T9_T10_S9_lSB_S9_lSA_T11_S9_li ; -- Begin function _ZL29rocblas_internal_gemmt_kernelIiLi16ELi32ELi8ELc67ELc78ELc76ELb1ELb0E19rocblas_complex_numIfES1_PKPKS1_PKPS1_EviT_T9_T10_S9_lSB_S9_lSA_T11_S9_li
	.p2align	8
	.type	_ZL29rocblas_internal_gemmt_kernelIiLi16ELi32ELi8ELc67ELc78ELc76ELb1ELb0E19rocblas_complex_numIfES1_PKPKS1_PKPS1_EviT_T9_T10_S9_lSB_S9_lSA_T11_S9_li,@function
_ZL29rocblas_internal_gemmt_kernelIiLi16ELi32ELi8ELc67ELc78ELc76ELb1ELb0E19rocblas_complex_numIfES1_PKPKS1_PKPS1_EviT_T9_T10_S9_lSB_S9_lSA_T11_S9_li: ; @_ZL29rocblas_internal_gemmt_kernelIiLi16ELi32ELi8ELc67ELc78ELc76ELb1ELb0E19rocblas_complex_numIfES1_PKPKS1_PKPS1_EviT_T9_T10_S9_lSB_S9_lSA_T11_S9_li
; %bb.0:
	s_load_dwordx2 s[6:7], s[0:1], 0x40
	s_load_dwordx4 s[8:11], s[0:1], 0x0
	s_waitcnt lgkmcnt(0)
	s_and_b32 s5, s7, 0x7fffffff
	s_cmp_eq_u32 s5, 0
	v_cmp_eq_f32_e64 s[14:15], s6, 1.0
	s_cselect_b64 s[12:13], -1, 0
	s_and_b64 s[14:15], s[14:15], s[12:13]
	s_and_b64 vcc, exec, s[14:15]
	s_cbranch_vccnz .LBB393_2
; %bb.1:
	s_mov_b64 s[14:15], -1
	s_cbranch_execz .LBB393_3
	s_branch .LBB393_4
.LBB393_2:
	s_mov_b64 s[14:15], 0
.LBB393_3:
	s_cmp_lg_u32 s9, 0
	v_cmp_neq_f32_e64 s[16:17], s10, 0
	v_cmp_neq_f32_e64 s[18:19], s11, 0
	s_cselect_b64 s[14:15], -1, 0
	s_or_b64 s[16:17], s[16:17], s[18:19]
	s_and_b64 s[14:15], s[14:15], s[16:17]
.LBB393_4:
	s_andn2_b64 vcc, exec, s[14:15]
	s_cbranch_vccnz .LBB393_30
; %bb.5:
	s_load_dwordx2 s[14:15], s[0:1], 0x48
	s_mov_b32 s5, 0
	s_lshl_b64 s[16:17], s[4:5], 3
	v_cmp_eq_f32_e64 s[20:21], s11, 0
	v_and_b32_e32 v15, 0x3ff, v0
	s_waitcnt lgkmcnt(0)
	s_add_u32 s14, s14, s16
	s_addc_u32 s15, s15, s17
	s_lshl_b32 s4, s2, 5
	s_lshl_b32 s18, s3, 5
	v_cmp_eq_f32_e64 s[2:3], s10, 0
	s_load_dwordx2 s[14:15], s[14:15], 0x0
	s_and_b64 s[2:3], s[2:3], s[20:21]
	s_cmp_lt_i32 s9, 1
	s_cselect_b64 s[20:21], -1, 0
	s_or_b64 s[2:3], s[2:3], s[20:21]
	v_bfe_u32 v17, v0, 10, 10
	v_mov_b32_e32 v24, 0
	s_and_b64 vcc, exec, s[2:3]
	v_mov_b32_e32 v26, 0
	v_mov_b32_e32 v20, 0
	v_mov_b32_e32 v22, 0
	v_mov_b32_e32 v16, 0
	v_mov_b32_e32 v18, 0
	v_mov_b32_e32 v8, 0
	v_mov_b32_e32 v14, 0
	s_cbranch_vccnz .LBB393_14
; %bb.6:
	s_load_dwordx2 s[2:3], s[0:1], 0x10
	s_load_dword s19, s[0:1], 0x18
	s_load_dwordx4 s[20:23], s[0:1], 0x20
	s_load_dword s28, s[0:1], 0x30
	s_load_dwordx2 s[24:25], s[0:1], 0x38
	v_lshl_add_u32 v0, v17, 4, v15
	v_and_b32_e32 v2, 31, v0
	s_waitcnt lgkmcnt(0)
	s_add_u32 s22, s22, s16
	s_addc_u32 s23, s23, s17
	s_add_u32 s2, s2, s16
	v_lshrrev_b32_e32 v21, 5, v0
	v_lshrrev_b32_e32 v1, 3, v0
	v_or_b32_e32 v0, s4, v2
	s_addc_u32 s3, s3, s17
	v_and_b32_e32 v19, 7, v15
	s_load_dwordx2 s[16:17], s[2:3], 0x0
	v_cmp_gt_i32_e64 s[2:3], s8, v0
	v_lshlrev_b32_e32 v0, 3, v2
	v_lshl_or_b32 v23, v21, 8, v0
	v_lshlrev_b32_e32 v0, 3, v19
	v_add_u32_e32 v4, s18, v1
	v_lshl_or_b32 v1, v1, 6, v0
	v_add_u32_e32 v25, 0x800, v1
	v_mov_b32_e32 v1, 0x800
	v_lshl_add_u32 v28, v17, 6, v1
	v_add_u32_e32 v1, s4, v2
	v_mad_i64_i32 v[2:3], s[26:27], s19, v1, 0
	s_lshl_b64 s[20:21], s[20:21], 3
	v_lshl_add_u64 v[2:3], v[2:3], 3, s[20:21]
	v_lshlrev_b32_e32 v8, 3, v21
	v_mov_b32_e32 v9, 0
	s_load_dwordx2 s[22:23], s[22:23], 0x0
	v_lshl_add_u64 v[2:3], v[2:3], 0, v[8:9]
	s_waitcnt lgkmcnt(0)
	v_lshl_add_u64 v[10:11], s[16:17], 0, v[2:3]
	v_mad_i64_i32 v[2:3], s[16:17], s28, v4, 0
	s_lshl_b64 s[16:17], s[24:25], 3
	s_nop 0
	v_lshl_add_u64 v[2:3], v[2:3], 3, s[16:17]
	v_mov_b32_e32 v1, v9
	v_lshl_add_u64 v[0:1], v[2:3], 0, v[0:1]
	v_cmp_gt_i32_e32 vcc, s8, v4
	v_lshlrev_b32_e32 v27, 3, v15
	v_lshl_add_u64 v[12:13], s[22:23], 0, v[0:1]
	s_xor_b64 s[16:17], s[2:3], -1
	v_mov_b32_e32 v14, 0
	v_mov_b32_e32 v8, 0
	;; [unrolled: 1-line block ×8, first 2 shown]
	s_branch .LBB393_8
.LBB393_7:                              ;   in Loop: Header=BB393_8 Depth=1
	s_or_b64 exec, exec, s[2:3]
	s_waitcnt vmcnt(0) lgkmcnt(0)
	ds_write_b64 v25, v[2:3]
	s_waitcnt lgkmcnt(0)
	s_barrier
	ds_read2_b64 v[30:33], v27 offset1:16
	ds_read_b128 v[34:37], v28
	ds_read_b128 v[38:41], v28 offset:16
	ds_read_b128 v[4:7], v28 offset:32
	;; [unrolled: 1-line block ×3, first 2 shown]
	ds_read2_b64 v[50:53], v27 offset0:32 offset1:48
	s_waitcnt lgkmcnt(4)
	v_mul_f32_e32 v42, v34, v31
	v_fmac_f32_e32 v42, v35, v30
	v_add_f32_e32 v26, v26, v42
	ds_read_b128 v[42:45], v28 offset:1024
	ds_read_b128 v[46:49], v28 offset:1040
	v_mul_f32_e32 v29, v35, v31
	v_fma_f32 v29, v34, v30, -v29
	v_add_f32_e32 v24, v24, v29
	v_mul_f32_e32 v29, v35, v33
	v_fma_f32 v29, v34, v32, -v29
	v_add_f32_e32 v20, v20, v29
	s_waitcnt lgkmcnt(1)
	v_mul_f32_e32 v29, v43, v31
	v_mul_f32_e32 v31, v42, v31
	v_fma_f32 v29, v42, v30, -v29
	v_fmac_f32_e32 v31, v43, v30
	v_mul_f32_e32 v30, v42, v33
	v_fmac_f32_e32 v30, v43, v32
	v_add_f32_e32 v14, v14, v30
	v_mul_f32_e32 v30, v36, v51
	v_mul_f32_e32 v34, v34, v33
	v_fmac_f32_e32 v30, v37, v50
	v_fmac_f32_e32 v34, v35, v32
	v_add_f32_e32 v26, v26, v30
	v_mul_f32_e32 v30, v36, v53
	v_add_f32_e32 v22, v22, v34
	v_add_f32_e32 v16, v16, v29
	v_mul_f32_e32 v29, v43, v33
	v_fmac_f32_e32 v30, v37, v52
	v_fma_f32 v29, v42, v32, -v29
	v_add_f32_e32 v22, v22, v30
	v_mul_f32_e32 v30, v44, v51
	v_add_f32_e32 v18, v18, v31
	v_add_f32_e32 v8, v8, v29
	v_mul_f32_e32 v29, v37, v51
	v_fmac_f32_e32 v30, v45, v50
	v_fma_f32 v29, v36, v50, -v29
	v_add_f32_e32 v18, v18, v30
	ds_read2_b64 v[30:33], v27 offset0:64 offset1:80
	v_add_f32_e32 v24, v24, v29
	v_mul_f32_e32 v29, v37, v53
	v_fma_f32 v29, v36, v52, -v29
	v_add_f32_e32 v20, v20, v29
	v_mul_f32_e32 v29, v45, v51
	v_mul_f32_e32 v34, v44, v53
	v_fma_f32 v29, v44, v50, -v29
	v_fmac_f32_e32 v34, v45, v52
	v_add_f32_e32 v16, v16, v29
	v_mul_f32_e32 v29, v45, v53
	v_add_f32_e32 v14, v14, v34
	s_waitcnt lgkmcnt(0)
	v_mul_f32_e32 v34, v38, v31
	v_fma_f32 v29, v44, v52, -v29
	v_fmac_f32_e32 v34, v39, v30
	v_add_f32_e32 v8, v8, v29
	v_mul_f32_e32 v29, v39, v31
	v_add_f32_e32 v26, v26, v34
	v_mul_f32_e32 v34, v38, v33
	v_fma_f32 v29, v38, v30, -v29
	v_fmac_f32_e32 v34, v39, v32
	v_add_f32_e32 v24, v24, v29
	v_mul_f32_e32 v29, v39, v33
	v_add_f32_e32 v22, v22, v34
	ds_read2_b64 v[34:37], v27 offset0:96 offset1:112
	v_fma_f32 v29, v38, v32, -v29
	v_add_f32_e32 v20, v20, v29
	v_mul_f32_e32 v29, v47, v31
	v_mul_f32_e32 v31, v46, v31
	v_fma_f32 v29, v46, v30, -v29
	v_fmac_f32_e32 v31, v47, v30
	v_mul_f32_e32 v30, v46, v33
	v_fmac_f32_e32 v30, v47, v32
	v_add_f32_e32 v14, v14, v30
	s_waitcnt lgkmcnt(0)
	v_mul_f32_e32 v30, v40, v35
	v_fmac_f32_e32 v30, v41, v34
	v_add_f32_e32 v16, v16, v29
	v_mul_f32_e32 v29, v47, v33
	v_add_f32_e32 v26, v26, v30
	v_mul_f32_e32 v30, v40, v37
	v_fma_f32 v29, v46, v32, -v29
	v_fmac_f32_e32 v30, v41, v36
	v_add_f32_e32 v8, v8, v29
	v_mul_f32_e32 v29, v41, v35
	v_add_f32_e32 v22, v22, v30
	v_mul_f32_e32 v30, v48, v35
	v_add_f32_e32 v18, v18, v31
	v_fma_f32 v29, v40, v34, -v29
	v_fmac_f32_e32 v30, v49, v34
	v_add_f32_e32 v24, v24, v29
	v_mul_f32_e32 v29, v41, v37
	v_add_f32_e32 v18, v18, v30
	ds_read2_b64 v[30:33], v27 offset0:128 offset1:144
	v_fma_f32 v29, v40, v36, -v29
	v_add_f32_e32 v20, v20, v29
	v_mul_f32_e32 v29, v49, v35
	v_fma_f32 v29, v48, v34, -v29
	v_mul_f32_e32 v34, v48, v37
	v_fmac_f32_e32 v34, v49, v36
	v_add_f32_e32 v14, v14, v34
	s_waitcnt lgkmcnt(0)
	v_mul_f32_e32 v34, v4, v31
	v_add_f32_e32 v16, v16, v29
	v_mul_f32_e32 v29, v49, v37
	v_fmac_f32_e32 v34, v5, v30
	v_fma_f32 v29, v48, v36, -v29
	v_add_f32_e32 v26, v26, v34
	ds_read_b128 v[34:37], v28 offset:1056
	ds_read_b128 v[38:41], v28 offset:1072
	v_add_f32_e32 v8, v8, v29
	v_mul_f32_e32 v29, v5, v31
	v_fma_f32 v29, v4, v30, -v29
	v_add_f32_e32 v24, v24, v29
	v_mul_f32_e32 v29, v5, v33
	v_fma_f32 v29, v4, v32, -v29
	v_mul_f32_e32 v4, v4, v33
	ds_read2_b64 v[42:45], v27 offset0:160 offset1:176
	v_fmac_f32_e32 v4, v5, v32
	v_add_f32_e32 v5, v20, v29
	s_waitcnt lgkmcnt(2)
	v_mul_f32_e32 v20, v35, v31
	v_fma_f32 v20, v34, v30, -v20
	v_add_f32_e32 v16, v16, v20
	v_mul_f32_e32 v20, v35, v33
	v_add_f32_e32 v4, v22, v4
	v_mul_f32_e32 v22, v34, v31
	v_fma_f32 v20, v34, v32, -v20
	v_fmac_f32_e32 v22, v35, v30
	v_add_f32_e32 v8, v8, v20
	s_waitcnt lgkmcnt(0)
	v_mul_f32_e32 v20, v7, v43
	v_add_f32_e32 v18, v18, v22
	v_mul_f32_e32 v22, v34, v33
	v_fma_f32 v20, v6, v42, -v20
	v_fmac_f32_e32 v22, v35, v32
	v_add_f32_e32 v20, v24, v20
	v_mul_f32_e32 v24, v7, v45
	v_add_f32_e32 v14, v14, v22
	v_mul_f32_e32 v22, v6, v43
	v_fma_f32 v24, v6, v44, -v24
	v_mul_f32_e32 v6, v6, v45
	v_fmac_f32_e32 v22, v7, v42
	v_fmac_f32_e32 v6, v7, v44
	v_add_f32_e32 v22, v26, v22
	v_add_f32_e32 v26, v4, v6
	v_mul_f32_e32 v4, v37, v43
	v_add_f32_e32 v24, v5, v24
	v_fma_f32 v4, v36, v42, -v4
	v_mul_f32_e32 v5, v36, v43
	v_fmac_f32_e32 v5, v37, v42
	v_add_f32_e32 v16, v16, v4
	v_mul_f32_e32 v4, v37, v45
	v_add_f32_e32 v18, v18, v5
	v_fma_f32 v29, v36, v44, -v4
	ds_read2_b64 v[4:7], v27 offset0:192 offset1:208
	v_mul_f32_e32 v30, v36, v45
	v_fmac_f32_e32 v30, v37, v44
	v_add_f32_e32 v8, v8, v29
	v_add_f32_e32 v14, v14, v30
	s_waitcnt lgkmcnt(0)
	v_mul_f32_e32 v29, v1, v5
	v_fma_f32 v29, v0, v4, -v29
	v_mul_f32_e32 v30, v0, v5
	v_fmac_f32_e32 v30, v1, v4
	v_add_f32_e32 v20, v20, v29
	v_mul_f32_e32 v29, v1, v7
	v_add_f32_e32 v22, v22, v30
	v_fma_f32 v29, v0, v6, -v29
	v_mul_f32_e32 v0, v0, v7
	ds_read2_b64 v[30:33], v27 offset0:224 offset1:240
	v_fmac_f32_e32 v0, v1, v6
	v_add_f32_e32 v1, v24, v29
	v_mul_f32_e32 v24, v39, v5
	v_fma_f32 v24, v38, v4, -v24
	v_mul_f32_e32 v5, v38, v5
	v_fmac_f32_e32 v5, v39, v4
	v_add_f32_e32 v4, v16, v24
	v_mul_f32_e32 v16, v39, v7
	v_fma_f32 v16, v38, v6, -v16
	v_mul_f32_e32 v7, v38, v7
	v_fmac_f32_e32 v7, v39, v6
	v_add_f32_e32 v6, v8, v16
	s_waitcnt lgkmcnt(0)
	v_mul_f32_e32 v8, v3, v31
	v_fma_f32 v8, v2, v30, -v8
	v_add_f32_e32 v24, v20, v8
	v_mul_f32_e32 v8, v3, v33
	v_add_f32_e32 v7, v14, v7
	v_mul_f32_e32 v14, v2, v31
	v_fma_f32 v8, v2, v32, -v8
	v_mul_f32_e32 v2, v2, v33
	v_add_f32_e32 v0, v26, v0
	v_fmac_f32_e32 v14, v3, v30
	v_fmac_f32_e32 v2, v3, v32
	v_add_f32_e32 v26, v22, v14
	v_add_f32_e32 v20, v1, v8
	;; [unrolled: 1-line block ×3, first 2 shown]
	v_mul_f32_e32 v0, v41, v31
	v_mul_f32_e32 v1, v40, v31
	v_add_f32_e32 v5, v18, v5
	v_fma_f32 v0, v40, v30, -v0
	v_fmac_f32_e32 v1, v41, v30
	v_add_f32_e32 v16, v4, v0
	v_add_f32_e32 v18, v5, v1
	v_mul_f32_e32 v0, v41, v33
	v_mul_f32_e32 v1, v40, v33
	v_fma_f32 v0, v40, v32, -v0
	v_fmac_f32_e32 v1, v41, v32
	s_add_i32 s5, s5, 8
	v_add_f32_e32 v8, v6, v0
	v_add_f32_e32 v14, v7, v1
	v_lshl_add_u64 v[10:11], v[10:11], 0, 64
	s_cmp_lt_i32 s5, s9
	v_lshl_add_u64 v[12:13], v[12:13], 0, 64
	s_barrier
	s_cbranch_scc0 .LBB393_14
.LBB393_8:                              ; =>This Inner Loop Header: Depth=1
	v_add_u32_e32 v0, s5, v21
	v_cmp_le_i32_e64 s[2:3], s9, v0
	s_or_b64 s[2:3], s[16:17], s[2:3]
	s_and_saveexec_b64 s[20:21], s[2:3]
	s_xor_b64 s[2:3], exec, s[20:21]
; %bb.9:                                ;   in Loop: Header=BB393_8 Depth=1
	ds_write_b32 v23, v9
; %bb.10:                               ;   in Loop: Header=BB393_8 Depth=1
	s_or_saveexec_b64 s[2:3], s[2:3]
	v_mov_b32_e32 v2, 0
	v_mov_b32_e32 v0, 0
	s_xor_b64 exec, exec, s[2:3]
	s_cbranch_execz .LBB393_12
; %bb.11:                               ;   in Loop: Header=BB393_8 Depth=1
	flat_load_dwordx2 v[4:5], v[10:11]
	s_waitcnt vmcnt(0) lgkmcnt(0)
	v_xor_b32_e32 v0, 0x80000000, v5
	ds_write_b32 v23, v4
.LBB393_12:                             ;   in Loop: Header=BB393_8 Depth=1
	s_or_b64 exec, exec, s[2:3]
	ds_write_b32 v23, v0 offset:4
	v_add_u32_e32 v0, s5, v19
	v_cmp_gt_i32_e64 s[2:3], s9, v0
	s_and_b64 s[20:21], s[2:3], vcc
	v_mov_b32_e32 v3, 0
	s_and_saveexec_b64 s[2:3], s[20:21]
	s_cbranch_execz .LBB393_7
; %bb.13:                               ;   in Loop: Header=BB393_8 Depth=1
	flat_load_dwordx2 v[2:3], v[12:13]
	s_branch .LBB393_7
.LBB393_14:
	s_load_dwordx2 s[2:3], s[0:1], 0x58
	s_load_dword s16, s[0:1], 0x50
	v_add_u32_e32 v0, s4, v15
	v_add_u32_e32 v9, s18, v17
	v_cmp_neq_f32_e64 s[0:1], s6, 0
	s_waitcnt lgkmcnt(0)
	s_lshl_b64 s[2:3], s[2:3], 3
	s_add_u32 s14, s14, s2
	s_addc_u32 s15, s15, s3
	s_xor_b64 s[4:5], s[12:13], -1
	v_mad_i64_i32 v[2:3], s[2:3], v9, s16, 0
	s_or_b64 s[0:1], s[0:1], s[4:5]
	v_lshl_add_u64 v[4:5], v[2:3], 3, s[14:15]
	v_cmp_le_i32_e32 vcc, v9, v0
	v_cmp_gt_i32_e64 s[2:3], s8, v0
	v_cndmask_b32_e64 v2, 0, 1, s[0:1]
	s_and_b64 s[12:13], vcc, s[2:3]
	v_ashrrev_i32_e32 v1, 31, v0
	v_cmp_ne_u32_e64 s[0:1], 1, v2
	s_and_saveexec_b64 s[4:5], s[12:13]
	s_cbranch_execz .LBB393_18
; %bb.15:
	v_pk_mul_f32 v[6:7], v[26:27], s[10:11] op_sel:[0,1] op_sel_hi:[0,0]
	v_pk_fma_f32 v[2:3], v[24:25], s[10:11], v[6:7] op_sel_hi:[0,1,1] neg_lo:[0,0,1] neg_hi:[0,0,1]
	v_pk_fma_f32 v[10:11], v[24:25], s[10:11], v[6:7] op_sel_hi:[0,1,1]
	s_and_b64 vcc, exec, s[0:1]
	v_lshl_add_u64 v[6:7], v[0:1], 3, v[4:5]
	s_cbranch_vccnz .LBB393_17
; %bb.16:
	flat_load_dwordx2 v[12:13], v[6:7]
	s_mov_b32 s12, s7
	v_mov_b32_e32 v3, v11
	s_waitcnt vmcnt(0) lgkmcnt(0)
	v_pk_mul_f32 v[10:11], v[12:13], s[12:13] op_sel:[1,0] op_sel_hi:[0,0]
	v_pk_fma_f32 v[24:25], v[12:13], s[6:7], v[10:11] neg_lo:[0,0,1] neg_hi:[0,0,1]
	v_pk_fma_f32 v[10:11], v[12:13], s[6:7], v[10:11] op_sel_hi:[1,0,1]
	s_nop 0
	v_mov_b32_e32 v25, v11
	v_pk_add_f32 v[2:3], v[2:3], v[24:25]
	s_nop 0
	v_mov_b32_e32 v11, v3
.LBB393_17:
	v_mov_b32_e32 v3, v11
	flat_store_dwordx2 v[6:7], v[2:3]
.LBB393_18:
	s_or_b64 exec, exec, s[4:5]
	v_add_u32_e32 v2, 16, v0
	v_cmp_le_i32_e32 vcc, v9, v2
	v_cmp_gt_i32_e64 s[4:5], s8, v2
	s_and_b64 s[12:13], vcc, s[4:5]
	v_ashrrev_i32_e32 v3, 31, v2
	s_and_saveexec_b64 s[8:9], s[12:13]
	s_cbranch_execz .LBB393_22
; %bb.19:
	v_pk_mul_f32 v[10:11], v[22:23], s[10:11] op_sel:[0,1] op_sel_hi:[0,0]
	v_pk_fma_f32 v[6:7], v[20:21], s[10:11], v[10:11] op_sel_hi:[0,1,1] neg_lo:[0,0,1] neg_hi:[0,0,1]
	v_pk_fma_f32 v[10:11], v[20:21], s[10:11], v[10:11] op_sel_hi:[0,1,1]
	s_and_b64 vcc, exec, s[0:1]
	v_lshl_add_u64 v[4:5], v[2:3], 3, v[4:5]
	s_cbranch_vccnz .LBB393_21
; %bb.20:
	flat_load_dwordx2 v[12:13], v[4:5]
	s_mov_b32 s12, s7
	v_mov_b32_e32 v7, v11
	s_waitcnt vmcnt(0) lgkmcnt(0)
	v_pk_mul_f32 v[10:11], v[12:13], s[12:13] op_sel:[1,0] op_sel_hi:[0,0]
	v_pk_fma_f32 v[20:21], v[12:13], s[6:7], v[10:11] neg_lo:[0,0,1] neg_hi:[0,0,1]
	v_pk_fma_f32 v[10:11], v[12:13], s[6:7], v[10:11] op_sel_hi:[1,0,1]
	s_nop 0
	v_mov_b32_e32 v21, v11
	v_pk_add_f32 v[6:7], v[6:7], v[20:21]
	s_nop 0
	v_mov_b32_e32 v11, v7
.LBB393_21:
	v_mov_b32_e32 v7, v11
	flat_store_dwordx2 v[4:5], v[6:7]
.LBB393_22:
	s_or_b64 exec, exec, s[8:9]
	v_add_u32_e32 v9, 16, v9
	v_mad_i64_i32 v[4:5], s[8:9], v9, s16, 0
	v_cmp_le_i32_e32 vcc, v9, v0
	v_lshl_add_u64 v[4:5], v[4:5], 3, s[14:15]
	s_and_b64 s[8:9], vcc, s[2:3]
	s_and_saveexec_b64 s[2:3], s[8:9]
	s_cbranch_execz .LBB393_26
; %bb.23:
	v_pk_mul_f32 v[10:11], v[18:19], s[10:11] op_sel:[0,1] op_sel_hi:[0,0]
	v_pk_fma_f32 v[6:7], v[16:17], s[10:11], v[10:11] op_sel_hi:[0,1,1] neg_lo:[0,0,1] neg_hi:[0,0,1]
	v_pk_fma_f32 v[10:11], v[16:17], s[10:11], v[10:11] op_sel_hi:[0,1,1]
	s_and_b64 vcc, exec, s[0:1]
	v_lshl_add_u64 v[0:1], v[0:1], 3, v[4:5]
	s_cbranch_vccnz .LBB393_25
; %bb.24:
	flat_load_dwordx2 v[12:13], v[0:1]
	s_mov_b32 s8, s7
	v_mov_b32_e32 v7, v11
	s_waitcnt vmcnt(0) lgkmcnt(0)
	v_pk_mul_f32 v[10:11], v[12:13], s[8:9] op_sel:[1,0] op_sel_hi:[0,0]
	v_pk_fma_f32 v[16:17], v[12:13], s[6:7], v[10:11] neg_lo:[0,0,1] neg_hi:[0,0,1]
	v_pk_fma_f32 v[10:11], v[12:13], s[6:7], v[10:11] op_sel_hi:[1,0,1]
	s_nop 0
	v_mov_b32_e32 v17, v11
	v_pk_add_f32 v[6:7], v[6:7], v[16:17]
	s_nop 0
	v_mov_b32_e32 v11, v7
.LBB393_25:
	v_mov_b32_e32 v7, v11
	flat_store_dwordx2 v[0:1], v[6:7]
.LBB393_26:
	s_or_b64 exec, exec, s[2:3]
	v_cmp_le_i32_e32 vcc, v9, v2
	s_and_b64 s[2:3], vcc, s[4:5]
	s_and_saveexec_b64 s[4:5], s[2:3]
	s_cbranch_execz .LBB393_30
; %bb.27:
	v_pk_mul_f32 v[6:7], v[14:15], s[10:11] op_sel:[0,1] op_sel_hi:[0,0]
	v_pk_fma_f32 v[0:1], v[8:9], s[10:11], v[6:7] op_sel_hi:[0,1,1] neg_lo:[0,0,1] neg_hi:[0,0,1]
	v_pk_fma_f32 v[6:7], v[8:9], s[10:11], v[6:7] op_sel_hi:[0,1,1]
	s_and_b64 vcc, exec, s[0:1]
	v_lshl_add_u64 v[2:3], v[2:3], 3, v[4:5]
	s_cbranch_vccnz .LBB393_29
; %bb.28:
	flat_load_dwordx2 v[4:5], v[2:3]
	s_mov_b32 s0, s7
	v_mov_b32_e32 v1, v7
	s_waitcnt vmcnt(0) lgkmcnt(0)
	v_pk_mul_f32 v[6:7], v[4:5], s[0:1] op_sel:[1,0] op_sel_hi:[0,0]
	v_pk_fma_f32 v[8:9], v[4:5], s[6:7], v[6:7] neg_lo:[0,0,1] neg_hi:[0,0,1]
	v_pk_fma_f32 v[4:5], v[4:5], s[6:7], v[6:7] op_sel_hi:[1,0,1]
	s_nop 0
	v_mov_b32_e32 v9, v5
	v_pk_add_f32 v[0:1], v[0:1], v[8:9]
	s_nop 0
	v_mov_b32_e32 v7, v1
.LBB393_29:
	v_mov_b32_e32 v1, v7
	flat_store_dwordx2 v[2:3], v[0:1]
.LBB393_30:
	s_endpgm
	.section	.rodata,"a",@progbits
	.p2align	6, 0x0
	.amdhsa_kernel _ZL29rocblas_internal_gemmt_kernelIiLi16ELi32ELi8ELc67ELc78ELc76ELb1ELb0E19rocblas_complex_numIfES1_PKPKS1_PKPS1_EviT_T9_T10_S9_lSB_S9_lSA_T11_S9_li
		.amdhsa_group_segment_fixed_size 4096
		.amdhsa_private_segment_fixed_size 0
		.amdhsa_kernarg_size 100
		.amdhsa_user_sgpr_count 2
		.amdhsa_user_sgpr_dispatch_ptr 0
		.amdhsa_user_sgpr_queue_ptr 0
		.amdhsa_user_sgpr_kernarg_segment_ptr 1
		.amdhsa_user_sgpr_dispatch_id 0
		.amdhsa_user_sgpr_kernarg_preload_length 0
		.amdhsa_user_sgpr_kernarg_preload_offset 0
		.amdhsa_user_sgpr_private_segment_size 0
		.amdhsa_uses_dynamic_stack 0
		.amdhsa_enable_private_segment 0
		.amdhsa_system_sgpr_workgroup_id_x 1
		.amdhsa_system_sgpr_workgroup_id_y 1
		.amdhsa_system_sgpr_workgroup_id_z 1
		.amdhsa_system_sgpr_workgroup_info 0
		.amdhsa_system_vgpr_workitem_id 1
		.amdhsa_next_free_vgpr 54
		.amdhsa_next_free_sgpr 29
		.amdhsa_accum_offset 56
		.amdhsa_reserve_vcc 1
		.amdhsa_float_round_mode_32 0
		.amdhsa_float_round_mode_16_64 0
		.amdhsa_float_denorm_mode_32 3
		.amdhsa_float_denorm_mode_16_64 3
		.amdhsa_dx10_clamp 1
		.amdhsa_ieee_mode 1
		.amdhsa_fp16_overflow 0
		.amdhsa_tg_split 0
		.amdhsa_exception_fp_ieee_invalid_op 0
		.amdhsa_exception_fp_denorm_src 0
		.amdhsa_exception_fp_ieee_div_zero 0
		.amdhsa_exception_fp_ieee_overflow 0
		.amdhsa_exception_fp_ieee_underflow 0
		.amdhsa_exception_fp_ieee_inexact 0
		.amdhsa_exception_int_div_zero 0
	.end_amdhsa_kernel
	.section	.text._ZL29rocblas_internal_gemmt_kernelIiLi16ELi32ELi8ELc67ELc78ELc76ELb1ELb0E19rocblas_complex_numIfES1_PKPKS1_PKPS1_EviT_T9_T10_S9_lSB_S9_lSA_T11_S9_li,"axG",@progbits,_ZL29rocblas_internal_gemmt_kernelIiLi16ELi32ELi8ELc67ELc78ELc76ELb1ELb0E19rocblas_complex_numIfES1_PKPKS1_PKPS1_EviT_T9_T10_S9_lSB_S9_lSA_T11_S9_li,comdat
.Lfunc_end393:
	.size	_ZL29rocblas_internal_gemmt_kernelIiLi16ELi32ELi8ELc67ELc78ELc76ELb1ELb0E19rocblas_complex_numIfES1_PKPKS1_PKPS1_EviT_T9_T10_S9_lSB_S9_lSA_T11_S9_li, .Lfunc_end393-_ZL29rocblas_internal_gemmt_kernelIiLi16ELi32ELi8ELc67ELc78ELc76ELb1ELb0E19rocblas_complex_numIfES1_PKPKS1_PKPS1_EviT_T9_T10_S9_lSB_S9_lSA_T11_S9_li
                                        ; -- End function
	.set _ZL29rocblas_internal_gemmt_kernelIiLi16ELi32ELi8ELc67ELc78ELc76ELb1ELb0E19rocblas_complex_numIfES1_PKPKS1_PKPS1_EviT_T9_T10_S9_lSB_S9_lSA_T11_S9_li.num_vgpr, 54
	.set _ZL29rocblas_internal_gemmt_kernelIiLi16ELi32ELi8ELc67ELc78ELc76ELb1ELb0E19rocblas_complex_numIfES1_PKPKS1_PKPS1_EviT_T9_T10_S9_lSB_S9_lSA_T11_S9_li.num_agpr, 0
	.set _ZL29rocblas_internal_gemmt_kernelIiLi16ELi32ELi8ELc67ELc78ELc76ELb1ELb0E19rocblas_complex_numIfES1_PKPKS1_PKPS1_EviT_T9_T10_S9_lSB_S9_lSA_T11_S9_li.numbered_sgpr, 29
	.set _ZL29rocblas_internal_gemmt_kernelIiLi16ELi32ELi8ELc67ELc78ELc76ELb1ELb0E19rocblas_complex_numIfES1_PKPKS1_PKPS1_EviT_T9_T10_S9_lSB_S9_lSA_T11_S9_li.num_named_barrier, 0
	.set _ZL29rocblas_internal_gemmt_kernelIiLi16ELi32ELi8ELc67ELc78ELc76ELb1ELb0E19rocblas_complex_numIfES1_PKPKS1_PKPS1_EviT_T9_T10_S9_lSB_S9_lSA_T11_S9_li.private_seg_size, 0
	.set _ZL29rocblas_internal_gemmt_kernelIiLi16ELi32ELi8ELc67ELc78ELc76ELb1ELb0E19rocblas_complex_numIfES1_PKPKS1_PKPS1_EviT_T9_T10_S9_lSB_S9_lSA_T11_S9_li.uses_vcc, 1
	.set _ZL29rocblas_internal_gemmt_kernelIiLi16ELi32ELi8ELc67ELc78ELc76ELb1ELb0E19rocblas_complex_numIfES1_PKPKS1_PKPS1_EviT_T9_T10_S9_lSB_S9_lSA_T11_S9_li.uses_flat_scratch, 0
	.set _ZL29rocblas_internal_gemmt_kernelIiLi16ELi32ELi8ELc67ELc78ELc76ELb1ELb0E19rocblas_complex_numIfES1_PKPKS1_PKPS1_EviT_T9_T10_S9_lSB_S9_lSA_T11_S9_li.has_dyn_sized_stack, 0
	.set _ZL29rocblas_internal_gemmt_kernelIiLi16ELi32ELi8ELc67ELc78ELc76ELb1ELb0E19rocblas_complex_numIfES1_PKPKS1_PKPS1_EviT_T9_T10_S9_lSB_S9_lSA_T11_S9_li.has_recursion, 0
	.set _ZL29rocblas_internal_gemmt_kernelIiLi16ELi32ELi8ELc67ELc78ELc76ELb1ELb0E19rocblas_complex_numIfES1_PKPKS1_PKPS1_EviT_T9_T10_S9_lSB_S9_lSA_T11_S9_li.has_indirect_call, 0
	.section	.AMDGPU.csdata,"",@progbits
; Kernel info:
; codeLenInByte = 2496
; TotalNumSgprs: 35
; NumVgprs: 54
; NumAgprs: 0
; TotalNumVgprs: 54
; ScratchSize: 0
; MemoryBound: 0
; FloatMode: 240
; IeeeMode: 1
; LDSByteSize: 4096 bytes/workgroup (compile time only)
; SGPRBlocks: 4
; VGPRBlocks: 6
; NumSGPRsForWavesPerEU: 35
; NumVGPRsForWavesPerEU: 54
; AccumOffset: 56
; Occupancy: 8
; WaveLimiterHint : 1
; COMPUTE_PGM_RSRC2:SCRATCH_EN: 0
; COMPUTE_PGM_RSRC2:USER_SGPR: 2
; COMPUTE_PGM_RSRC2:TRAP_HANDLER: 0
; COMPUTE_PGM_RSRC2:TGID_X_EN: 1
; COMPUTE_PGM_RSRC2:TGID_Y_EN: 1
; COMPUTE_PGM_RSRC2:TGID_Z_EN: 1
; COMPUTE_PGM_RSRC2:TIDIG_COMP_CNT: 1
; COMPUTE_PGM_RSRC3_GFX90A:ACCUM_OFFSET: 13
; COMPUTE_PGM_RSRC3_GFX90A:TG_SPLIT: 0
	.section	.text._ZL29rocblas_internal_gemmt_kernelIiLi16ELi32ELi8ELc67ELc84ELc76ELb1ELb0E19rocblas_complex_numIfES1_PKPKS1_PKPS1_EviT_T9_T10_S9_lSB_S9_lSA_T11_S9_li,"axG",@progbits,_ZL29rocblas_internal_gemmt_kernelIiLi16ELi32ELi8ELc67ELc84ELc76ELb1ELb0E19rocblas_complex_numIfES1_PKPKS1_PKPS1_EviT_T9_T10_S9_lSB_S9_lSA_T11_S9_li,comdat
	.globl	_ZL29rocblas_internal_gemmt_kernelIiLi16ELi32ELi8ELc67ELc84ELc76ELb1ELb0E19rocblas_complex_numIfES1_PKPKS1_PKPS1_EviT_T9_T10_S9_lSB_S9_lSA_T11_S9_li ; -- Begin function _ZL29rocblas_internal_gemmt_kernelIiLi16ELi32ELi8ELc67ELc84ELc76ELb1ELb0E19rocblas_complex_numIfES1_PKPKS1_PKPS1_EviT_T9_T10_S9_lSB_S9_lSA_T11_S9_li
	.p2align	8
	.type	_ZL29rocblas_internal_gemmt_kernelIiLi16ELi32ELi8ELc67ELc84ELc76ELb1ELb0E19rocblas_complex_numIfES1_PKPKS1_PKPS1_EviT_T9_T10_S9_lSB_S9_lSA_T11_S9_li,@function
_ZL29rocblas_internal_gemmt_kernelIiLi16ELi32ELi8ELc67ELc84ELc76ELb1ELb0E19rocblas_complex_numIfES1_PKPKS1_PKPS1_EviT_T9_T10_S9_lSB_S9_lSA_T11_S9_li: ; @_ZL29rocblas_internal_gemmt_kernelIiLi16ELi32ELi8ELc67ELc84ELc76ELb1ELb0E19rocblas_complex_numIfES1_PKPKS1_PKPS1_EviT_T9_T10_S9_lSB_S9_lSA_T11_S9_li
; %bb.0:
	s_load_dwordx2 s[6:7], s[0:1], 0x40
	s_load_dwordx4 s[8:11], s[0:1], 0x0
	s_waitcnt lgkmcnt(0)
	s_and_b32 s5, s7, 0x7fffffff
	s_cmp_eq_u32 s5, 0
	v_cmp_eq_f32_e64 s[14:15], s6, 1.0
	s_cselect_b64 s[12:13], -1, 0
	s_and_b64 s[14:15], s[14:15], s[12:13]
	s_and_b64 vcc, exec, s[14:15]
	s_cbranch_vccnz .LBB394_2
; %bb.1:
	s_mov_b64 s[14:15], -1
	s_cbranch_execz .LBB394_3
	s_branch .LBB394_4
.LBB394_2:
	s_mov_b64 s[14:15], 0
.LBB394_3:
	s_cmp_lg_u32 s9, 0
	v_cmp_neq_f32_e64 s[16:17], s10, 0
	v_cmp_neq_f32_e64 s[18:19], s11, 0
	s_cselect_b64 s[14:15], -1, 0
	s_or_b64 s[16:17], s[16:17], s[18:19]
	s_and_b64 s[14:15], s[14:15], s[16:17]
.LBB394_4:
	s_andn2_b64 vcc, exec, s[14:15]
	s_cbranch_vccnz .LBB394_30
; %bb.5:
	s_load_dwordx2 s[14:15], s[0:1], 0x48
	s_mov_b32 s5, 0
	s_lshl_b64 s[16:17], s[4:5], 3
	v_cmp_eq_f32_e64 s[18:19], s11, 0
	v_and_b32_e32 v15, 0x3ff, v0
	s_waitcnt lgkmcnt(0)
	s_add_u32 s14, s14, s16
	s_addc_u32 s15, s15, s17
	s_lshl_b32 s4, s2, 5
	s_lshl_b32 s20, s3, 5
	v_cmp_eq_f32_e64 s[2:3], s10, 0
	s_load_dwordx2 s[14:15], s[14:15], 0x0
	s_and_b64 s[2:3], s[2:3], s[18:19]
	s_cmp_lt_i32 s9, 1
	s_cselect_b64 s[18:19], -1, 0
	s_or_b64 s[2:3], s[2:3], s[18:19]
	v_bfe_u32 v17, v0, 10, 10
	v_mov_b32_e32 v24, 0
	s_and_b64 vcc, exec, s[2:3]
	v_mov_b32_e32 v26, 0
	v_mov_b32_e32 v20, 0
	;; [unrolled: 1-line block ×7, first 2 shown]
	s_cbranch_vccnz .LBB394_14
; %bb.6:
	s_load_dwordx4 s[24:27], s[0:1], 0x20
	s_load_dword s18, s[0:1], 0x30
	s_load_dwordx2 s[2:3], s[0:1], 0x10
	s_load_dword s21, s[0:1], 0x18
	s_load_dwordx2 s[22:23], s[0:1], 0x38
	v_lshl_add_u32 v1, v17, 4, v15
	v_and_b32_e32 v3, 31, v1
	v_lshrrev_b32_e32 v21, 5, v1
	s_waitcnt lgkmcnt(0)
	s_ashr_i32 s19, s18, 31
	s_add_u32 s26, s26, s16
	s_addc_u32 s27, s27, s17
	s_add_u32 s2, s2, s16
	v_lshrrev_b32_e32 v2, 3, v1
	v_or_b32_e32 v1, s4, v3
	s_addc_u32 s3, s3, s17
	v_and_b32_e32 v19, 7, v15
	s_load_dwordx2 s[16:17], s[2:3], 0x0
	v_cmp_gt_i32_e64 s[2:3], s8, v1
	v_lshlrev_b32_e32 v1, 3, v3
	v_lshl_or_b32 v23, v21, 8, v1
	v_lshlrev_b32_e32 v1, 3, v19
	v_add_u32_e32 v0, s20, v2
	v_lshl_or_b32 v1, v2, 6, v1
	v_mov_b32_e32 v2, 0x800
	v_lshl_add_u32 v28, v17, 6, v2
	v_add_u32_e32 v2, s4, v3
	v_mad_i64_i32 v[2:3], s[28:29], s21, v2, 0
	s_lshl_b64 s[24:25], s[24:25], 3
	v_lshl_add_u64 v[2:3], v[2:3], 3, s[24:25]
	v_lshlrev_b32_e32 v8, 3, v21
	v_mov_b32_e32 v9, 0
	s_load_dwordx2 s[26:27], s[26:27], 0x0
	v_lshl_add_u64 v[2:3], v[2:3], 0, v[8:9]
	s_waitcnt lgkmcnt(0)
	v_lshl_add_u64 v[10:11], s[16:17], 0, v[2:3]
	v_mad_i64_i32 v[2:3], s[16:17], s18, v19, 0
	s_lshl_b64 s[16:17], s[22:23], 3
	v_add_u32_e32 v25, 0x800, v1
	v_ashrrev_i32_e32 v1, 31, v0
	v_lshl_add_u64 v[2:3], v[2:3], 3, s[16:17]
	v_cmp_gt_i32_e32 vcc, s8, v0
	v_lshl_add_u64 v[0:1], v[0:1], 3, v[2:3]
	v_lshlrev_b32_e32 v27, 3, v15
	v_lshl_add_u64 v[12:13], s[26:27], 0, v[0:1]
	s_lshl_b64 s[16:17], s[18:19], 6
	s_xor_b64 s[18:19], s[2:3], -1
	v_mov_b32_e32 v14, 0
	v_mov_b32_e32 v8, 0
	;; [unrolled: 1-line block ×8, first 2 shown]
	s_branch .LBB394_8
.LBB394_7:                              ;   in Loop: Header=BB394_8 Depth=1
	s_or_b64 exec, exec, s[2:3]
	s_waitcnt vmcnt(0) lgkmcnt(0)
	ds_write_b64 v25, v[2:3]
	s_waitcnt lgkmcnt(0)
	s_barrier
	ds_read2_b64 v[30:33], v27 offset1:16
	ds_read_b128 v[34:37], v28
	ds_read_b128 v[38:41], v28 offset:16
	ds_read_b128 v[4:7], v28 offset:32
	;; [unrolled: 1-line block ×3, first 2 shown]
	ds_read2_b64 v[50:53], v27 offset0:32 offset1:48
	s_waitcnt lgkmcnt(4)
	v_mul_f32_e32 v42, v34, v31
	v_fmac_f32_e32 v42, v35, v30
	v_add_f32_e32 v26, v26, v42
	ds_read_b128 v[42:45], v28 offset:1024
	ds_read_b128 v[46:49], v28 offset:1040
	v_mul_f32_e32 v29, v35, v31
	v_fma_f32 v29, v34, v30, -v29
	v_add_f32_e32 v24, v24, v29
	v_mul_f32_e32 v29, v35, v33
	v_fma_f32 v29, v34, v32, -v29
	v_add_f32_e32 v20, v20, v29
	s_waitcnt lgkmcnt(1)
	v_mul_f32_e32 v29, v43, v31
	v_mul_f32_e32 v31, v42, v31
	v_fma_f32 v29, v42, v30, -v29
	v_fmac_f32_e32 v31, v43, v30
	v_mul_f32_e32 v30, v42, v33
	v_fmac_f32_e32 v30, v43, v32
	v_add_f32_e32 v14, v14, v30
	v_mul_f32_e32 v30, v36, v51
	v_mul_f32_e32 v34, v34, v33
	v_fmac_f32_e32 v30, v37, v50
	v_fmac_f32_e32 v34, v35, v32
	v_add_f32_e32 v26, v26, v30
	v_mul_f32_e32 v30, v36, v53
	v_add_f32_e32 v22, v22, v34
	v_add_f32_e32 v16, v16, v29
	v_mul_f32_e32 v29, v43, v33
	v_fmac_f32_e32 v30, v37, v52
	v_fma_f32 v29, v42, v32, -v29
	v_add_f32_e32 v22, v22, v30
	v_mul_f32_e32 v30, v44, v51
	v_add_f32_e32 v18, v18, v31
	v_add_f32_e32 v8, v8, v29
	v_mul_f32_e32 v29, v37, v51
	v_fmac_f32_e32 v30, v45, v50
	v_fma_f32 v29, v36, v50, -v29
	v_add_f32_e32 v18, v18, v30
	ds_read2_b64 v[30:33], v27 offset0:64 offset1:80
	v_add_f32_e32 v24, v24, v29
	v_mul_f32_e32 v29, v37, v53
	v_fma_f32 v29, v36, v52, -v29
	v_add_f32_e32 v20, v20, v29
	v_mul_f32_e32 v29, v45, v51
	v_mul_f32_e32 v34, v44, v53
	v_fma_f32 v29, v44, v50, -v29
	v_fmac_f32_e32 v34, v45, v52
	v_add_f32_e32 v16, v16, v29
	v_mul_f32_e32 v29, v45, v53
	v_add_f32_e32 v14, v14, v34
	s_waitcnt lgkmcnt(0)
	v_mul_f32_e32 v34, v38, v31
	v_fma_f32 v29, v44, v52, -v29
	v_fmac_f32_e32 v34, v39, v30
	v_add_f32_e32 v8, v8, v29
	v_mul_f32_e32 v29, v39, v31
	v_add_f32_e32 v26, v26, v34
	v_mul_f32_e32 v34, v38, v33
	v_fma_f32 v29, v38, v30, -v29
	v_fmac_f32_e32 v34, v39, v32
	v_add_f32_e32 v24, v24, v29
	v_mul_f32_e32 v29, v39, v33
	v_add_f32_e32 v22, v22, v34
	ds_read2_b64 v[34:37], v27 offset0:96 offset1:112
	v_fma_f32 v29, v38, v32, -v29
	v_add_f32_e32 v20, v20, v29
	v_mul_f32_e32 v29, v47, v31
	v_mul_f32_e32 v31, v46, v31
	v_fma_f32 v29, v46, v30, -v29
	v_fmac_f32_e32 v31, v47, v30
	v_mul_f32_e32 v30, v46, v33
	v_fmac_f32_e32 v30, v47, v32
	v_add_f32_e32 v14, v14, v30
	s_waitcnt lgkmcnt(0)
	v_mul_f32_e32 v30, v40, v35
	v_fmac_f32_e32 v30, v41, v34
	v_add_f32_e32 v16, v16, v29
	v_mul_f32_e32 v29, v47, v33
	v_add_f32_e32 v26, v26, v30
	v_mul_f32_e32 v30, v40, v37
	v_fma_f32 v29, v46, v32, -v29
	v_fmac_f32_e32 v30, v41, v36
	v_add_f32_e32 v8, v8, v29
	v_mul_f32_e32 v29, v41, v35
	v_add_f32_e32 v22, v22, v30
	v_mul_f32_e32 v30, v48, v35
	v_add_f32_e32 v18, v18, v31
	v_fma_f32 v29, v40, v34, -v29
	v_fmac_f32_e32 v30, v49, v34
	v_add_f32_e32 v24, v24, v29
	v_mul_f32_e32 v29, v41, v37
	v_add_f32_e32 v18, v18, v30
	ds_read2_b64 v[30:33], v27 offset0:128 offset1:144
	v_fma_f32 v29, v40, v36, -v29
	v_add_f32_e32 v20, v20, v29
	v_mul_f32_e32 v29, v49, v35
	v_fma_f32 v29, v48, v34, -v29
	v_mul_f32_e32 v34, v48, v37
	v_fmac_f32_e32 v34, v49, v36
	v_add_f32_e32 v14, v14, v34
	s_waitcnt lgkmcnt(0)
	v_mul_f32_e32 v34, v4, v31
	v_add_f32_e32 v16, v16, v29
	v_mul_f32_e32 v29, v49, v37
	v_fmac_f32_e32 v34, v5, v30
	v_fma_f32 v29, v48, v36, -v29
	v_add_f32_e32 v26, v26, v34
	ds_read_b128 v[34:37], v28 offset:1056
	ds_read_b128 v[38:41], v28 offset:1072
	v_add_f32_e32 v8, v8, v29
	v_mul_f32_e32 v29, v5, v31
	v_fma_f32 v29, v4, v30, -v29
	v_add_f32_e32 v24, v24, v29
	v_mul_f32_e32 v29, v5, v33
	v_fma_f32 v29, v4, v32, -v29
	v_mul_f32_e32 v4, v4, v33
	ds_read2_b64 v[42:45], v27 offset0:160 offset1:176
	v_fmac_f32_e32 v4, v5, v32
	v_add_f32_e32 v5, v20, v29
	s_waitcnt lgkmcnt(2)
	v_mul_f32_e32 v20, v35, v31
	v_fma_f32 v20, v34, v30, -v20
	v_add_f32_e32 v16, v16, v20
	v_mul_f32_e32 v20, v35, v33
	v_add_f32_e32 v4, v22, v4
	v_mul_f32_e32 v22, v34, v31
	v_fma_f32 v20, v34, v32, -v20
	v_fmac_f32_e32 v22, v35, v30
	v_add_f32_e32 v8, v8, v20
	s_waitcnt lgkmcnt(0)
	v_mul_f32_e32 v20, v7, v43
	v_add_f32_e32 v18, v18, v22
	v_mul_f32_e32 v22, v34, v33
	v_fma_f32 v20, v6, v42, -v20
	v_fmac_f32_e32 v22, v35, v32
	v_add_f32_e32 v20, v24, v20
	v_mul_f32_e32 v24, v7, v45
	v_add_f32_e32 v14, v14, v22
	v_mul_f32_e32 v22, v6, v43
	v_fma_f32 v24, v6, v44, -v24
	v_mul_f32_e32 v6, v6, v45
	v_fmac_f32_e32 v22, v7, v42
	v_fmac_f32_e32 v6, v7, v44
	v_add_f32_e32 v22, v26, v22
	v_add_f32_e32 v26, v4, v6
	v_mul_f32_e32 v4, v37, v43
	v_add_f32_e32 v24, v5, v24
	v_fma_f32 v4, v36, v42, -v4
	v_mul_f32_e32 v5, v36, v43
	v_fmac_f32_e32 v5, v37, v42
	v_add_f32_e32 v16, v16, v4
	v_mul_f32_e32 v4, v37, v45
	v_add_f32_e32 v18, v18, v5
	v_fma_f32 v29, v36, v44, -v4
	ds_read2_b64 v[4:7], v27 offset0:192 offset1:208
	v_mul_f32_e32 v30, v36, v45
	v_fmac_f32_e32 v30, v37, v44
	v_add_f32_e32 v8, v8, v29
	v_add_f32_e32 v14, v14, v30
	s_waitcnt lgkmcnt(0)
	v_mul_f32_e32 v29, v1, v5
	v_fma_f32 v29, v0, v4, -v29
	v_mul_f32_e32 v30, v0, v5
	v_fmac_f32_e32 v30, v1, v4
	v_add_f32_e32 v20, v20, v29
	v_mul_f32_e32 v29, v1, v7
	v_add_f32_e32 v22, v22, v30
	v_fma_f32 v29, v0, v6, -v29
	v_mul_f32_e32 v0, v0, v7
	ds_read2_b64 v[30:33], v27 offset0:224 offset1:240
	v_fmac_f32_e32 v0, v1, v6
	v_add_f32_e32 v1, v24, v29
	v_mul_f32_e32 v24, v39, v5
	v_fma_f32 v24, v38, v4, -v24
	v_mul_f32_e32 v5, v38, v5
	v_fmac_f32_e32 v5, v39, v4
	v_add_f32_e32 v4, v16, v24
	v_mul_f32_e32 v16, v39, v7
	v_fma_f32 v16, v38, v6, -v16
	v_mul_f32_e32 v7, v38, v7
	v_fmac_f32_e32 v7, v39, v6
	v_add_f32_e32 v6, v8, v16
	s_waitcnt lgkmcnt(0)
	v_mul_f32_e32 v8, v3, v31
	v_fma_f32 v8, v2, v30, -v8
	v_add_f32_e32 v24, v20, v8
	v_mul_f32_e32 v8, v3, v33
	v_add_f32_e32 v7, v14, v7
	v_mul_f32_e32 v14, v2, v31
	v_fma_f32 v8, v2, v32, -v8
	v_mul_f32_e32 v2, v2, v33
	v_add_f32_e32 v0, v26, v0
	v_fmac_f32_e32 v14, v3, v30
	v_fmac_f32_e32 v2, v3, v32
	v_add_f32_e32 v26, v22, v14
	v_add_f32_e32 v20, v1, v8
	;; [unrolled: 1-line block ×3, first 2 shown]
	v_mul_f32_e32 v0, v41, v31
	v_mul_f32_e32 v1, v40, v31
	v_add_f32_e32 v5, v18, v5
	v_fma_f32 v0, v40, v30, -v0
	v_fmac_f32_e32 v1, v41, v30
	v_add_f32_e32 v16, v4, v0
	v_add_f32_e32 v18, v5, v1
	v_mul_f32_e32 v0, v41, v33
	v_mul_f32_e32 v1, v40, v33
	v_fma_f32 v0, v40, v32, -v0
	v_fmac_f32_e32 v1, v41, v32
	s_add_i32 s5, s5, 8
	v_add_f32_e32 v8, v6, v0
	v_add_f32_e32 v14, v7, v1
	v_lshl_add_u64 v[10:11], v[10:11], 0, 64
	s_cmp_lt_i32 s5, s9
	v_lshl_add_u64 v[12:13], v[12:13], 0, s[16:17]
	s_barrier
	s_cbranch_scc0 .LBB394_14
.LBB394_8:                              ; =>This Inner Loop Header: Depth=1
	v_add_u32_e32 v0, s5, v21
	v_cmp_le_i32_e64 s[2:3], s9, v0
	s_or_b64 s[2:3], s[18:19], s[2:3]
	s_and_saveexec_b64 s[22:23], s[2:3]
	s_xor_b64 s[2:3], exec, s[22:23]
; %bb.9:                                ;   in Loop: Header=BB394_8 Depth=1
	ds_write_b32 v23, v9
; %bb.10:                               ;   in Loop: Header=BB394_8 Depth=1
	s_or_saveexec_b64 s[2:3], s[2:3]
	v_mov_b32_e32 v2, 0
	v_mov_b32_e32 v0, 0
	s_xor_b64 exec, exec, s[2:3]
	s_cbranch_execz .LBB394_12
; %bb.11:                               ;   in Loop: Header=BB394_8 Depth=1
	flat_load_dwordx2 v[4:5], v[10:11]
	s_waitcnt vmcnt(0) lgkmcnt(0)
	v_xor_b32_e32 v0, 0x80000000, v5
	ds_write_b32 v23, v4
.LBB394_12:                             ;   in Loop: Header=BB394_8 Depth=1
	s_or_b64 exec, exec, s[2:3]
	ds_write_b32 v23, v0 offset:4
	v_add_u32_e32 v0, s5, v19
	v_cmp_gt_i32_e64 s[2:3], s9, v0
	s_and_b64 s[22:23], s[2:3], vcc
	v_mov_b32_e32 v3, 0
	s_and_saveexec_b64 s[2:3], s[22:23]
	s_cbranch_execz .LBB394_7
; %bb.13:                               ;   in Loop: Header=BB394_8 Depth=1
	flat_load_dwordx2 v[2:3], v[12:13]
	s_branch .LBB394_7
.LBB394_14:
	s_load_dwordx2 s[2:3], s[0:1], 0x58
	s_load_dword s16, s[0:1], 0x50
	v_add_u32_e32 v0, s4, v15
	v_add_u32_e32 v9, s20, v17
	v_cmp_neq_f32_e64 s[0:1], s6, 0
	s_waitcnt lgkmcnt(0)
	s_lshl_b64 s[2:3], s[2:3], 3
	s_add_u32 s14, s14, s2
	s_addc_u32 s15, s15, s3
	s_xor_b64 s[4:5], s[12:13], -1
	v_mad_i64_i32 v[2:3], s[2:3], v9, s16, 0
	s_or_b64 s[0:1], s[0:1], s[4:5]
	v_lshl_add_u64 v[4:5], v[2:3], 3, s[14:15]
	v_cmp_le_i32_e32 vcc, v9, v0
	v_cmp_gt_i32_e64 s[2:3], s8, v0
	v_cndmask_b32_e64 v2, 0, 1, s[0:1]
	s_and_b64 s[12:13], vcc, s[2:3]
	v_ashrrev_i32_e32 v1, 31, v0
	v_cmp_ne_u32_e64 s[0:1], 1, v2
	s_and_saveexec_b64 s[4:5], s[12:13]
	s_cbranch_execz .LBB394_18
; %bb.15:
	v_pk_mul_f32 v[6:7], v[26:27], s[10:11] op_sel:[0,1] op_sel_hi:[0,0]
	v_pk_fma_f32 v[2:3], v[24:25], s[10:11], v[6:7] op_sel_hi:[0,1,1] neg_lo:[0,0,1] neg_hi:[0,0,1]
	v_pk_fma_f32 v[10:11], v[24:25], s[10:11], v[6:7] op_sel_hi:[0,1,1]
	s_and_b64 vcc, exec, s[0:1]
	v_lshl_add_u64 v[6:7], v[0:1], 3, v[4:5]
	s_cbranch_vccnz .LBB394_17
; %bb.16:
	flat_load_dwordx2 v[12:13], v[6:7]
	s_mov_b32 s12, s7
	v_mov_b32_e32 v3, v11
	s_waitcnt vmcnt(0) lgkmcnt(0)
	v_pk_mul_f32 v[10:11], v[12:13], s[12:13] op_sel:[1,0] op_sel_hi:[0,0]
	v_pk_fma_f32 v[24:25], v[12:13], s[6:7], v[10:11] neg_lo:[0,0,1] neg_hi:[0,0,1]
	v_pk_fma_f32 v[10:11], v[12:13], s[6:7], v[10:11] op_sel_hi:[1,0,1]
	s_nop 0
	v_mov_b32_e32 v25, v11
	v_pk_add_f32 v[2:3], v[2:3], v[24:25]
	s_nop 0
	v_mov_b32_e32 v11, v3
.LBB394_17:
	v_mov_b32_e32 v3, v11
	flat_store_dwordx2 v[6:7], v[2:3]
.LBB394_18:
	s_or_b64 exec, exec, s[4:5]
	v_add_u32_e32 v2, 16, v0
	v_cmp_le_i32_e32 vcc, v9, v2
	v_cmp_gt_i32_e64 s[4:5], s8, v2
	s_and_b64 s[12:13], vcc, s[4:5]
	v_ashrrev_i32_e32 v3, 31, v2
	s_and_saveexec_b64 s[8:9], s[12:13]
	s_cbranch_execz .LBB394_22
; %bb.19:
	v_pk_mul_f32 v[10:11], v[22:23], s[10:11] op_sel:[0,1] op_sel_hi:[0,0]
	v_pk_fma_f32 v[6:7], v[20:21], s[10:11], v[10:11] op_sel_hi:[0,1,1] neg_lo:[0,0,1] neg_hi:[0,0,1]
	v_pk_fma_f32 v[10:11], v[20:21], s[10:11], v[10:11] op_sel_hi:[0,1,1]
	s_and_b64 vcc, exec, s[0:1]
	v_lshl_add_u64 v[4:5], v[2:3], 3, v[4:5]
	s_cbranch_vccnz .LBB394_21
; %bb.20:
	flat_load_dwordx2 v[12:13], v[4:5]
	s_mov_b32 s12, s7
	v_mov_b32_e32 v7, v11
	s_waitcnt vmcnt(0) lgkmcnt(0)
	v_pk_mul_f32 v[10:11], v[12:13], s[12:13] op_sel:[1,0] op_sel_hi:[0,0]
	v_pk_fma_f32 v[20:21], v[12:13], s[6:7], v[10:11] neg_lo:[0,0,1] neg_hi:[0,0,1]
	v_pk_fma_f32 v[10:11], v[12:13], s[6:7], v[10:11] op_sel_hi:[1,0,1]
	s_nop 0
	v_mov_b32_e32 v21, v11
	v_pk_add_f32 v[6:7], v[6:7], v[20:21]
	s_nop 0
	v_mov_b32_e32 v11, v7
.LBB394_21:
	v_mov_b32_e32 v7, v11
	flat_store_dwordx2 v[4:5], v[6:7]
.LBB394_22:
	s_or_b64 exec, exec, s[8:9]
	v_add_u32_e32 v9, 16, v9
	v_mad_i64_i32 v[4:5], s[8:9], v9, s16, 0
	v_cmp_le_i32_e32 vcc, v9, v0
	v_lshl_add_u64 v[4:5], v[4:5], 3, s[14:15]
	s_and_b64 s[8:9], vcc, s[2:3]
	s_and_saveexec_b64 s[2:3], s[8:9]
	s_cbranch_execz .LBB394_26
; %bb.23:
	v_pk_mul_f32 v[10:11], v[18:19], s[10:11] op_sel:[0,1] op_sel_hi:[0,0]
	v_pk_fma_f32 v[6:7], v[16:17], s[10:11], v[10:11] op_sel_hi:[0,1,1] neg_lo:[0,0,1] neg_hi:[0,0,1]
	v_pk_fma_f32 v[10:11], v[16:17], s[10:11], v[10:11] op_sel_hi:[0,1,1]
	s_and_b64 vcc, exec, s[0:1]
	v_lshl_add_u64 v[0:1], v[0:1], 3, v[4:5]
	s_cbranch_vccnz .LBB394_25
; %bb.24:
	flat_load_dwordx2 v[12:13], v[0:1]
	s_mov_b32 s8, s7
	v_mov_b32_e32 v7, v11
	s_waitcnt vmcnt(0) lgkmcnt(0)
	v_pk_mul_f32 v[10:11], v[12:13], s[8:9] op_sel:[1,0] op_sel_hi:[0,0]
	v_pk_fma_f32 v[16:17], v[12:13], s[6:7], v[10:11] neg_lo:[0,0,1] neg_hi:[0,0,1]
	v_pk_fma_f32 v[10:11], v[12:13], s[6:7], v[10:11] op_sel_hi:[1,0,1]
	s_nop 0
	v_mov_b32_e32 v17, v11
	v_pk_add_f32 v[6:7], v[6:7], v[16:17]
	s_nop 0
	v_mov_b32_e32 v11, v7
.LBB394_25:
	v_mov_b32_e32 v7, v11
	flat_store_dwordx2 v[0:1], v[6:7]
.LBB394_26:
	s_or_b64 exec, exec, s[2:3]
	v_cmp_le_i32_e32 vcc, v9, v2
	s_and_b64 s[2:3], vcc, s[4:5]
	s_and_saveexec_b64 s[4:5], s[2:3]
	s_cbranch_execz .LBB394_30
; %bb.27:
	v_pk_mul_f32 v[6:7], v[14:15], s[10:11] op_sel:[0,1] op_sel_hi:[0,0]
	v_pk_fma_f32 v[0:1], v[8:9], s[10:11], v[6:7] op_sel_hi:[0,1,1] neg_lo:[0,0,1] neg_hi:[0,0,1]
	v_pk_fma_f32 v[6:7], v[8:9], s[10:11], v[6:7] op_sel_hi:[0,1,1]
	s_and_b64 vcc, exec, s[0:1]
	v_lshl_add_u64 v[2:3], v[2:3], 3, v[4:5]
	s_cbranch_vccnz .LBB394_29
; %bb.28:
	flat_load_dwordx2 v[4:5], v[2:3]
	s_mov_b32 s0, s7
	v_mov_b32_e32 v1, v7
	s_waitcnt vmcnt(0) lgkmcnt(0)
	v_pk_mul_f32 v[6:7], v[4:5], s[0:1] op_sel:[1,0] op_sel_hi:[0,0]
	v_pk_fma_f32 v[8:9], v[4:5], s[6:7], v[6:7] neg_lo:[0,0,1] neg_hi:[0,0,1]
	v_pk_fma_f32 v[4:5], v[4:5], s[6:7], v[6:7] op_sel_hi:[1,0,1]
	s_nop 0
	v_mov_b32_e32 v9, v5
	v_pk_add_f32 v[0:1], v[0:1], v[8:9]
	s_nop 0
	v_mov_b32_e32 v7, v1
.LBB394_29:
	v_mov_b32_e32 v1, v7
	flat_store_dwordx2 v[2:3], v[0:1]
.LBB394_30:
	s_endpgm
	.section	.rodata,"a",@progbits
	.p2align	6, 0x0
	.amdhsa_kernel _ZL29rocblas_internal_gemmt_kernelIiLi16ELi32ELi8ELc67ELc84ELc76ELb1ELb0E19rocblas_complex_numIfES1_PKPKS1_PKPS1_EviT_T9_T10_S9_lSB_S9_lSA_T11_S9_li
		.amdhsa_group_segment_fixed_size 4096
		.amdhsa_private_segment_fixed_size 0
		.amdhsa_kernarg_size 100
		.amdhsa_user_sgpr_count 2
		.amdhsa_user_sgpr_dispatch_ptr 0
		.amdhsa_user_sgpr_queue_ptr 0
		.amdhsa_user_sgpr_kernarg_segment_ptr 1
		.amdhsa_user_sgpr_dispatch_id 0
		.amdhsa_user_sgpr_kernarg_preload_length 0
		.amdhsa_user_sgpr_kernarg_preload_offset 0
		.amdhsa_user_sgpr_private_segment_size 0
		.amdhsa_uses_dynamic_stack 0
		.amdhsa_enable_private_segment 0
		.amdhsa_system_sgpr_workgroup_id_x 1
		.amdhsa_system_sgpr_workgroup_id_y 1
		.amdhsa_system_sgpr_workgroup_id_z 1
		.amdhsa_system_sgpr_workgroup_info 0
		.amdhsa_system_vgpr_workitem_id 1
		.amdhsa_next_free_vgpr 54
		.amdhsa_next_free_sgpr 30
		.amdhsa_accum_offset 56
		.amdhsa_reserve_vcc 1
		.amdhsa_float_round_mode_32 0
		.amdhsa_float_round_mode_16_64 0
		.amdhsa_float_denorm_mode_32 3
		.amdhsa_float_denorm_mode_16_64 3
		.amdhsa_dx10_clamp 1
		.amdhsa_ieee_mode 1
		.amdhsa_fp16_overflow 0
		.amdhsa_tg_split 0
		.amdhsa_exception_fp_ieee_invalid_op 0
		.amdhsa_exception_fp_denorm_src 0
		.amdhsa_exception_fp_ieee_div_zero 0
		.amdhsa_exception_fp_ieee_overflow 0
		.amdhsa_exception_fp_ieee_underflow 0
		.amdhsa_exception_fp_ieee_inexact 0
		.amdhsa_exception_int_div_zero 0
	.end_amdhsa_kernel
	.section	.text._ZL29rocblas_internal_gemmt_kernelIiLi16ELi32ELi8ELc67ELc84ELc76ELb1ELb0E19rocblas_complex_numIfES1_PKPKS1_PKPS1_EviT_T9_T10_S9_lSB_S9_lSA_T11_S9_li,"axG",@progbits,_ZL29rocblas_internal_gemmt_kernelIiLi16ELi32ELi8ELc67ELc84ELc76ELb1ELb0E19rocblas_complex_numIfES1_PKPKS1_PKPS1_EviT_T9_T10_S9_lSB_S9_lSA_T11_S9_li,comdat
.Lfunc_end394:
	.size	_ZL29rocblas_internal_gemmt_kernelIiLi16ELi32ELi8ELc67ELc84ELc76ELb1ELb0E19rocblas_complex_numIfES1_PKPKS1_PKPS1_EviT_T9_T10_S9_lSB_S9_lSA_T11_S9_li, .Lfunc_end394-_ZL29rocblas_internal_gemmt_kernelIiLi16ELi32ELi8ELc67ELc84ELc76ELb1ELb0E19rocblas_complex_numIfES1_PKPKS1_PKPS1_EviT_T9_T10_S9_lSB_S9_lSA_T11_S9_li
                                        ; -- End function
	.set _ZL29rocblas_internal_gemmt_kernelIiLi16ELi32ELi8ELc67ELc84ELc76ELb1ELb0E19rocblas_complex_numIfES1_PKPKS1_PKPS1_EviT_T9_T10_S9_lSB_S9_lSA_T11_S9_li.num_vgpr, 54
	.set _ZL29rocblas_internal_gemmt_kernelIiLi16ELi32ELi8ELc67ELc84ELc76ELb1ELb0E19rocblas_complex_numIfES1_PKPKS1_PKPS1_EviT_T9_T10_S9_lSB_S9_lSA_T11_S9_li.num_agpr, 0
	.set _ZL29rocblas_internal_gemmt_kernelIiLi16ELi32ELi8ELc67ELc84ELc76ELb1ELb0E19rocblas_complex_numIfES1_PKPKS1_PKPS1_EviT_T9_T10_S9_lSB_S9_lSA_T11_S9_li.numbered_sgpr, 30
	.set _ZL29rocblas_internal_gemmt_kernelIiLi16ELi32ELi8ELc67ELc84ELc76ELb1ELb0E19rocblas_complex_numIfES1_PKPKS1_PKPS1_EviT_T9_T10_S9_lSB_S9_lSA_T11_S9_li.num_named_barrier, 0
	.set _ZL29rocblas_internal_gemmt_kernelIiLi16ELi32ELi8ELc67ELc84ELc76ELb1ELb0E19rocblas_complex_numIfES1_PKPKS1_PKPS1_EviT_T9_T10_S9_lSB_S9_lSA_T11_S9_li.private_seg_size, 0
	.set _ZL29rocblas_internal_gemmt_kernelIiLi16ELi32ELi8ELc67ELc84ELc76ELb1ELb0E19rocblas_complex_numIfES1_PKPKS1_PKPS1_EviT_T9_T10_S9_lSB_S9_lSA_T11_S9_li.uses_vcc, 1
	.set _ZL29rocblas_internal_gemmt_kernelIiLi16ELi32ELi8ELc67ELc84ELc76ELb1ELb0E19rocblas_complex_numIfES1_PKPKS1_PKPS1_EviT_T9_T10_S9_lSB_S9_lSA_T11_S9_li.uses_flat_scratch, 0
	.set _ZL29rocblas_internal_gemmt_kernelIiLi16ELi32ELi8ELc67ELc84ELc76ELb1ELb0E19rocblas_complex_numIfES1_PKPKS1_PKPS1_EviT_T9_T10_S9_lSB_S9_lSA_T11_S9_li.has_dyn_sized_stack, 0
	.set _ZL29rocblas_internal_gemmt_kernelIiLi16ELi32ELi8ELc67ELc84ELc76ELb1ELb0E19rocblas_complex_numIfES1_PKPKS1_PKPS1_EviT_T9_T10_S9_lSB_S9_lSA_T11_S9_li.has_recursion, 0
	.set _ZL29rocblas_internal_gemmt_kernelIiLi16ELi32ELi8ELc67ELc84ELc76ELb1ELb0E19rocblas_complex_numIfES1_PKPKS1_PKPS1_EviT_T9_T10_S9_lSB_S9_lSA_T11_S9_li.has_indirect_call, 0
	.section	.AMDGPU.csdata,"",@progbits
; Kernel info:
; codeLenInByte = 2500
; TotalNumSgprs: 36
; NumVgprs: 54
; NumAgprs: 0
; TotalNumVgprs: 54
; ScratchSize: 0
; MemoryBound: 0
; FloatMode: 240
; IeeeMode: 1
; LDSByteSize: 4096 bytes/workgroup (compile time only)
; SGPRBlocks: 4
; VGPRBlocks: 6
; NumSGPRsForWavesPerEU: 36
; NumVGPRsForWavesPerEU: 54
; AccumOffset: 56
; Occupancy: 8
; WaveLimiterHint : 1
; COMPUTE_PGM_RSRC2:SCRATCH_EN: 0
; COMPUTE_PGM_RSRC2:USER_SGPR: 2
; COMPUTE_PGM_RSRC2:TRAP_HANDLER: 0
; COMPUTE_PGM_RSRC2:TGID_X_EN: 1
; COMPUTE_PGM_RSRC2:TGID_Y_EN: 1
; COMPUTE_PGM_RSRC2:TGID_Z_EN: 1
; COMPUTE_PGM_RSRC2:TIDIG_COMP_CNT: 1
; COMPUTE_PGM_RSRC3_GFX90A:ACCUM_OFFSET: 13
; COMPUTE_PGM_RSRC3_GFX90A:TG_SPLIT: 0
	.section	.text._ZL29rocblas_internal_gemmt_kernelIiLi16ELi32ELi8ELc67ELc67ELc76ELb1ELb1E19rocblas_complex_numIfES1_PKPKS1_PKPS1_EviT_T9_T10_S9_lSB_S9_lSA_T11_S9_li,"axG",@progbits,_ZL29rocblas_internal_gemmt_kernelIiLi16ELi32ELi8ELc67ELc67ELc76ELb1ELb1E19rocblas_complex_numIfES1_PKPKS1_PKPS1_EviT_T9_T10_S9_lSB_S9_lSA_T11_S9_li,comdat
	.globl	_ZL29rocblas_internal_gemmt_kernelIiLi16ELi32ELi8ELc67ELc67ELc76ELb1ELb1E19rocblas_complex_numIfES1_PKPKS1_PKPS1_EviT_T9_T10_S9_lSB_S9_lSA_T11_S9_li ; -- Begin function _ZL29rocblas_internal_gemmt_kernelIiLi16ELi32ELi8ELc67ELc67ELc76ELb1ELb1E19rocblas_complex_numIfES1_PKPKS1_PKPS1_EviT_T9_T10_S9_lSB_S9_lSA_T11_S9_li
	.p2align	8
	.type	_ZL29rocblas_internal_gemmt_kernelIiLi16ELi32ELi8ELc67ELc67ELc76ELb1ELb1E19rocblas_complex_numIfES1_PKPKS1_PKPS1_EviT_T9_T10_S9_lSB_S9_lSA_T11_S9_li,@function
_ZL29rocblas_internal_gemmt_kernelIiLi16ELi32ELi8ELc67ELc67ELc76ELb1ELb1E19rocblas_complex_numIfES1_PKPKS1_PKPS1_EviT_T9_T10_S9_lSB_S9_lSA_T11_S9_li: ; @_ZL29rocblas_internal_gemmt_kernelIiLi16ELi32ELi8ELc67ELc67ELc76ELb1ELb1E19rocblas_complex_numIfES1_PKPKS1_PKPS1_EviT_T9_T10_S9_lSB_S9_lSA_T11_S9_li
; %bb.0:
	s_load_dwordx2 s[6:7], s[0:1], 0x40
	s_load_dwordx4 s[8:11], s[0:1], 0x0
	s_waitcnt lgkmcnt(0)
	s_and_b32 s5, s7, 0x7fffffff
	s_cmp_eq_u32 s5, 0
	v_cmp_eq_f32_e64 s[14:15], s6, 1.0
	s_cselect_b64 s[12:13], -1, 0
	s_and_b64 s[14:15], s[14:15], s[12:13]
	s_and_b64 vcc, exec, s[14:15]
	s_cbranch_vccnz .LBB395_2
; %bb.1:
	s_mov_b64 s[14:15], -1
	s_cbranch_execz .LBB395_3
	s_branch .LBB395_4
.LBB395_2:
	s_mov_b64 s[14:15], 0
.LBB395_3:
	s_cmp_lg_u32 s9, 0
	v_cmp_neq_f32_e64 s[16:17], s10, 0
	v_cmp_neq_f32_e64 s[18:19], s11, 0
	s_cselect_b64 s[14:15], -1, 0
	s_or_b64 s[16:17], s[16:17], s[18:19]
	s_and_b64 s[14:15], s[14:15], s[16:17]
.LBB395_4:
	s_andn2_b64 vcc, exec, s[14:15]
	s_cbranch_vccnz .LBB395_32
; %bb.5:
	s_load_dwordx2 s[14:15], s[0:1], 0x48
	s_mov_b32 s5, 0
	s_lshl_b64 s[16:17], s[4:5], 3
	v_cmp_eq_f32_e64 s[18:19], s11, 0
	v_and_b32_e32 v15, 0x3ff, v0
	s_waitcnt lgkmcnt(0)
	s_add_u32 s14, s14, s16
	s_addc_u32 s15, s15, s17
	s_lshl_b32 s4, s2, 5
	s_lshl_b32 s22, s3, 5
	v_cmp_eq_f32_e64 s[2:3], s10, 0
	s_load_dwordx2 s[14:15], s[14:15], 0x0
	s_and_b64 s[2:3], s[2:3], s[18:19]
	s_cmp_lt_i32 s9, 1
	s_cselect_b64 s[18:19], -1, 0
	s_or_b64 s[2:3], s[2:3], s[18:19]
	v_bfe_u32 v17, v0, 10, 10
	v_mov_b32_e32 v24, 0
	s_and_b64 vcc, exec, s[2:3]
	v_mov_b32_e32 v26, 0
	v_mov_b32_e32 v20, 0
	;; [unrolled: 1-line block ×7, first 2 shown]
	s_cbranch_vccnz .LBB395_16
; %bb.6:
	s_load_dwordx4 s[24:27], s[0:1], 0x20
	s_load_dword s18, s[0:1], 0x30
	v_lshl_add_u32 v1, v17, 4, v15
	s_load_dwordx2 s[2:3], s[0:1], 0x10
	s_load_dword s23, s[0:1], 0x18
	s_load_dwordx2 s[20:21], s[0:1], 0x38
	v_and_b32_e32 v3, 31, v1
	v_lshrrev_b32_e32 v21, 5, v1
	s_waitcnt lgkmcnt(0)
	s_ashr_i32 s19, s18, 31
	s_add_u32 s26, s26, s16
	v_lshrrev_b32_e32 v2, 3, v1
	v_or_b32_e32 v1, s4, v3
	s_addc_u32 s27, s27, s17
	v_and_b32_e32 v19, 7, v15
	s_add_u32 s2, s2, s16
	v_cmp_gt_i32_e32 vcc, s8, v1
	v_lshlrev_b32_e32 v1, 3, v3
	s_addc_u32 s3, s3, s17
	v_lshl_or_b32 v23, v21, 8, v1
	v_lshlrev_b32_e32 v1, 3, v19
	v_add_u32_e32 v0, s22, v2
	s_load_dwordx2 s[16:17], s[2:3], 0x0
	v_lshl_or_b32 v1, v2, 6, v1
	v_mov_b32_e32 v2, 0x800
	v_lshl_add_u32 v28, v17, 6, v2
	v_add_u32_e32 v2, s4, v3
	v_mad_i64_i32 v[2:3], s[28:29], s23, v2, 0
	s_lshl_b64 s[24:25], s[24:25], 3
	v_lshl_add_u64 v[2:3], v[2:3], 3, s[24:25]
	v_lshlrev_b32_e32 v8, 3, v21
	v_mov_b32_e32 v9, 0
	s_load_dwordx2 s[26:27], s[26:27], 0x0
	v_lshl_add_u64 v[2:3], v[2:3], 0, v[8:9]
	s_waitcnt lgkmcnt(0)
	v_lshl_add_u64 v[10:11], s[16:17], 0, v[2:3]
	v_mad_i64_i32 v[2:3], s[16:17], s18, v19, 0
	s_lshl_b64 s[16:17], s[20:21], 3
	v_add_u32_e32 v25, 0x800, v1
	v_ashrrev_i32_e32 v1, 31, v0
	v_lshl_add_u64 v[2:3], v[2:3], 3, s[16:17]
	v_cmp_gt_i32_e64 s[2:3], s8, v0
	v_lshl_add_u64 v[0:1], v[0:1], 3, v[2:3]
	v_lshlrev_b32_e32 v27, 3, v15
	v_lshl_add_u64 v[12:13], s[26:27], 0, v[0:1]
	s_lshl_b64 s[16:17], s[18:19], 6
	s_xor_b64 s[18:19], vcc, -1
	s_xor_b64 s[2:3], s[2:3], -1
	v_mov_b32_e32 v14, 0
	v_mov_b32_e32 v8, 0
	;; [unrolled: 1-line block ×8, first 2 shown]
	s_branch .LBB395_8
.LBB395_7:                              ;   in Loop: Header=BB395_8 Depth=1
	s_or_b64 exec, exec, s[20:21]
	ds_write_b32 v25, v0 offset:4
	s_waitcnt lgkmcnt(0)
	s_barrier
	ds_read2_b64 v[30:33], v27 offset1:16
	ds_read_b128 v[34:37], v28
	ds_read_b128 v[38:41], v28 offset:16
	ds_read_b128 v[4:7], v28 offset:32
	;; [unrolled: 1-line block ×3, first 2 shown]
	ds_read2_b64 v[50:53], v27 offset0:32 offset1:48
	s_waitcnt lgkmcnt(4)
	v_mul_f32_e32 v42, v34, v31
	v_fmac_f32_e32 v42, v35, v30
	v_add_f32_e32 v26, v26, v42
	ds_read_b128 v[42:45], v28 offset:1024
	ds_read_b128 v[46:49], v28 offset:1040
	v_mul_f32_e32 v29, v35, v31
	v_fma_f32 v29, v34, v30, -v29
	v_add_f32_e32 v24, v24, v29
	v_mul_f32_e32 v29, v35, v33
	v_fma_f32 v29, v34, v32, -v29
	v_add_f32_e32 v20, v20, v29
	s_waitcnt lgkmcnt(1)
	v_mul_f32_e32 v29, v43, v31
	v_mul_f32_e32 v31, v42, v31
	v_fma_f32 v29, v42, v30, -v29
	v_fmac_f32_e32 v31, v43, v30
	v_mul_f32_e32 v30, v42, v33
	v_fmac_f32_e32 v30, v43, v32
	v_add_f32_e32 v14, v14, v30
	v_mul_f32_e32 v30, v36, v51
	v_mul_f32_e32 v34, v34, v33
	v_fmac_f32_e32 v30, v37, v50
	v_fmac_f32_e32 v34, v35, v32
	v_add_f32_e32 v26, v26, v30
	v_mul_f32_e32 v30, v36, v53
	v_add_f32_e32 v22, v22, v34
	v_add_f32_e32 v16, v16, v29
	v_mul_f32_e32 v29, v43, v33
	v_fmac_f32_e32 v30, v37, v52
	v_fma_f32 v29, v42, v32, -v29
	v_add_f32_e32 v22, v22, v30
	v_mul_f32_e32 v30, v44, v51
	v_add_f32_e32 v18, v18, v31
	v_add_f32_e32 v8, v8, v29
	v_mul_f32_e32 v29, v37, v51
	v_fmac_f32_e32 v30, v45, v50
	v_fma_f32 v29, v36, v50, -v29
	v_add_f32_e32 v18, v18, v30
	ds_read2_b64 v[30:33], v27 offset0:64 offset1:80
	v_add_f32_e32 v24, v24, v29
	v_mul_f32_e32 v29, v37, v53
	v_fma_f32 v29, v36, v52, -v29
	v_add_f32_e32 v20, v20, v29
	v_mul_f32_e32 v29, v45, v51
	v_mul_f32_e32 v34, v44, v53
	v_fma_f32 v29, v44, v50, -v29
	v_fmac_f32_e32 v34, v45, v52
	v_add_f32_e32 v16, v16, v29
	v_mul_f32_e32 v29, v45, v53
	v_add_f32_e32 v14, v14, v34
	s_waitcnt lgkmcnt(0)
	v_mul_f32_e32 v34, v38, v31
	v_fma_f32 v29, v44, v52, -v29
	v_fmac_f32_e32 v34, v39, v30
	v_add_f32_e32 v8, v8, v29
	v_mul_f32_e32 v29, v39, v31
	v_add_f32_e32 v26, v26, v34
	v_mul_f32_e32 v34, v38, v33
	v_fma_f32 v29, v38, v30, -v29
	v_fmac_f32_e32 v34, v39, v32
	v_add_f32_e32 v24, v24, v29
	v_mul_f32_e32 v29, v39, v33
	v_add_f32_e32 v22, v22, v34
	ds_read2_b64 v[34:37], v27 offset0:96 offset1:112
	v_fma_f32 v29, v38, v32, -v29
	v_add_f32_e32 v20, v20, v29
	v_mul_f32_e32 v29, v47, v31
	v_mul_f32_e32 v31, v46, v31
	v_fma_f32 v29, v46, v30, -v29
	v_fmac_f32_e32 v31, v47, v30
	v_mul_f32_e32 v30, v46, v33
	v_fmac_f32_e32 v30, v47, v32
	v_add_f32_e32 v14, v14, v30
	s_waitcnt lgkmcnt(0)
	v_mul_f32_e32 v30, v40, v35
	v_fmac_f32_e32 v30, v41, v34
	v_add_f32_e32 v16, v16, v29
	v_mul_f32_e32 v29, v47, v33
	v_add_f32_e32 v26, v26, v30
	v_mul_f32_e32 v30, v40, v37
	v_fma_f32 v29, v46, v32, -v29
	v_fmac_f32_e32 v30, v41, v36
	v_add_f32_e32 v8, v8, v29
	v_mul_f32_e32 v29, v41, v35
	v_add_f32_e32 v22, v22, v30
	v_mul_f32_e32 v30, v48, v35
	v_add_f32_e32 v18, v18, v31
	v_fma_f32 v29, v40, v34, -v29
	v_fmac_f32_e32 v30, v49, v34
	v_add_f32_e32 v24, v24, v29
	v_mul_f32_e32 v29, v41, v37
	v_add_f32_e32 v18, v18, v30
	ds_read2_b64 v[30:33], v27 offset0:128 offset1:144
	v_fma_f32 v29, v40, v36, -v29
	v_add_f32_e32 v20, v20, v29
	v_mul_f32_e32 v29, v49, v35
	v_fma_f32 v29, v48, v34, -v29
	v_mul_f32_e32 v34, v48, v37
	v_fmac_f32_e32 v34, v49, v36
	v_add_f32_e32 v14, v14, v34
	s_waitcnt lgkmcnt(0)
	v_mul_f32_e32 v34, v4, v31
	v_add_f32_e32 v16, v16, v29
	v_mul_f32_e32 v29, v49, v37
	v_fmac_f32_e32 v34, v5, v30
	v_fma_f32 v29, v48, v36, -v29
	v_add_f32_e32 v26, v26, v34
	ds_read_b128 v[34:37], v28 offset:1056
	ds_read_b128 v[38:41], v28 offset:1072
	v_add_f32_e32 v8, v8, v29
	v_mul_f32_e32 v29, v5, v31
	v_fma_f32 v29, v4, v30, -v29
	v_add_f32_e32 v24, v24, v29
	v_mul_f32_e32 v29, v5, v33
	v_fma_f32 v29, v4, v32, -v29
	v_mul_f32_e32 v4, v4, v33
	ds_read2_b64 v[42:45], v27 offset0:160 offset1:176
	v_fmac_f32_e32 v4, v5, v32
	v_add_f32_e32 v5, v20, v29
	s_waitcnt lgkmcnt(2)
	v_mul_f32_e32 v20, v35, v31
	v_fma_f32 v20, v34, v30, -v20
	v_add_f32_e32 v16, v16, v20
	v_mul_f32_e32 v20, v35, v33
	v_add_f32_e32 v4, v22, v4
	v_mul_f32_e32 v22, v34, v31
	v_fma_f32 v20, v34, v32, -v20
	v_fmac_f32_e32 v22, v35, v30
	v_add_f32_e32 v8, v8, v20
	s_waitcnt lgkmcnt(0)
	v_mul_f32_e32 v20, v7, v43
	v_add_f32_e32 v18, v18, v22
	v_mul_f32_e32 v22, v34, v33
	v_fma_f32 v20, v6, v42, -v20
	v_fmac_f32_e32 v22, v35, v32
	v_add_f32_e32 v20, v24, v20
	v_mul_f32_e32 v24, v7, v45
	v_add_f32_e32 v14, v14, v22
	v_mul_f32_e32 v22, v6, v43
	v_fma_f32 v24, v6, v44, -v24
	v_mul_f32_e32 v6, v6, v45
	v_fmac_f32_e32 v22, v7, v42
	v_fmac_f32_e32 v6, v7, v44
	v_add_f32_e32 v22, v26, v22
	v_add_f32_e32 v26, v4, v6
	v_mul_f32_e32 v4, v37, v43
	v_add_f32_e32 v24, v5, v24
	v_fma_f32 v4, v36, v42, -v4
	v_mul_f32_e32 v5, v36, v43
	v_fmac_f32_e32 v5, v37, v42
	v_add_f32_e32 v16, v16, v4
	v_mul_f32_e32 v4, v37, v45
	v_add_f32_e32 v18, v18, v5
	v_fma_f32 v29, v36, v44, -v4
	ds_read2_b64 v[4:7], v27 offset0:192 offset1:208
	v_mul_f32_e32 v30, v36, v45
	v_fmac_f32_e32 v30, v37, v44
	v_add_f32_e32 v8, v8, v29
	v_add_f32_e32 v14, v14, v30
	s_waitcnt lgkmcnt(0)
	v_mul_f32_e32 v29, v1, v5
	v_fma_f32 v29, v0, v4, -v29
	v_mul_f32_e32 v30, v0, v5
	v_fmac_f32_e32 v30, v1, v4
	v_add_f32_e32 v20, v20, v29
	v_mul_f32_e32 v29, v1, v7
	v_add_f32_e32 v22, v22, v30
	v_fma_f32 v29, v0, v6, -v29
	v_mul_f32_e32 v0, v0, v7
	ds_read2_b64 v[30:33], v27 offset0:224 offset1:240
	v_fmac_f32_e32 v0, v1, v6
	v_add_f32_e32 v1, v24, v29
	v_mul_f32_e32 v24, v39, v5
	v_fma_f32 v24, v38, v4, -v24
	v_mul_f32_e32 v5, v38, v5
	v_fmac_f32_e32 v5, v39, v4
	v_add_f32_e32 v4, v16, v24
	v_mul_f32_e32 v16, v39, v7
	v_fma_f32 v16, v38, v6, -v16
	v_mul_f32_e32 v7, v38, v7
	v_fmac_f32_e32 v7, v39, v6
	v_add_f32_e32 v6, v8, v16
	s_waitcnt lgkmcnt(0)
	v_mul_f32_e32 v8, v3, v31
	v_fma_f32 v8, v2, v30, -v8
	v_add_f32_e32 v24, v20, v8
	v_mul_f32_e32 v8, v3, v33
	v_add_f32_e32 v7, v14, v7
	v_mul_f32_e32 v14, v2, v31
	v_fma_f32 v8, v2, v32, -v8
	v_mul_f32_e32 v2, v2, v33
	v_add_f32_e32 v0, v26, v0
	v_fmac_f32_e32 v14, v3, v30
	v_fmac_f32_e32 v2, v3, v32
	v_add_f32_e32 v26, v22, v14
	v_add_f32_e32 v20, v1, v8
	;; [unrolled: 1-line block ×3, first 2 shown]
	v_mul_f32_e32 v0, v41, v31
	v_mul_f32_e32 v1, v40, v31
	v_add_f32_e32 v5, v18, v5
	v_fma_f32 v0, v40, v30, -v0
	v_fmac_f32_e32 v1, v41, v30
	v_add_f32_e32 v16, v4, v0
	v_add_f32_e32 v18, v5, v1
	v_mul_f32_e32 v0, v41, v33
	v_mul_f32_e32 v1, v40, v33
	v_fma_f32 v0, v40, v32, -v0
	v_fmac_f32_e32 v1, v41, v32
	s_add_i32 s5, s5, 8
	v_add_f32_e32 v8, v6, v0
	v_add_f32_e32 v14, v7, v1
	v_lshl_add_u64 v[10:11], v[10:11], 0, 64
	s_cmp_lt_i32 s5, s9
	v_lshl_add_u64 v[12:13], v[12:13], 0, s[16:17]
	s_barrier
	s_cbranch_scc0 .LBB395_16
.LBB395_8:                              ; =>This Inner Loop Header: Depth=1
	v_add_u32_e32 v0, s5, v21
	v_cmp_le_i32_e32 vcc, s9, v0
	s_or_b64 s[20:21], s[18:19], vcc
	s_and_saveexec_b64 s[24:25], s[20:21]
	s_xor_b64 s[20:21], exec, s[24:25]
; %bb.9:                                ;   in Loop: Header=BB395_8 Depth=1
	ds_write_b32 v23, v9
; %bb.10:                               ;   in Loop: Header=BB395_8 Depth=1
	s_or_saveexec_b64 s[20:21], s[20:21]
	v_mov_b32_e32 v0, 0
	s_xor_b64 exec, exec, s[20:21]
	s_cbranch_execz .LBB395_12
; %bb.11:                               ;   in Loop: Header=BB395_8 Depth=1
	flat_load_dwordx2 v[2:3], v[10:11]
	s_waitcnt vmcnt(0) lgkmcnt(0)
	v_xor_b32_e32 v0, 0x80000000, v3
	ds_write_b32 v23, v2
.LBB395_12:                             ;   in Loop: Header=BB395_8 Depth=1
	s_or_b64 exec, exec, s[20:21]
	ds_write_b32 v23, v0 offset:4
	v_add_u32_e32 v0, s5, v19
	v_cmp_le_i32_e32 vcc, s9, v0
	s_or_b64 s[20:21], vcc, s[2:3]
	s_and_saveexec_b64 s[24:25], s[20:21]
	s_xor_b64 s[20:21], exec, s[24:25]
; %bb.13:                               ;   in Loop: Header=BB395_8 Depth=1
	ds_write_b32 v25, v9
; %bb.14:                               ;   in Loop: Header=BB395_8 Depth=1
	s_or_saveexec_b64 s[20:21], s[20:21]
	v_mov_b32_e32 v0, 0
	s_xor_b64 exec, exec, s[20:21]
	s_cbranch_execz .LBB395_7
; %bb.15:                               ;   in Loop: Header=BB395_8 Depth=1
	flat_load_dwordx2 v[2:3], v[12:13]
	s_waitcnt vmcnt(0) lgkmcnt(0)
	v_xor_b32_e32 v0, 0x80000000, v3
	ds_write_b32 v25, v2
	s_branch .LBB395_7
.LBB395_16:
	s_load_dwordx2 s[2:3], s[0:1], 0x58
	s_load_dword s16, s[0:1], 0x50
	v_add_u32_e32 v0, s4, v15
	v_add_u32_e32 v9, s22, v17
	v_cmp_neq_f32_e64 s[0:1], s6, 0
	s_waitcnt lgkmcnt(0)
	s_lshl_b64 s[2:3], s[2:3], 3
	s_add_u32 s14, s14, s2
	s_addc_u32 s15, s15, s3
	s_xor_b64 s[4:5], s[12:13], -1
	v_mad_i64_i32 v[2:3], s[2:3], v9, s16, 0
	s_or_b64 s[0:1], s[0:1], s[4:5]
	v_lshl_add_u64 v[4:5], v[2:3], 3, s[14:15]
	v_cmp_le_i32_e32 vcc, v9, v0
	v_cmp_gt_i32_e64 s[2:3], s8, v0
	v_cndmask_b32_e64 v2, 0, 1, s[0:1]
	s_and_b64 s[12:13], vcc, s[2:3]
	v_ashrrev_i32_e32 v1, 31, v0
	v_cmp_ne_u32_e64 s[0:1], 1, v2
	s_and_saveexec_b64 s[4:5], s[12:13]
	s_cbranch_execz .LBB395_20
; %bb.17:
	v_pk_mul_f32 v[6:7], v[26:27], s[10:11] op_sel:[0,1] op_sel_hi:[0,0]
	v_pk_fma_f32 v[2:3], v[24:25], s[10:11], v[6:7] op_sel_hi:[0,1,1] neg_lo:[0,0,1] neg_hi:[0,0,1]
	v_pk_fma_f32 v[10:11], v[24:25], s[10:11], v[6:7] op_sel_hi:[0,1,1]
	s_and_b64 vcc, exec, s[0:1]
	v_lshl_add_u64 v[6:7], v[0:1], 3, v[4:5]
	s_cbranch_vccnz .LBB395_19
; %bb.18:
	flat_load_dwordx2 v[12:13], v[6:7]
	s_mov_b32 s12, s7
	v_mov_b32_e32 v3, v11
	s_waitcnt vmcnt(0) lgkmcnt(0)
	v_pk_mul_f32 v[10:11], v[12:13], s[12:13] op_sel:[1,0] op_sel_hi:[0,0]
	v_pk_fma_f32 v[24:25], v[12:13], s[6:7], v[10:11] neg_lo:[0,0,1] neg_hi:[0,0,1]
	v_pk_fma_f32 v[10:11], v[12:13], s[6:7], v[10:11] op_sel_hi:[1,0,1]
	s_nop 0
	v_mov_b32_e32 v25, v11
	v_pk_add_f32 v[2:3], v[2:3], v[24:25]
	s_nop 0
	v_mov_b32_e32 v11, v3
.LBB395_19:
	v_mov_b32_e32 v3, v11
	flat_store_dwordx2 v[6:7], v[2:3]
.LBB395_20:
	s_or_b64 exec, exec, s[4:5]
	v_add_u32_e32 v2, 16, v0
	v_cmp_le_i32_e32 vcc, v9, v2
	v_cmp_gt_i32_e64 s[4:5], s8, v2
	s_and_b64 s[12:13], vcc, s[4:5]
	v_ashrrev_i32_e32 v3, 31, v2
	s_and_saveexec_b64 s[8:9], s[12:13]
	s_cbranch_execz .LBB395_24
; %bb.21:
	v_pk_mul_f32 v[10:11], v[22:23], s[10:11] op_sel:[0,1] op_sel_hi:[0,0]
	v_pk_fma_f32 v[6:7], v[20:21], s[10:11], v[10:11] op_sel_hi:[0,1,1] neg_lo:[0,0,1] neg_hi:[0,0,1]
	v_pk_fma_f32 v[10:11], v[20:21], s[10:11], v[10:11] op_sel_hi:[0,1,1]
	s_and_b64 vcc, exec, s[0:1]
	v_lshl_add_u64 v[4:5], v[2:3], 3, v[4:5]
	s_cbranch_vccnz .LBB395_23
; %bb.22:
	flat_load_dwordx2 v[12:13], v[4:5]
	s_mov_b32 s12, s7
	v_mov_b32_e32 v7, v11
	s_waitcnt vmcnt(0) lgkmcnt(0)
	v_pk_mul_f32 v[10:11], v[12:13], s[12:13] op_sel:[1,0] op_sel_hi:[0,0]
	v_pk_fma_f32 v[20:21], v[12:13], s[6:7], v[10:11] neg_lo:[0,0,1] neg_hi:[0,0,1]
	v_pk_fma_f32 v[10:11], v[12:13], s[6:7], v[10:11] op_sel_hi:[1,0,1]
	s_nop 0
	v_mov_b32_e32 v21, v11
	v_pk_add_f32 v[6:7], v[6:7], v[20:21]
	s_nop 0
	v_mov_b32_e32 v11, v7
.LBB395_23:
	v_mov_b32_e32 v7, v11
	flat_store_dwordx2 v[4:5], v[6:7]
.LBB395_24:
	s_or_b64 exec, exec, s[8:9]
	v_add_u32_e32 v9, 16, v9
	v_mad_i64_i32 v[4:5], s[8:9], v9, s16, 0
	v_cmp_le_i32_e32 vcc, v9, v0
	v_lshl_add_u64 v[4:5], v[4:5], 3, s[14:15]
	s_and_b64 s[8:9], vcc, s[2:3]
	s_and_saveexec_b64 s[2:3], s[8:9]
	s_cbranch_execz .LBB395_28
; %bb.25:
	v_pk_mul_f32 v[10:11], v[18:19], s[10:11] op_sel:[0,1] op_sel_hi:[0,0]
	v_pk_fma_f32 v[6:7], v[16:17], s[10:11], v[10:11] op_sel_hi:[0,1,1] neg_lo:[0,0,1] neg_hi:[0,0,1]
	v_pk_fma_f32 v[10:11], v[16:17], s[10:11], v[10:11] op_sel_hi:[0,1,1]
	s_and_b64 vcc, exec, s[0:1]
	v_lshl_add_u64 v[0:1], v[0:1], 3, v[4:5]
	s_cbranch_vccnz .LBB395_27
; %bb.26:
	flat_load_dwordx2 v[12:13], v[0:1]
	s_mov_b32 s8, s7
	v_mov_b32_e32 v7, v11
	s_waitcnt vmcnt(0) lgkmcnt(0)
	v_pk_mul_f32 v[10:11], v[12:13], s[8:9] op_sel:[1,0] op_sel_hi:[0,0]
	v_pk_fma_f32 v[16:17], v[12:13], s[6:7], v[10:11] neg_lo:[0,0,1] neg_hi:[0,0,1]
	v_pk_fma_f32 v[10:11], v[12:13], s[6:7], v[10:11] op_sel_hi:[1,0,1]
	s_nop 0
	v_mov_b32_e32 v17, v11
	v_pk_add_f32 v[6:7], v[6:7], v[16:17]
	s_nop 0
	v_mov_b32_e32 v11, v7
.LBB395_27:
	v_mov_b32_e32 v7, v11
	flat_store_dwordx2 v[0:1], v[6:7]
.LBB395_28:
	s_or_b64 exec, exec, s[2:3]
	v_cmp_le_i32_e32 vcc, v9, v2
	s_and_b64 s[2:3], vcc, s[4:5]
	s_and_saveexec_b64 s[4:5], s[2:3]
	s_cbranch_execz .LBB395_32
; %bb.29:
	v_pk_mul_f32 v[6:7], v[14:15], s[10:11] op_sel:[0,1] op_sel_hi:[0,0]
	v_pk_fma_f32 v[0:1], v[8:9], s[10:11], v[6:7] op_sel_hi:[0,1,1] neg_lo:[0,0,1] neg_hi:[0,0,1]
	v_pk_fma_f32 v[6:7], v[8:9], s[10:11], v[6:7] op_sel_hi:[0,1,1]
	s_and_b64 vcc, exec, s[0:1]
	v_lshl_add_u64 v[2:3], v[2:3], 3, v[4:5]
	s_cbranch_vccnz .LBB395_31
; %bb.30:
	flat_load_dwordx2 v[4:5], v[2:3]
	s_mov_b32 s0, s7
	v_mov_b32_e32 v1, v7
	s_waitcnt vmcnt(0) lgkmcnt(0)
	v_pk_mul_f32 v[6:7], v[4:5], s[0:1] op_sel:[1,0] op_sel_hi:[0,0]
	v_pk_fma_f32 v[8:9], v[4:5], s[6:7], v[6:7] neg_lo:[0,0,1] neg_hi:[0,0,1]
	v_pk_fma_f32 v[4:5], v[4:5], s[6:7], v[6:7] op_sel_hi:[1,0,1]
	s_nop 0
	v_mov_b32_e32 v9, v5
	v_pk_add_f32 v[0:1], v[0:1], v[8:9]
	s_nop 0
	v_mov_b32_e32 v7, v1
.LBB395_31:
	v_mov_b32_e32 v1, v7
	flat_store_dwordx2 v[2:3], v[0:1]
.LBB395_32:
	s_endpgm
	.section	.rodata,"a",@progbits
	.p2align	6, 0x0
	.amdhsa_kernel _ZL29rocblas_internal_gemmt_kernelIiLi16ELi32ELi8ELc67ELc67ELc76ELb1ELb1E19rocblas_complex_numIfES1_PKPKS1_PKPS1_EviT_T9_T10_S9_lSB_S9_lSA_T11_S9_li
		.amdhsa_group_segment_fixed_size 4096
		.amdhsa_private_segment_fixed_size 0
		.amdhsa_kernarg_size 100
		.amdhsa_user_sgpr_count 2
		.amdhsa_user_sgpr_dispatch_ptr 0
		.amdhsa_user_sgpr_queue_ptr 0
		.amdhsa_user_sgpr_kernarg_segment_ptr 1
		.amdhsa_user_sgpr_dispatch_id 0
		.amdhsa_user_sgpr_kernarg_preload_length 0
		.amdhsa_user_sgpr_kernarg_preload_offset 0
		.amdhsa_user_sgpr_private_segment_size 0
		.amdhsa_uses_dynamic_stack 0
		.amdhsa_enable_private_segment 0
		.amdhsa_system_sgpr_workgroup_id_x 1
		.amdhsa_system_sgpr_workgroup_id_y 1
		.amdhsa_system_sgpr_workgroup_id_z 1
		.amdhsa_system_sgpr_workgroup_info 0
		.amdhsa_system_vgpr_workitem_id 1
		.amdhsa_next_free_vgpr 54
		.amdhsa_next_free_sgpr 30
		.amdhsa_accum_offset 56
		.amdhsa_reserve_vcc 1
		.amdhsa_float_round_mode_32 0
		.amdhsa_float_round_mode_16_64 0
		.amdhsa_float_denorm_mode_32 3
		.amdhsa_float_denorm_mode_16_64 3
		.amdhsa_dx10_clamp 1
		.amdhsa_ieee_mode 1
		.amdhsa_fp16_overflow 0
		.amdhsa_tg_split 0
		.amdhsa_exception_fp_ieee_invalid_op 0
		.amdhsa_exception_fp_denorm_src 0
		.amdhsa_exception_fp_ieee_div_zero 0
		.amdhsa_exception_fp_ieee_overflow 0
		.amdhsa_exception_fp_ieee_underflow 0
		.amdhsa_exception_fp_ieee_inexact 0
		.amdhsa_exception_int_div_zero 0
	.end_amdhsa_kernel
	.section	.text._ZL29rocblas_internal_gemmt_kernelIiLi16ELi32ELi8ELc67ELc67ELc76ELb1ELb1E19rocblas_complex_numIfES1_PKPKS1_PKPS1_EviT_T9_T10_S9_lSB_S9_lSA_T11_S9_li,"axG",@progbits,_ZL29rocblas_internal_gemmt_kernelIiLi16ELi32ELi8ELc67ELc67ELc76ELb1ELb1E19rocblas_complex_numIfES1_PKPKS1_PKPS1_EviT_T9_T10_S9_lSB_S9_lSA_T11_S9_li,comdat
.Lfunc_end395:
	.size	_ZL29rocblas_internal_gemmt_kernelIiLi16ELi32ELi8ELc67ELc67ELc76ELb1ELb1E19rocblas_complex_numIfES1_PKPKS1_PKPS1_EviT_T9_T10_S9_lSB_S9_lSA_T11_S9_li, .Lfunc_end395-_ZL29rocblas_internal_gemmt_kernelIiLi16ELi32ELi8ELc67ELc67ELc76ELb1ELb1E19rocblas_complex_numIfES1_PKPKS1_PKPS1_EviT_T9_T10_S9_lSB_S9_lSA_T11_S9_li
                                        ; -- End function
	.set _ZL29rocblas_internal_gemmt_kernelIiLi16ELi32ELi8ELc67ELc67ELc76ELb1ELb1E19rocblas_complex_numIfES1_PKPKS1_PKPS1_EviT_T9_T10_S9_lSB_S9_lSA_T11_S9_li.num_vgpr, 54
	.set _ZL29rocblas_internal_gemmt_kernelIiLi16ELi32ELi8ELc67ELc67ELc76ELb1ELb1E19rocblas_complex_numIfES1_PKPKS1_PKPS1_EviT_T9_T10_S9_lSB_S9_lSA_T11_S9_li.num_agpr, 0
	.set _ZL29rocblas_internal_gemmt_kernelIiLi16ELi32ELi8ELc67ELc67ELc76ELb1ELb1E19rocblas_complex_numIfES1_PKPKS1_PKPS1_EviT_T9_T10_S9_lSB_S9_lSA_T11_S9_li.numbered_sgpr, 30
	.set _ZL29rocblas_internal_gemmt_kernelIiLi16ELi32ELi8ELc67ELc67ELc76ELb1ELb1E19rocblas_complex_numIfES1_PKPKS1_PKPS1_EviT_T9_T10_S9_lSB_S9_lSA_T11_S9_li.num_named_barrier, 0
	.set _ZL29rocblas_internal_gemmt_kernelIiLi16ELi32ELi8ELc67ELc67ELc76ELb1ELb1E19rocblas_complex_numIfES1_PKPKS1_PKPS1_EviT_T9_T10_S9_lSB_S9_lSA_T11_S9_li.private_seg_size, 0
	.set _ZL29rocblas_internal_gemmt_kernelIiLi16ELi32ELi8ELc67ELc67ELc76ELb1ELb1E19rocblas_complex_numIfES1_PKPKS1_PKPS1_EviT_T9_T10_S9_lSB_S9_lSA_T11_S9_li.uses_vcc, 1
	.set _ZL29rocblas_internal_gemmt_kernelIiLi16ELi32ELi8ELc67ELc67ELc76ELb1ELb1E19rocblas_complex_numIfES1_PKPKS1_PKPS1_EviT_T9_T10_S9_lSB_S9_lSA_T11_S9_li.uses_flat_scratch, 0
	.set _ZL29rocblas_internal_gemmt_kernelIiLi16ELi32ELi8ELc67ELc67ELc76ELb1ELb1E19rocblas_complex_numIfES1_PKPKS1_PKPS1_EviT_T9_T10_S9_lSB_S9_lSA_T11_S9_li.has_dyn_sized_stack, 0
	.set _ZL29rocblas_internal_gemmt_kernelIiLi16ELi32ELi8ELc67ELc67ELc76ELb1ELb1E19rocblas_complex_numIfES1_PKPKS1_PKPS1_EviT_T9_T10_S9_lSB_S9_lSA_T11_S9_li.has_recursion, 0
	.set _ZL29rocblas_internal_gemmt_kernelIiLi16ELi32ELi8ELc67ELc67ELc76ELb1ELb1E19rocblas_complex_numIfES1_PKPKS1_PKPS1_EviT_T9_T10_S9_lSB_S9_lSA_T11_S9_li.has_indirect_call, 0
	.section	.AMDGPU.csdata,"",@progbits
; Kernel info:
; codeLenInByte = 2528
; TotalNumSgprs: 36
; NumVgprs: 54
; NumAgprs: 0
; TotalNumVgprs: 54
; ScratchSize: 0
; MemoryBound: 0
; FloatMode: 240
; IeeeMode: 1
; LDSByteSize: 4096 bytes/workgroup (compile time only)
; SGPRBlocks: 4
; VGPRBlocks: 6
; NumSGPRsForWavesPerEU: 36
; NumVGPRsForWavesPerEU: 54
; AccumOffset: 56
; Occupancy: 8
; WaveLimiterHint : 1
; COMPUTE_PGM_RSRC2:SCRATCH_EN: 0
; COMPUTE_PGM_RSRC2:USER_SGPR: 2
; COMPUTE_PGM_RSRC2:TRAP_HANDLER: 0
; COMPUTE_PGM_RSRC2:TGID_X_EN: 1
; COMPUTE_PGM_RSRC2:TGID_Y_EN: 1
; COMPUTE_PGM_RSRC2:TGID_Z_EN: 1
; COMPUTE_PGM_RSRC2:TIDIG_COMP_CNT: 1
; COMPUTE_PGM_RSRC3_GFX90A:ACCUM_OFFSET: 13
; COMPUTE_PGM_RSRC3_GFX90A:TG_SPLIT: 0
	.section	.text._ZL29rocblas_internal_gemmt_kernelIiLi16ELi32ELi8ELc78ELc78ELc85ELb0ELb0E19rocblas_complex_numIdEPKS1_PKS3_PKPS1_EviT_T9_T10_S9_lSB_S9_lSA_T11_S9_li,"axG",@progbits,_ZL29rocblas_internal_gemmt_kernelIiLi16ELi32ELi8ELc78ELc78ELc85ELb0ELb0E19rocblas_complex_numIdEPKS1_PKS3_PKPS1_EviT_T9_T10_S9_lSB_S9_lSA_T11_S9_li,comdat
	.globl	_ZL29rocblas_internal_gemmt_kernelIiLi16ELi32ELi8ELc78ELc78ELc85ELb0ELb0E19rocblas_complex_numIdEPKS1_PKS3_PKPS1_EviT_T9_T10_S9_lSB_S9_lSA_T11_S9_li ; -- Begin function _ZL29rocblas_internal_gemmt_kernelIiLi16ELi32ELi8ELc78ELc78ELc85ELb0ELb0E19rocblas_complex_numIdEPKS1_PKS3_PKPS1_EviT_T9_T10_S9_lSB_S9_lSA_T11_S9_li
	.p2align	8
	.type	_ZL29rocblas_internal_gemmt_kernelIiLi16ELi32ELi8ELc78ELc78ELc85ELb0ELb0E19rocblas_complex_numIdEPKS1_PKS3_PKPS1_EviT_T9_T10_S9_lSB_S9_lSA_T11_S9_li,@function
_ZL29rocblas_internal_gemmt_kernelIiLi16ELi32ELi8ELc78ELc78ELc85ELb0ELb0E19rocblas_complex_numIdEPKS1_PKS3_PKPS1_EviT_T9_T10_S9_lSB_S9_lSA_T11_S9_li: ; @_ZL29rocblas_internal_gemmt_kernelIiLi16ELi32ELi8ELc78ELc78ELc85ELb0ELb0E19rocblas_complex_numIdEPKS1_PKS3_PKPS1_EviT_T9_T10_S9_lSB_S9_lSA_T11_S9_li
; %bb.0:
	s_load_dwordx4 s[16:19], s[0:1], 0x38
	s_load_dwordx4 s[20:23], s[0:1], 0x8
	s_mov_b64 s[24:25], 0
	s_waitcnt lgkmcnt(0)
	s_load_dwordx4 s[8:11], s[18:19], 0x0
	s_load_dwordx2 s[6:7], s[0:1], 0x0
	s_load_dwordx4 s[12:15], s[20:21], 0x0
	s_waitcnt lgkmcnt(0)
	v_cmp_eq_f64_e64 s[20:21], s[8:9], 1.0
	v_cmp_eq_f64_e64 s[18:19], s[10:11], 0
	s_and_b64 s[20:21], s[20:21], s[18:19]
	s_andn2_b64 vcc, exec, s[20:21]
	s_mov_b64 s[20:21], -1
	s_cbranch_vccnz .LBB396_4
; %bb.1:
	s_cmp_lg_u32 s7, 0
	s_cbranch_scc0 .LBB396_3
; %bb.2:
	v_cmp_neq_f64_e64 s[20:21], s[12:13], 0
	v_cmp_neq_f64_e64 s[24:25], s[14:15], 0
	s_or_b64 s[24:25], s[20:21], s[24:25]
.LBB396_3:
	s_mov_b64 s[20:21], s[24:25]
.LBB396_4:
	s_and_b64 vcc, exec, s[20:21]
	s_cbranch_vccz .LBB396_32
; %bb.5:
	s_load_dwordx2 s[20:21], s[0:1], 0x48
	s_mov_b32 s5, 0
	s_lshl_b64 s[24:25], s[4:5], 3
	v_cmp_eq_f64_e64 s[26:27], s[14:15], 0
	v_and_b32_e32 v24, 0x3ff, v0
	s_waitcnt lgkmcnt(0)
	s_add_u32 s20, s20, s24
	s_addc_u32 s21, s21, s25
	s_lshl_b32 s4, s2, 5
	s_lshl_b32 s28, s3, 5
	v_cmp_eq_f64_e64 s[2:3], s[12:13], 0
	s_load_dwordx2 s[20:21], s[20:21], 0x0
	s_and_b64 s[2:3], s[2:3], s[26:27]
	s_cmp_lt_i32 s7, 1
	s_cselect_b64 s[26:27], -1, 0
	s_or_b64 s[2:3], s[2:3], s[26:27]
	v_bfe_u32 v25, v0, 10, 10
	v_mov_b64_e32 v[20:21], 0
	s_and_b64 vcc, exec, s[2:3]
	v_mov_b64_e32 v[22:23], 0
	v_mov_b64_e32 v[16:17], 0
	;; [unrolled: 1-line block ×7, first 2 shown]
	s_cbranch_vccnz .LBB396_16
; %bb.6:
	s_load_dword s26, s[0:1], 0x18
	s_load_dwordx4 s[36:39], s[0:1], 0x20
	s_load_dword s29, s[0:1], 0x30
	v_lshl_add_u32 v0, v25, 4, v24
	v_lshrrev_b32_e32 v27, 5, v0
	v_and_b32_e32 v4, 31, v0
	s_waitcnt lgkmcnt(0)
	s_ashr_i32 s27, s26, 31
	s_add_u32 s2, s38, s24
	s_addc_u32 s3, s39, s25
	s_load_dwordx2 s[30:31], s[2:3], 0x0
	s_add_u32 s2, s22, s24
	s_addc_u32 s3, s23, s25
	s_load_dwordx2 s[22:23], s[2:3], 0x0
	v_lshrrev_b32_e32 v1, 3, v0
	v_or_b32_e32 v0, s4, v4
	v_mad_i64_i32 v[2:3], s[24:25], v27, s26, 0
	v_and_b32_e32 v26, 7, v24
	v_cmp_gt_i32_e32 vcc, s6, v0
	v_lshlrev_b32_e32 v0, 4, v4
	s_lshl_b64 s[24:25], s[36:37], 4
	v_add_u32_e32 v4, s4, v4
	v_lshl_or_b32 v28, v27, 9, v0
	v_lshlrev_b32_e32 v0, 4, v26
	v_lshl_add_u64 v[2:3], v[2:3], 4, s[24:25]
	v_ashrrev_i32_e32 v5, 31, v4
	v_add_u32_e32 v6, s28, v1
	v_lshl_or_b32 v1, v1, 7, v0
	v_lshl_add_u64 v[2:3], v[4:5], 4, v[2:3]
	v_add_u32_e32 v29, 0x1000, v1
	v_mov_b32_e32 v1, 0x1000
	s_waitcnt lgkmcnt(0)
	v_lshl_add_u64 v[4:5], s[22:23], 0, v[2:3]
	v_mad_i64_i32 v[2:3], s[24:25], s29, v6, 0
	s_lshl_b64 s[16:17], s[16:17], 4
	v_lshl_add_u32 v31, v25, 7, v1
	v_lshl_add_u64 v[2:3], v[2:3], 4, s[16:17]
	v_mov_b32_e32 v1, 0
	v_cmp_gt_i32_e64 s[2:3], s6, v6
	v_lshl_add_u64 v[2:3], v[2:3], 0, v[0:1]
	v_lshlrev_b32_e32 v30, 4, v24
	s_lshl_b64 s[22:23], s[26:27], 7
	v_lshl_add_u64 v[6:7], s[30:31], 0, v[2:3]
	v_mov_b64_e32 v[8:9], 0
	s_xor_b64 s[16:17], vcc, -1
	s_xor_b64 s[2:3], s[2:3], -1
	s_mov_b64 s[24:25], 0x80
	v_mov_b32_e32 v0, v1
	v_mov_b32_e32 v2, v1
	;; [unrolled: 1-line block ×3, first 2 shown]
	v_mov_b64_e32 v[10:11], 0
	v_mov_b64_e32 v[14:15], 0
	;; [unrolled: 1-line block ×7, first 2 shown]
	s_branch .LBB396_8
.LBB396_7:                              ;   in Loop: Header=BB396_8 Depth=1
	s_or_b64 exec, exec, s[26:27]
	s_waitcnt lgkmcnt(0)
	s_barrier
	ds_read_b128 v[32:35], v30
	ds_read_b128 v[36:39], v31
	ds_read_b128 v[40:43], v31 offset:16
	ds_read_b128 v[44:47], v31 offset:32
	;; [unrolled: 1-line block ×4, first 2 shown]
	s_waitcnt lgkmcnt(4)
	v_mul_f64 v[56:57], v[38:39], v[34:35]
	v_fma_f64 v[56:57], v[36:37], v[32:33], -v[56:57]
	v_mul_f64 v[58:59], v[36:37], v[34:35]
	v_fmac_f64_e32 v[58:59], v[38:39], v[32:33]
	v_add_f64 v[56:57], v[20:21], v[56:57]
	s_waitcnt lgkmcnt(0)
	v_mul_f64 v[20:21], v[38:39], v[54:55]
	v_add_f64 v[58:59], v[58:59], v[22:23]
	v_fma_f64 v[60:61], v[36:37], v[52:53], -v[20:21]
	ds_read_b128 v[20:23], v31 offset:2048
	v_mul_f64 v[36:37], v[36:37], v[54:55]
	v_fmac_f64_e32 v[36:37], v[38:39], v[52:53]
	v_add_f64 v[38:39], v[16:17], v[60:61]
	v_add_f64 v[36:37], v[36:37], v[18:19]
	ds_read_b128 v[16:19], v31 offset:2064
	s_waitcnt lgkmcnt(1)
	v_mul_f64 v[60:61], v[22:23], v[34:35]
	v_fma_f64 v[60:61], v[20:21], v[32:33], -v[60:61]
	v_mul_f64 v[34:35], v[20:21], v[34:35]
	v_fmac_f64_e32 v[34:35], v[22:23], v[32:33]
	v_add_f64 v[32:33], v[12:13], v[60:61]
	v_mul_f64 v[12:13], v[22:23], v[54:55]
	v_add_f64 v[34:35], v[34:35], v[14:15]
	v_fma_f64 v[60:61], v[20:21], v[52:53], -v[12:13]
	v_mul_f64 v[20:21], v[20:21], v[54:55]
	ds_read_b128 v[12:15], v30 offset:512
	v_fmac_f64_e32 v[20:21], v[22:23], v[52:53]
	v_add_f64 v[22:23], v[10:11], v[60:61]
	v_add_f64 v[20:21], v[20:21], v[8:9]
	ds_read_b128 v[8:11], v30 offset:768
	s_waitcnt lgkmcnt(1)
	v_mul_f64 v[52:53], v[42:43], v[14:15]
	v_fma_f64 v[52:53], v[40:41], v[12:13], -v[52:53]
	v_add_f64 v[52:53], v[56:57], v[52:53]
	v_mul_f64 v[54:55], v[40:41], v[14:15]
	s_waitcnt lgkmcnt(0)
	v_mul_f64 v[56:57], v[42:43], v[10:11]
	v_fma_f64 v[56:57], v[40:41], v[8:9], -v[56:57]
	v_mul_f64 v[40:41], v[40:41], v[10:11]
	v_fmac_f64_e32 v[40:41], v[42:43], v[8:9]
	v_add_f64 v[36:37], v[40:41], v[36:37]
	v_mul_f64 v[40:41], v[18:19], v[14:15]
	v_mul_f64 v[14:15], v[16:17], v[14:15]
	v_fmac_f64_e32 v[54:55], v[42:43], v[12:13]
	v_fma_f64 v[40:41], v[16:17], v[12:13], -v[40:41]
	v_fmac_f64_e32 v[14:15], v[18:19], v[12:13]
	v_mul_f64 v[12:13], v[18:19], v[10:11]
	v_add_f64 v[42:43], v[14:15], v[34:35]
	v_fma_f64 v[14:15], v[16:17], v[8:9], -v[12:13]
	v_mul_f64 v[16:17], v[16:17], v[10:11]
	ds_read_b128 v[10:13], v30 offset:1024
	v_fmac_f64_e32 v[16:17], v[18:19], v[8:9]
	v_add_f64 v[38:39], v[38:39], v[56:57]
	v_add_f64 v[22:23], v[22:23], v[14:15]
	;; [unrolled: 1-line block ×3, first 2 shown]
	ds_read_b128 v[14:17], v30 offset:1280
	s_waitcnt lgkmcnt(1)
	v_mul_f64 v[18:19], v[44:45], v[12:13]
	v_add_f64 v[54:55], v[54:55], v[58:59]
	v_fmac_f64_e32 v[18:19], v[46:47], v[10:11]
	v_add_f64 v[54:55], v[18:19], v[54:55]
	ds_read_b128 v[18:21], v31 offset:2080
	v_mul_f64 v[8:9], v[46:47], v[12:13]
	v_fma_f64 v[8:9], v[44:45], v[10:11], -v[8:9]
	v_add_f64 v[40:41], v[32:33], v[40:41]
	v_add_f64 v[52:53], v[52:53], v[8:9]
	s_waitcnt lgkmcnt(1)
	v_mul_f64 v[8:9], v[46:47], v[16:17]
	v_mul_f64 v[32:33], v[44:45], v[16:17]
	v_fma_f64 v[8:9], v[44:45], v[14:15], -v[8:9]
	v_fmac_f64_e32 v[32:33], v[46:47], v[14:15]
	v_add_f64 v[38:39], v[38:39], v[8:9]
	v_add_f64 v[36:37], v[32:33], v[36:37]
	ds_read_b128 v[32:35], v31 offset:2096
	s_waitcnt lgkmcnt(1)
	v_mul_f64 v[8:9], v[20:21], v[12:13]
	v_fma_f64 v[8:9], v[18:19], v[10:11], -v[8:9]
	v_mul_f64 v[12:13], v[18:19], v[12:13]
	v_fmac_f64_e32 v[12:13], v[20:21], v[10:11]
	v_add_f64 v[40:41], v[40:41], v[8:9]
	v_mul_f64 v[8:9], v[20:21], v[16:17]
	v_add_f64 v[42:43], v[12:13], v[42:43]
	v_fma_f64 v[12:13], v[18:19], v[14:15], -v[8:9]
	ds_read_b128 v[8:11], v30 offset:1536
	v_mul_f64 v[16:17], v[18:19], v[16:17]
	v_fmac_f64_e32 v[16:17], v[20:21], v[14:15]
	v_add_f64 v[18:19], v[22:23], v[12:13]
	ds_read_b128 v[12:15], v30 offset:1792
	s_waitcnt lgkmcnt(1)
	v_mul_f64 v[20:21], v[50:51], v[10:11]
	v_fma_f64 v[20:21], v[48:49], v[8:9], -v[20:21]
	v_mul_f64 v[22:23], v[48:49], v[10:11]
	v_fmac_f64_e32 v[22:23], v[50:51], v[8:9]
	v_add_f64 v[44:45], v[52:53], v[20:21]
	s_waitcnt lgkmcnt(0)
	v_mul_f64 v[20:21], v[50:51], v[14:15]
	v_add_f64 v[46:47], v[22:23], v[54:55]
	v_fma_f64 v[20:21], v[48:49], v[12:13], -v[20:21]
	v_mul_f64 v[22:23], v[48:49], v[14:15]
	v_fmac_f64_e32 v[22:23], v[50:51], v[12:13]
	v_add_f64 v[38:39], v[38:39], v[20:21]
	v_mul_f64 v[20:21], v[34:35], v[10:11]
	v_mul_f64 v[10:11], v[32:33], v[10:11]
	v_add_f64 v[36:37], v[22:23], v[36:37]
	v_fma_f64 v[20:21], v[32:33], v[8:9], -v[20:21]
	v_fmac_f64_e32 v[10:11], v[34:35], v[8:9]
	v_mul_f64 v[8:9], v[34:35], v[14:15]
	v_mul_f64 v[22:23], v[32:33], v[14:15]
	v_add_f64 v[40:41], v[40:41], v[20:21]
	v_add_f64 v[42:43], v[10:11], v[42:43]
	v_fma_f64 v[20:21], v[32:33], v[12:13], -v[8:9]
	v_fmac_f64_e32 v[22:23], v[34:35], v[12:13]
	ds_read_b128 v[8:11], v31 offset:64
	ds_read_b128 v[12:15], v30 offset:2048
	v_add_f64 v[16:17], v[16:17], v[56:57]
	v_add_f64 v[48:49], v[18:19], v[20:21]
	;; [unrolled: 1-line block ×3, first 2 shown]
	ds_read_b128 v[16:19], v30 offset:2304
	ds_read_b128 v[20:23], v31 offset:80
	s_waitcnt lgkmcnt(2)
	v_mul_f64 v[32:33], v[10:11], v[14:15]
	v_fma_f64 v[32:33], v[8:9], v[12:13], -v[32:33]
	v_mul_f64 v[34:35], v[8:9], v[14:15]
	v_fmac_f64_e32 v[34:35], v[10:11], v[12:13]
	v_add_f64 v[44:45], v[44:45], v[32:33]
	s_waitcnt lgkmcnt(1)
	v_mul_f64 v[32:33], v[10:11], v[18:19]
	v_add_f64 v[46:47], v[34:35], v[46:47]
	v_fma_f64 v[52:53], v[8:9], v[16:17], -v[32:33]
	ds_read_b128 v[32:35], v31 offset:2112
	v_mul_f64 v[8:9], v[8:9], v[18:19]
	v_fmac_f64_e32 v[8:9], v[10:11], v[16:17]
	v_add_f64 v[38:39], v[38:39], v[52:53]
	v_add_f64 v[36:37], v[8:9], v[36:37]
	ds_read_b128 v[8:11], v31 offset:2128
	s_waitcnt lgkmcnt(1)
	v_mul_f64 v[52:53], v[34:35], v[14:15]
	v_mul_f64 v[14:15], v[32:33], v[14:15]
	v_fma_f64 v[52:53], v[32:33], v[12:13], -v[52:53]
	v_fmac_f64_e32 v[14:15], v[34:35], v[12:13]
	v_mul_f64 v[12:13], v[34:35], v[18:19]
	v_add_f64 v[40:41], v[40:41], v[52:53]
	v_add_f64 v[42:43], v[14:15], v[42:43]
	v_fma_f64 v[52:53], v[32:33], v[16:17], -v[12:13]
	v_mul_f64 v[18:19], v[32:33], v[18:19]
	ds_read_b128 v[12:15], v30 offset:2560
	v_fmac_f64_e32 v[18:19], v[34:35], v[16:17]
	v_add_f64 v[34:35], v[18:19], v[50:51]
	ds_read_b128 v[16:19], v30 offset:2816
	v_add_f64 v[32:33], v[48:49], v[52:53]
	s_waitcnt lgkmcnt(1)
	v_mul_f64 v[48:49], v[22:23], v[14:15]
	v_fma_f64 v[48:49], v[20:21], v[12:13], -v[48:49]
	v_add_f64 v[44:45], v[44:45], v[48:49]
	s_waitcnt lgkmcnt(0)
	v_mul_f64 v[48:49], v[22:23], v[18:19]
	v_mul_f64 v[50:51], v[20:21], v[14:15]
	v_fma_f64 v[48:49], v[20:21], v[16:17], -v[48:49]
	v_mul_f64 v[20:21], v[20:21], v[18:19]
	v_fmac_f64_e32 v[20:21], v[22:23], v[16:17]
	v_add_f64 v[36:37], v[20:21], v[36:37]
	v_mul_f64 v[20:21], v[10:11], v[14:15]
	v_mul_f64 v[14:15], v[8:9], v[14:15]
	v_fmac_f64_e32 v[50:51], v[22:23], v[12:13]
	v_fma_f64 v[20:21], v[8:9], v[12:13], -v[20:21]
	v_fmac_f64_e32 v[14:15], v[10:11], v[12:13]
	v_mul_f64 v[12:13], v[10:11], v[18:19]
	v_mul_f64 v[18:19], v[8:9], v[18:19]
	v_add_f64 v[40:41], v[40:41], v[20:21]
	v_add_f64 v[42:43], v[14:15], v[42:43]
	v_fma_f64 v[20:21], v[8:9], v[16:17], -v[12:13]
	v_fmac_f64_e32 v[18:19], v[10:11], v[16:17]
	ds_read_b128 v[8:11], v31 offset:96
	ds_read_b128 v[12:15], v30 offset:3072
	v_add_f64 v[46:47], v[50:51], v[46:47]
	v_add_f64 v[38:39], v[38:39], v[48:49]
	;; [unrolled: 1-line block ×4, first 2 shown]
	ds_read_b128 v[16:19], v30 offset:3328
	ds_read_b128 v[32:35], v31 offset:112
	s_waitcnt lgkmcnt(2)
	v_mul_f64 v[20:21], v[10:11], v[14:15]
	v_fma_f64 v[20:21], v[8:9], v[12:13], -v[20:21]
	v_mul_f64 v[22:23], v[8:9], v[14:15]
	v_fmac_f64_e32 v[22:23], v[10:11], v[12:13]
	v_add_f64 v[44:45], v[44:45], v[20:21]
	s_waitcnt lgkmcnt(1)
	v_mul_f64 v[20:21], v[10:11], v[18:19]
	v_add_f64 v[46:47], v[22:23], v[46:47]
	v_fma_f64 v[52:53], v[8:9], v[16:17], -v[20:21]
	ds_read_b128 v[20:23], v31 offset:2144
	v_mul_f64 v[8:9], v[8:9], v[18:19]
	v_fmac_f64_e32 v[8:9], v[10:11], v[16:17]
	v_add_f64 v[54:55], v[8:9], v[36:37]
	ds_read_b128 v[8:11], v31 offset:2160
	s_waitcnt lgkmcnt(1)
	v_mul_f64 v[36:37], v[22:23], v[14:15]
	v_mul_f64 v[14:15], v[20:21], v[14:15]
	v_fma_f64 v[36:37], v[20:21], v[12:13], -v[36:37]
	v_fmac_f64_e32 v[14:15], v[22:23], v[12:13]
	v_mul_f64 v[12:13], v[22:23], v[18:19]
	v_add_f64 v[40:41], v[40:41], v[36:37]
	v_add_f64 v[42:43], v[14:15], v[42:43]
	v_fma_f64 v[36:37], v[20:21], v[16:17], -v[12:13]
	ds_read_b128 v[12:15], v30 offset:3584
	v_add_f64 v[52:53], v[38:39], v[52:53]
	v_add_f64 v[48:49], v[48:49], v[36:37]
	ds_read_b128 v[36:39], v30 offset:3840
	v_mul_f64 v[18:19], v[20:21], v[18:19]
	v_fmac_f64_e32 v[18:19], v[22:23], v[16:17]
	s_waitcnt lgkmcnt(1)
	v_mul_f64 v[16:17], v[34:35], v[14:15]
	v_add_f64 v[50:51], v[18:19], v[50:51]
	v_fma_f64 v[16:17], v[32:33], v[12:13], -v[16:17]
	v_mul_f64 v[18:19], v[32:33], v[14:15]
	v_fmac_f64_e32 v[18:19], v[34:35], v[12:13]
	v_add_f64 v[20:21], v[44:45], v[16:17]
	s_waitcnt lgkmcnt(0)
	v_mul_f64 v[16:17], v[34:35], v[38:39]
	v_add_f64 v[22:23], v[18:19], v[46:47]
	v_fma_f64 v[16:17], v[32:33], v[36:37], -v[16:17]
	v_mul_f64 v[18:19], v[32:33], v[38:39]
	v_mul_f64 v[32:33], v[10:11], v[14:15]
	v_fma_f64 v[32:33], v[8:9], v[12:13], -v[32:33]
	v_mul_f64 v[14:15], v[8:9], v[14:15]
	v_fmac_f64_e32 v[14:15], v[10:11], v[12:13]
	v_add_f64 v[12:13], v[40:41], v[32:33]
	v_mul_f64 v[32:33], v[10:11], v[38:39]
	v_fma_f64 v[32:33], v[8:9], v[36:37], -v[32:33]
	v_mul_f64 v[8:9], v[8:9], v[38:39]
	v_fmac_f64_e32 v[18:19], v[34:35], v[36:37]
	v_fmac_f64_e32 v[8:9], v[10:11], v[36:37]
	s_add_i32 s5, s5, 8
	v_add_f64 v[16:17], v[52:53], v[16:17]
	v_add_f64 v[18:19], v[18:19], v[54:55]
	;; [unrolled: 1-line block ×5, first 2 shown]
	v_lshl_add_u64 v[4:5], v[4:5], 0, s[22:23]
	s_cmp_lt_i32 s5, s7
	v_lshl_add_u64 v[6:7], v[6:7], 0, s[24:25]
	s_barrier
	s_cbranch_scc0 .LBB396_16
.LBB396_8:                              ; =>This Inner Loop Header: Depth=1
	v_add_u32_e32 v32, s5, v27
	v_cmp_le_i32_e32 vcc, s7, v32
	s_or_b64 s[26:27], s[16:17], vcc
	s_and_saveexec_b64 s[30:31], s[26:27]
	s_xor_b64 s[26:27], exec, s[30:31]
; %bb.9:                                ;   in Loop: Header=BB396_8 Depth=1
	ds_write_b128 v28, v[0:3]
; %bb.10:                               ;   in Loop: Header=BB396_8 Depth=1
	s_andn2_saveexec_b64 s[26:27], s[26:27]
	s_cbranch_execz .LBB396_12
; %bb.11:                               ;   in Loop: Header=BB396_8 Depth=1
	flat_load_dwordx4 v[32:35], v[4:5]
	s_waitcnt vmcnt(0) lgkmcnt(0)
	ds_write2_b64 v28, v[32:33], v[34:35] offset1:1
.LBB396_12:                             ;   in Loop: Header=BB396_8 Depth=1
	s_or_b64 exec, exec, s[26:27]
	v_add_u32_e32 v32, s5, v26
	v_cmp_le_i32_e32 vcc, s7, v32
	s_or_b64 s[26:27], vcc, s[2:3]
	s_and_saveexec_b64 s[30:31], s[26:27]
	s_xor_b64 s[26:27], exec, s[30:31]
; %bb.13:                               ;   in Loop: Header=BB396_8 Depth=1
	ds_write_b128 v29, v[0:3]
; %bb.14:                               ;   in Loop: Header=BB396_8 Depth=1
	s_andn2_saveexec_b64 s[26:27], s[26:27]
	s_cbranch_execz .LBB396_7
; %bb.15:                               ;   in Loop: Header=BB396_8 Depth=1
	flat_load_dwordx4 v[32:35], v[6:7]
	s_waitcnt vmcnt(0) lgkmcnt(0)
	ds_write2_b64 v29, v[32:33], v[34:35] offset1:1
	s_branch .LBB396_7
.LBB396_16:
	s_load_dwordx2 s[2:3], s[0:1], 0x58
	s_load_dword s7, s[0:1], 0x50
	v_add_u32_e32 v4, s4, v24
	v_add_u32_e32 v26, s28, v25
	v_cmp_neq_f64_e64 s[0:1], s[8:9], 0
	s_waitcnt lgkmcnt(0)
	s_lshl_b64 s[2:3], s[2:3], 4
	s_add_u32 s4, s20, s2
	s_addc_u32 s5, s21, s3
	s_xor_b64 s[16:17], s[18:19], -1
	v_mad_i64_i32 v[0:1], s[18:19], v26, s7, 0
	s_or_b64 s[0:1], s[0:1], s[16:17]
	v_cmp_gt_i32_e64 s[2:3], s6, v26
	v_lshl_add_u64 v[24:25], v[0:1], 4, s[4:5]
	v_cmp_le_i32_e32 vcc, v4, v26
	v_cndmask_b32_e64 v0, 0, 1, s[0:1]
	s_and_b64 s[18:19], s[2:3], vcc
	v_ashrrev_i32_e32 v5, 31, v4
	v_cmp_ne_u32_e64 s[0:1], 1, v0
	s_and_saveexec_b64 s[16:17], s[18:19]
	s_cbranch_execz .LBB396_20
; %bb.17:
	v_mul_f64 v[0:1], s[14:15], v[22:23]
	v_mul_f64 v[2:3], s[12:13], v[22:23]
	v_fma_f64 v[0:1], s[12:13], v[20:21], -v[0:1]
	v_fmac_f64_e32 v[2:3], s[14:15], v[20:21]
	s_and_b64 vcc, exec, s[0:1]
	v_lshl_add_u64 v[6:7], v[4:5], 4, v[24:25]
	s_cbranch_vccnz .LBB396_19
; %bb.18:
	flat_load_dwordx4 v[20:23], v[6:7]
	s_waitcnt vmcnt(0) lgkmcnt(0)
	v_mul_f64 v[28:29], s[10:11], v[22:23]
	v_mul_f64 v[22:23], s[8:9], v[22:23]
	v_fma_f64 v[28:29], s[8:9], v[20:21], -v[28:29]
	v_fmac_f64_e32 v[22:23], s[10:11], v[20:21]
	v_add_f64 v[0:1], v[0:1], v[28:29]
	v_add_f64 v[2:3], v[2:3], v[22:23]
.LBB396_19:
	flat_store_dwordx4 v[6:7], v[0:3]
.LBB396_20:
	s_or_b64 exec, exec, s[16:17]
	v_add_u32_e32 v6, 16, v4
	v_cmp_le_i32_e32 vcc, v6, v26
	s_and_b64 s[16:17], s[2:3], vcc
	v_ashrrev_i32_e32 v7, 31, v6
	s_and_saveexec_b64 s[2:3], s[16:17]
	s_cbranch_execz .LBB396_24
; %bb.21:
	v_mul_f64 v[0:1], s[14:15], v[18:19]
	v_mul_f64 v[2:3], s[12:13], v[18:19]
	v_fma_f64 v[0:1], s[12:13], v[16:17], -v[0:1]
	v_fmac_f64_e32 v[2:3], s[14:15], v[16:17]
	s_and_b64 vcc, exec, s[0:1]
	v_lshl_add_u64 v[16:17], v[6:7], 4, v[24:25]
	s_cbranch_vccnz .LBB396_23
; %bb.22:
	flat_load_dwordx4 v[18:21], v[16:17]
	s_waitcnt vmcnt(0) lgkmcnt(0)
	v_mul_f64 v[22:23], s[10:11], v[20:21]
	v_mul_f64 v[20:21], s[8:9], v[20:21]
	v_fma_f64 v[22:23], s[8:9], v[18:19], -v[22:23]
	v_fmac_f64_e32 v[20:21], s[10:11], v[18:19]
	v_add_f64 v[0:1], v[0:1], v[22:23]
	v_add_f64 v[2:3], v[2:3], v[20:21]
.LBB396_23:
	flat_store_dwordx4 v[16:17], v[0:3]
.LBB396_24:
	s_or_b64 exec, exec, s[2:3]
	v_add_u32_e32 v18, 16, v26
	v_cmp_gt_i32_e64 s[2:3], s6, v18
	v_mad_i64_i32 v[0:1], s[6:7], v18, s7, 0
	v_cmp_le_i32_e32 vcc, v4, v18
	v_lshl_add_u64 v[16:17], v[0:1], 4, s[4:5]
	s_and_b64 s[6:7], s[2:3], vcc
	s_and_saveexec_b64 s[4:5], s[6:7]
	s_cbranch_execz .LBB396_28
; %bb.25:
	v_mul_f64 v[0:1], s[14:15], v[14:15]
	v_mul_f64 v[2:3], s[12:13], v[14:15]
	v_fma_f64 v[0:1], s[12:13], v[12:13], -v[0:1]
	v_fmac_f64_e32 v[2:3], s[14:15], v[12:13]
	s_and_b64 vcc, exec, s[0:1]
	v_lshl_add_u64 v[4:5], v[4:5], 4, v[16:17]
	s_cbranch_vccnz .LBB396_27
; %bb.26:
	flat_load_dwordx4 v[12:15], v[4:5]
	s_waitcnt vmcnt(0) lgkmcnt(0)
	v_mul_f64 v[20:21], s[10:11], v[14:15]
	v_mul_f64 v[14:15], s[8:9], v[14:15]
	v_fma_f64 v[20:21], s[8:9], v[12:13], -v[20:21]
	v_fmac_f64_e32 v[14:15], s[10:11], v[12:13]
	v_add_f64 v[0:1], v[0:1], v[20:21]
	v_add_f64 v[2:3], v[2:3], v[14:15]
.LBB396_27:
	flat_store_dwordx4 v[4:5], v[0:3]
.LBB396_28:
	s_or_b64 exec, exec, s[4:5]
	v_cmp_le_i32_e32 vcc, v6, v18
	s_and_b64 s[2:3], s[2:3], vcc
	s_and_saveexec_b64 s[4:5], s[2:3]
	s_cbranch_execz .LBB396_32
; %bb.29:
	v_mul_f64 v[0:1], s[14:15], v[8:9]
	v_mul_f64 v[2:3], s[12:13], v[8:9]
	v_fma_f64 v[0:1], s[12:13], v[10:11], -v[0:1]
	v_fmac_f64_e32 v[2:3], s[14:15], v[10:11]
	s_and_b64 vcc, exec, s[0:1]
	v_lshl_add_u64 v[4:5], v[6:7], 4, v[16:17]
	s_cbranch_vccnz .LBB396_31
; %bb.30:
	flat_load_dwordx4 v[6:9], v[4:5]
	s_waitcnt vmcnt(0) lgkmcnt(0)
	v_mul_f64 v[10:11], s[10:11], v[8:9]
	v_mul_f64 v[8:9], s[8:9], v[8:9]
	v_fma_f64 v[10:11], s[8:9], v[6:7], -v[10:11]
	v_fmac_f64_e32 v[8:9], s[10:11], v[6:7]
	v_add_f64 v[0:1], v[0:1], v[10:11]
	v_add_f64 v[2:3], v[2:3], v[8:9]
.LBB396_31:
	flat_store_dwordx4 v[4:5], v[0:3]
.LBB396_32:
	s_endpgm
	.section	.rodata,"a",@progbits
	.p2align	6, 0x0
	.amdhsa_kernel _ZL29rocblas_internal_gemmt_kernelIiLi16ELi32ELi8ELc78ELc78ELc85ELb0ELb0E19rocblas_complex_numIdEPKS1_PKS3_PKPS1_EviT_T9_T10_S9_lSB_S9_lSA_T11_S9_li
		.amdhsa_group_segment_fixed_size 8192
		.amdhsa_private_segment_fixed_size 0
		.amdhsa_kernarg_size 100
		.amdhsa_user_sgpr_count 2
		.amdhsa_user_sgpr_dispatch_ptr 0
		.amdhsa_user_sgpr_queue_ptr 0
		.amdhsa_user_sgpr_kernarg_segment_ptr 1
		.amdhsa_user_sgpr_dispatch_id 0
		.amdhsa_user_sgpr_kernarg_preload_length 0
		.amdhsa_user_sgpr_kernarg_preload_offset 0
		.amdhsa_user_sgpr_private_segment_size 0
		.amdhsa_uses_dynamic_stack 0
		.amdhsa_enable_private_segment 0
		.amdhsa_system_sgpr_workgroup_id_x 1
		.amdhsa_system_sgpr_workgroup_id_y 1
		.amdhsa_system_sgpr_workgroup_id_z 1
		.amdhsa_system_sgpr_workgroup_info 0
		.amdhsa_system_vgpr_workitem_id 1
		.amdhsa_next_free_vgpr 62
		.amdhsa_next_free_sgpr 40
		.amdhsa_accum_offset 64
		.amdhsa_reserve_vcc 1
		.amdhsa_float_round_mode_32 0
		.amdhsa_float_round_mode_16_64 0
		.amdhsa_float_denorm_mode_32 3
		.amdhsa_float_denorm_mode_16_64 3
		.amdhsa_dx10_clamp 1
		.amdhsa_ieee_mode 1
		.amdhsa_fp16_overflow 0
		.amdhsa_tg_split 0
		.amdhsa_exception_fp_ieee_invalid_op 0
		.amdhsa_exception_fp_denorm_src 0
		.amdhsa_exception_fp_ieee_div_zero 0
		.amdhsa_exception_fp_ieee_overflow 0
		.amdhsa_exception_fp_ieee_underflow 0
		.amdhsa_exception_fp_ieee_inexact 0
		.amdhsa_exception_int_div_zero 0
	.end_amdhsa_kernel
	.section	.text._ZL29rocblas_internal_gemmt_kernelIiLi16ELi32ELi8ELc78ELc78ELc85ELb0ELb0E19rocblas_complex_numIdEPKS1_PKS3_PKPS1_EviT_T9_T10_S9_lSB_S9_lSA_T11_S9_li,"axG",@progbits,_ZL29rocblas_internal_gemmt_kernelIiLi16ELi32ELi8ELc78ELc78ELc85ELb0ELb0E19rocblas_complex_numIdEPKS1_PKS3_PKPS1_EviT_T9_T10_S9_lSB_S9_lSA_T11_S9_li,comdat
.Lfunc_end396:
	.size	_ZL29rocblas_internal_gemmt_kernelIiLi16ELi32ELi8ELc78ELc78ELc85ELb0ELb0E19rocblas_complex_numIdEPKS1_PKS3_PKPS1_EviT_T9_T10_S9_lSB_S9_lSA_T11_S9_li, .Lfunc_end396-_ZL29rocblas_internal_gemmt_kernelIiLi16ELi32ELi8ELc78ELc78ELc85ELb0ELb0E19rocblas_complex_numIdEPKS1_PKS3_PKPS1_EviT_T9_T10_S9_lSB_S9_lSA_T11_S9_li
                                        ; -- End function
	.set _ZL29rocblas_internal_gemmt_kernelIiLi16ELi32ELi8ELc78ELc78ELc85ELb0ELb0E19rocblas_complex_numIdEPKS1_PKS3_PKPS1_EviT_T9_T10_S9_lSB_S9_lSA_T11_S9_li.num_vgpr, 62
	.set _ZL29rocblas_internal_gemmt_kernelIiLi16ELi32ELi8ELc78ELc78ELc85ELb0ELb0E19rocblas_complex_numIdEPKS1_PKS3_PKPS1_EviT_T9_T10_S9_lSB_S9_lSA_T11_S9_li.num_agpr, 0
	.set _ZL29rocblas_internal_gemmt_kernelIiLi16ELi32ELi8ELc78ELc78ELc85ELb0ELb0E19rocblas_complex_numIdEPKS1_PKS3_PKPS1_EviT_T9_T10_S9_lSB_S9_lSA_T11_S9_li.numbered_sgpr, 40
	.set _ZL29rocblas_internal_gemmt_kernelIiLi16ELi32ELi8ELc78ELc78ELc85ELb0ELb0E19rocblas_complex_numIdEPKS1_PKS3_PKPS1_EviT_T9_T10_S9_lSB_S9_lSA_T11_S9_li.num_named_barrier, 0
	.set _ZL29rocblas_internal_gemmt_kernelIiLi16ELi32ELi8ELc78ELc78ELc85ELb0ELb0E19rocblas_complex_numIdEPKS1_PKS3_PKPS1_EviT_T9_T10_S9_lSB_S9_lSA_T11_S9_li.private_seg_size, 0
	.set _ZL29rocblas_internal_gemmt_kernelIiLi16ELi32ELi8ELc78ELc78ELc85ELb0ELb0E19rocblas_complex_numIdEPKS1_PKS3_PKPS1_EviT_T9_T10_S9_lSB_S9_lSA_T11_S9_li.uses_vcc, 1
	.set _ZL29rocblas_internal_gemmt_kernelIiLi16ELi32ELi8ELc78ELc78ELc85ELb0ELb0E19rocblas_complex_numIdEPKS1_PKS3_PKPS1_EviT_T9_T10_S9_lSB_S9_lSA_T11_S9_li.uses_flat_scratch, 0
	.set _ZL29rocblas_internal_gemmt_kernelIiLi16ELi32ELi8ELc78ELc78ELc85ELb0ELb0E19rocblas_complex_numIdEPKS1_PKS3_PKPS1_EviT_T9_T10_S9_lSB_S9_lSA_T11_S9_li.has_dyn_sized_stack, 0
	.set _ZL29rocblas_internal_gemmt_kernelIiLi16ELi32ELi8ELc78ELc78ELc85ELb0ELb0E19rocblas_complex_numIdEPKS1_PKS3_PKPS1_EviT_T9_T10_S9_lSB_S9_lSA_T11_S9_li.has_recursion, 0
	.set _ZL29rocblas_internal_gemmt_kernelIiLi16ELi32ELi8ELc78ELc78ELc85ELb0ELb0E19rocblas_complex_numIdEPKS1_PKS3_PKPS1_EviT_T9_T10_S9_lSB_S9_lSA_T11_S9_li.has_indirect_call, 0
	.section	.AMDGPU.csdata,"",@progbits
; Kernel info:
; codeLenInByte = 3128
; TotalNumSgprs: 46
; NumVgprs: 62
; NumAgprs: 0
; TotalNumVgprs: 62
; ScratchSize: 0
; MemoryBound: 0
; FloatMode: 240
; IeeeMode: 1
; LDSByteSize: 8192 bytes/workgroup (compile time only)
; SGPRBlocks: 5
; VGPRBlocks: 7
; NumSGPRsForWavesPerEU: 46
; NumVGPRsForWavesPerEU: 62
; AccumOffset: 64
; Occupancy: 8
; WaveLimiterHint : 1
; COMPUTE_PGM_RSRC2:SCRATCH_EN: 0
; COMPUTE_PGM_RSRC2:USER_SGPR: 2
; COMPUTE_PGM_RSRC2:TRAP_HANDLER: 0
; COMPUTE_PGM_RSRC2:TGID_X_EN: 1
; COMPUTE_PGM_RSRC2:TGID_Y_EN: 1
; COMPUTE_PGM_RSRC2:TGID_Z_EN: 1
; COMPUTE_PGM_RSRC2:TIDIG_COMP_CNT: 1
; COMPUTE_PGM_RSRC3_GFX90A:ACCUM_OFFSET: 15
; COMPUTE_PGM_RSRC3_GFX90A:TG_SPLIT: 0
	.section	.text._ZL29rocblas_internal_gemmt_kernelIiLi16ELi32ELi8ELc78ELc84ELc85ELb0ELb0E19rocblas_complex_numIdEPKS1_PKS3_PKPS1_EviT_T9_T10_S9_lSB_S9_lSA_T11_S9_li,"axG",@progbits,_ZL29rocblas_internal_gemmt_kernelIiLi16ELi32ELi8ELc78ELc84ELc85ELb0ELb0E19rocblas_complex_numIdEPKS1_PKS3_PKPS1_EviT_T9_T10_S9_lSB_S9_lSA_T11_S9_li,comdat
	.globl	_ZL29rocblas_internal_gemmt_kernelIiLi16ELi32ELi8ELc78ELc84ELc85ELb0ELb0E19rocblas_complex_numIdEPKS1_PKS3_PKPS1_EviT_T9_T10_S9_lSB_S9_lSA_T11_S9_li ; -- Begin function _ZL29rocblas_internal_gemmt_kernelIiLi16ELi32ELi8ELc78ELc84ELc85ELb0ELb0E19rocblas_complex_numIdEPKS1_PKS3_PKPS1_EviT_T9_T10_S9_lSB_S9_lSA_T11_S9_li
	.p2align	8
	.type	_ZL29rocblas_internal_gemmt_kernelIiLi16ELi32ELi8ELc78ELc84ELc85ELb0ELb0E19rocblas_complex_numIdEPKS1_PKS3_PKPS1_EviT_T9_T10_S9_lSB_S9_lSA_T11_S9_li,@function
_ZL29rocblas_internal_gemmt_kernelIiLi16ELi32ELi8ELc78ELc84ELc85ELb0ELb0E19rocblas_complex_numIdEPKS1_PKS3_PKPS1_EviT_T9_T10_S9_lSB_S9_lSA_T11_S9_li: ; @_ZL29rocblas_internal_gemmt_kernelIiLi16ELi32ELi8ELc78ELc84ELc85ELb0ELb0E19rocblas_complex_numIdEPKS1_PKS3_PKPS1_EviT_T9_T10_S9_lSB_S9_lSA_T11_S9_li
; %bb.0:
	s_load_dwordx4 s[16:19], s[0:1], 0x38
	s_load_dwordx4 s[20:23], s[0:1], 0x8
	s_mov_b64 s[24:25], 0
	s_waitcnt lgkmcnt(0)
	s_load_dwordx4 s[8:11], s[18:19], 0x0
	s_load_dwordx2 s[6:7], s[0:1], 0x0
	s_load_dwordx4 s[12:15], s[20:21], 0x0
	s_waitcnt lgkmcnt(0)
	v_cmp_eq_f64_e64 s[20:21], s[8:9], 1.0
	v_cmp_eq_f64_e64 s[18:19], s[10:11], 0
	s_and_b64 s[20:21], s[20:21], s[18:19]
	s_andn2_b64 vcc, exec, s[20:21]
	s_mov_b64 s[20:21], -1
	s_cbranch_vccnz .LBB397_4
; %bb.1:
	s_cmp_lg_u32 s7, 0
	s_cbranch_scc0 .LBB397_3
; %bb.2:
	v_cmp_neq_f64_e64 s[20:21], s[12:13], 0
	v_cmp_neq_f64_e64 s[24:25], s[14:15], 0
	s_or_b64 s[24:25], s[20:21], s[24:25]
.LBB397_3:
	s_mov_b64 s[20:21], s[24:25]
.LBB397_4:
	s_and_b64 vcc, exec, s[20:21]
	s_cbranch_vccz .LBB397_32
; %bb.5:
	s_load_dwordx2 s[20:21], s[0:1], 0x48
	s_mov_b32 s5, 0
	s_lshl_b64 s[24:25], s[4:5], 3
	v_cmp_eq_f64_e64 s[26:27], s[14:15], 0
	v_and_b32_e32 v20, 0x3ff, v0
	s_waitcnt lgkmcnt(0)
	s_add_u32 s20, s20, s24
	s_addc_u32 s21, s21, s25
	s_lshl_b32 s4, s2, 5
	s_lshl_b32 s28, s3, 5
	v_cmp_eq_f64_e64 s[2:3], s[12:13], 0
	s_load_dwordx2 s[20:21], s[20:21], 0x0
	s_and_b64 s[2:3], s[2:3], s[26:27]
	s_cmp_lt_i32 s7, 1
	s_cselect_b64 s[26:27], -1, 0
	s_or_b64 s[2:3], s[2:3], s[26:27]
	v_bfe_u32 v21, v0, 10, 10
	v_mov_b64_e32 v[16:17], 0
	s_and_b64 vcc, exec, s[2:3]
	v_mov_b64_e32 v[18:19], 0
	v_mov_b64_e32 v[12:13], 0
	;; [unrolled: 1-line block ×7, first 2 shown]
	s_cbranch_vccnz .LBB397_16
; %bb.6:
	s_load_dword s26, s[0:1], 0x18
	s_load_dwordx4 s[36:39], s[0:1], 0x20
	s_load_dword s30, s[0:1], 0x30
	v_lshl_add_u32 v0, v21, 4, v20
	v_and_b32_e32 v4, 31, v0
	v_lshrrev_b32_e32 v23, 5, v0
	v_lshrrev_b32_e32 v1, 3, v0
	v_or_b32_e32 v0, s4, v4
	v_and_b32_e32 v22, 7, v20
	s_waitcnt lgkmcnt(0)
	s_ashr_i32 s27, s26, 31
	s_ashr_i32 s31, s30, 31
	v_cmp_gt_i32_e32 vcc, s6, v0
	v_lshlrev_b32_e32 v0, 4, v4
	s_add_u32 s2, s38, s24
	v_lshl_or_b32 v24, v23, 9, v0
	v_lshlrev_b32_e32 v0, 4, v22
	s_addc_u32 s3, s39, s25
	v_lshl_or_b32 v0, v1, 7, v0
	s_load_dwordx2 s[34:35], s[2:3], 0x0
	s_add_u32 s2, s22, s24
	v_add_u32_e32 v25, 0x1000, v0
	v_mov_b32_e32 v0, 0x1000
	v_add_u32_e32 v2, s28, v1
	s_addc_u32 s3, s23, s25
	v_lshl_add_u32 v27, v21, 7, v0
	v_mad_i64_i32 v[0:1], s[24:25], v23, s26, 0
	s_load_dwordx2 s[22:23], s[2:3], 0x0
	s_lshl_b64 s[24:25], s[36:37], 4
	v_add_u32_e32 v4, s4, v4
	v_lshl_add_u64 v[0:1], v[0:1], 4, s[24:25]
	v_ashrrev_i32_e32 v5, 31, v4
	v_lshl_add_u64 v[0:1], v[4:5], 4, v[0:1]
	v_mad_i64_i32 v[4:5], s[24:25], s30, v22, 0
	s_lshl_b64 s[16:17], s[16:17], 4
	v_ashrrev_i32_e32 v3, 31, v2
	v_lshl_add_u64 v[4:5], v[4:5], 4, s[16:17]
	v_cmp_gt_i32_e64 s[2:3], s6, v2
	v_lshl_add_u64 v[2:3], v[2:3], 4, v[4:5]
	v_mov_b32_e32 v28, 0
	v_lshlrev_b32_e32 v26, 4, v20
	s_waitcnt lgkmcnt(0)
	v_lshl_add_u64 v[0:1], s[22:23], 0, v[0:1]
	s_lshl_b64 s[22:23], s[26:27], 7
	v_lshl_add_u64 v[2:3], s[34:35], 0, v[2:3]
	s_lshl_b64 s[16:17], s[30:31], 7
	v_mov_b64_e32 v[4:5], 0
	s_xor_b64 s[24:25], vcc, -1
	s_xor_b64 s[2:3], s[2:3], -1
	v_mov_b32_e32 v29, v28
	v_mov_b32_e32 v30, v28
	;; [unrolled: 1-line block ×3, first 2 shown]
	v_mov_b64_e32 v[6:7], 0
	v_mov_b64_e32 v[10:11], 0
	;; [unrolled: 1-line block ×7, first 2 shown]
	s_branch .LBB397_8
.LBB397_7:                              ;   in Loop: Header=BB397_8 Depth=1
	s_or_b64 exec, exec, s[26:27]
	s_waitcnt lgkmcnt(0)
	s_barrier
	ds_read_b128 v[32:35], v26
	ds_read_b128 v[36:39], v27
	ds_read_b128 v[40:43], v27 offset:16
	ds_read_b128 v[44:47], v27 offset:32
	;; [unrolled: 1-line block ×4, first 2 shown]
	s_waitcnt lgkmcnt(4)
	v_mul_f64 v[56:57], v[38:39], v[34:35]
	v_fma_f64 v[56:57], v[36:37], v[32:33], -v[56:57]
	v_mul_f64 v[58:59], v[36:37], v[34:35]
	v_fmac_f64_e32 v[58:59], v[38:39], v[32:33]
	v_add_f64 v[56:57], v[16:17], v[56:57]
	s_waitcnt lgkmcnt(0)
	v_mul_f64 v[16:17], v[38:39], v[54:55]
	v_add_f64 v[58:59], v[58:59], v[18:19]
	v_fma_f64 v[60:61], v[36:37], v[52:53], -v[16:17]
	ds_read_b128 v[16:19], v27 offset:2048
	v_mul_f64 v[36:37], v[36:37], v[54:55]
	v_fmac_f64_e32 v[36:37], v[38:39], v[52:53]
	v_add_f64 v[38:39], v[12:13], v[60:61]
	v_add_f64 v[36:37], v[36:37], v[14:15]
	ds_read_b128 v[12:15], v27 offset:2064
	s_waitcnt lgkmcnt(1)
	v_mul_f64 v[60:61], v[18:19], v[34:35]
	v_fma_f64 v[60:61], v[16:17], v[32:33], -v[60:61]
	v_mul_f64 v[34:35], v[16:17], v[34:35]
	v_fmac_f64_e32 v[34:35], v[18:19], v[32:33]
	v_add_f64 v[32:33], v[8:9], v[60:61]
	v_mul_f64 v[8:9], v[18:19], v[54:55]
	v_add_f64 v[34:35], v[34:35], v[10:11]
	v_fma_f64 v[60:61], v[16:17], v[52:53], -v[8:9]
	v_mul_f64 v[16:17], v[16:17], v[54:55]
	ds_read_b128 v[8:11], v26 offset:512
	v_fmac_f64_e32 v[16:17], v[18:19], v[52:53]
	v_add_f64 v[18:19], v[6:7], v[60:61]
	v_add_f64 v[16:17], v[16:17], v[4:5]
	ds_read_b128 v[4:7], v26 offset:768
	s_waitcnt lgkmcnt(1)
	v_mul_f64 v[52:53], v[42:43], v[10:11]
	v_fma_f64 v[52:53], v[40:41], v[8:9], -v[52:53]
	v_add_f64 v[52:53], v[56:57], v[52:53]
	v_mul_f64 v[54:55], v[40:41], v[10:11]
	s_waitcnt lgkmcnt(0)
	v_mul_f64 v[56:57], v[42:43], v[6:7]
	v_fma_f64 v[56:57], v[40:41], v[4:5], -v[56:57]
	v_mul_f64 v[40:41], v[40:41], v[6:7]
	v_fmac_f64_e32 v[40:41], v[42:43], v[4:5]
	v_add_f64 v[36:37], v[40:41], v[36:37]
	v_mul_f64 v[40:41], v[14:15], v[10:11]
	v_mul_f64 v[10:11], v[12:13], v[10:11]
	v_fmac_f64_e32 v[54:55], v[42:43], v[8:9]
	v_fma_f64 v[40:41], v[12:13], v[8:9], -v[40:41]
	v_fmac_f64_e32 v[10:11], v[14:15], v[8:9]
	v_mul_f64 v[8:9], v[14:15], v[6:7]
	v_add_f64 v[42:43], v[10:11], v[34:35]
	v_fma_f64 v[10:11], v[12:13], v[4:5], -v[8:9]
	v_mul_f64 v[12:13], v[12:13], v[6:7]
	ds_read_b128 v[6:9], v26 offset:1024
	v_fmac_f64_e32 v[12:13], v[14:15], v[4:5]
	v_add_f64 v[38:39], v[38:39], v[56:57]
	v_add_f64 v[18:19], v[18:19], v[10:11]
	;; [unrolled: 1-line block ×3, first 2 shown]
	ds_read_b128 v[10:13], v26 offset:1280
	s_waitcnt lgkmcnt(1)
	v_mul_f64 v[14:15], v[44:45], v[8:9]
	v_add_f64 v[54:55], v[54:55], v[58:59]
	v_fmac_f64_e32 v[14:15], v[46:47], v[6:7]
	v_add_f64 v[54:55], v[14:15], v[54:55]
	ds_read_b128 v[14:17], v27 offset:2080
	v_mul_f64 v[4:5], v[46:47], v[8:9]
	v_fma_f64 v[4:5], v[44:45], v[6:7], -v[4:5]
	v_add_f64 v[40:41], v[32:33], v[40:41]
	v_add_f64 v[52:53], v[52:53], v[4:5]
	s_waitcnt lgkmcnt(1)
	v_mul_f64 v[4:5], v[46:47], v[12:13]
	v_mul_f64 v[32:33], v[44:45], v[12:13]
	v_fma_f64 v[4:5], v[44:45], v[10:11], -v[4:5]
	v_fmac_f64_e32 v[32:33], v[46:47], v[10:11]
	v_add_f64 v[38:39], v[38:39], v[4:5]
	v_add_f64 v[36:37], v[32:33], v[36:37]
	ds_read_b128 v[32:35], v27 offset:2096
	s_waitcnt lgkmcnt(1)
	v_mul_f64 v[4:5], v[16:17], v[8:9]
	v_fma_f64 v[4:5], v[14:15], v[6:7], -v[4:5]
	v_mul_f64 v[8:9], v[14:15], v[8:9]
	v_fmac_f64_e32 v[8:9], v[16:17], v[6:7]
	v_add_f64 v[40:41], v[40:41], v[4:5]
	v_mul_f64 v[4:5], v[16:17], v[12:13]
	v_add_f64 v[42:43], v[8:9], v[42:43]
	v_fma_f64 v[8:9], v[14:15], v[10:11], -v[4:5]
	ds_read_b128 v[4:7], v26 offset:1536
	v_mul_f64 v[12:13], v[14:15], v[12:13]
	v_fmac_f64_e32 v[12:13], v[16:17], v[10:11]
	v_add_f64 v[14:15], v[18:19], v[8:9]
	ds_read_b128 v[8:11], v26 offset:1792
	s_waitcnt lgkmcnt(1)
	v_mul_f64 v[16:17], v[50:51], v[6:7]
	v_fma_f64 v[16:17], v[48:49], v[4:5], -v[16:17]
	v_mul_f64 v[18:19], v[48:49], v[6:7]
	v_fmac_f64_e32 v[18:19], v[50:51], v[4:5]
	v_add_f64 v[44:45], v[52:53], v[16:17]
	s_waitcnt lgkmcnt(0)
	v_mul_f64 v[16:17], v[50:51], v[10:11]
	v_add_f64 v[46:47], v[18:19], v[54:55]
	v_fma_f64 v[16:17], v[48:49], v[8:9], -v[16:17]
	v_mul_f64 v[18:19], v[48:49], v[10:11]
	v_fmac_f64_e32 v[18:19], v[50:51], v[8:9]
	v_add_f64 v[38:39], v[38:39], v[16:17]
	v_mul_f64 v[16:17], v[34:35], v[6:7]
	v_mul_f64 v[6:7], v[32:33], v[6:7]
	v_add_f64 v[36:37], v[18:19], v[36:37]
	v_fma_f64 v[16:17], v[32:33], v[4:5], -v[16:17]
	v_fmac_f64_e32 v[6:7], v[34:35], v[4:5]
	v_mul_f64 v[4:5], v[34:35], v[10:11]
	v_mul_f64 v[18:19], v[32:33], v[10:11]
	v_add_f64 v[40:41], v[40:41], v[16:17]
	v_add_f64 v[42:43], v[6:7], v[42:43]
	v_fma_f64 v[16:17], v[32:33], v[8:9], -v[4:5]
	v_fmac_f64_e32 v[18:19], v[34:35], v[8:9]
	ds_read_b128 v[4:7], v27 offset:64
	ds_read_b128 v[8:11], v26 offset:2048
	v_add_f64 v[12:13], v[12:13], v[56:57]
	v_add_f64 v[48:49], v[14:15], v[16:17]
	;; [unrolled: 1-line block ×3, first 2 shown]
	ds_read_b128 v[12:15], v26 offset:2304
	ds_read_b128 v[16:19], v27 offset:80
	s_waitcnt lgkmcnt(2)
	v_mul_f64 v[32:33], v[6:7], v[10:11]
	v_fma_f64 v[32:33], v[4:5], v[8:9], -v[32:33]
	v_mul_f64 v[34:35], v[4:5], v[10:11]
	v_fmac_f64_e32 v[34:35], v[6:7], v[8:9]
	v_add_f64 v[44:45], v[44:45], v[32:33]
	s_waitcnt lgkmcnt(1)
	v_mul_f64 v[32:33], v[6:7], v[14:15]
	v_add_f64 v[46:47], v[34:35], v[46:47]
	v_fma_f64 v[52:53], v[4:5], v[12:13], -v[32:33]
	ds_read_b128 v[32:35], v27 offset:2112
	v_mul_f64 v[4:5], v[4:5], v[14:15]
	v_fmac_f64_e32 v[4:5], v[6:7], v[12:13]
	v_add_f64 v[38:39], v[38:39], v[52:53]
	v_add_f64 v[36:37], v[4:5], v[36:37]
	ds_read_b128 v[4:7], v27 offset:2128
	s_waitcnt lgkmcnt(1)
	v_mul_f64 v[52:53], v[34:35], v[10:11]
	v_mul_f64 v[10:11], v[32:33], v[10:11]
	v_fma_f64 v[52:53], v[32:33], v[8:9], -v[52:53]
	v_fmac_f64_e32 v[10:11], v[34:35], v[8:9]
	v_mul_f64 v[8:9], v[34:35], v[14:15]
	v_add_f64 v[40:41], v[40:41], v[52:53]
	v_add_f64 v[42:43], v[10:11], v[42:43]
	v_fma_f64 v[52:53], v[32:33], v[12:13], -v[8:9]
	v_mul_f64 v[14:15], v[32:33], v[14:15]
	ds_read_b128 v[8:11], v26 offset:2560
	v_fmac_f64_e32 v[14:15], v[34:35], v[12:13]
	v_add_f64 v[34:35], v[14:15], v[50:51]
	ds_read_b128 v[12:15], v26 offset:2816
	v_add_f64 v[32:33], v[48:49], v[52:53]
	s_waitcnt lgkmcnt(1)
	v_mul_f64 v[48:49], v[18:19], v[10:11]
	v_fma_f64 v[48:49], v[16:17], v[8:9], -v[48:49]
	v_add_f64 v[44:45], v[44:45], v[48:49]
	s_waitcnt lgkmcnt(0)
	v_mul_f64 v[48:49], v[18:19], v[14:15]
	v_mul_f64 v[50:51], v[16:17], v[10:11]
	v_fma_f64 v[48:49], v[16:17], v[12:13], -v[48:49]
	v_mul_f64 v[16:17], v[16:17], v[14:15]
	v_fmac_f64_e32 v[16:17], v[18:19], v[12:13]
	v_add_f64 v[36:37], v[16:17], v[36:37]
	v_mul_f64 v[16:17], v[6:7], v[10:11]
	v_mul_f64 v[10:11], v[4:5], v[10:11]
	v_fmac_f64_e32 v[50:51], v[18:19], v[8:9]
	v_fma_f64 v[16:17], v[4:5], v[8:9], -v[16:17]
	v_fmac_f64_e32 v[10:11], v[6:7], v[8:9]
	v_mul_f64 v[8:9], v[6:7], v[14:15]
	v_mul_f64 v[14:15], v[4:5], v[14:15]
	v_add_f64 v[40:41], v[40:41], v[16:17]
	v_add_f64 v[42:43], v[10:11], v[42:43]
	v_fma_f64 v[16:17], v[4:5], v[12:13], -v[8:9]
	v_fmac_f64_e32 v[14:15], v[6:7], v[12:13]
	ds_read_b128 v[4:7], v27 offset:96
	ds_read_b128 v[8:11], v26 offset:3072
	v_add_f64 v[46:47], v[50:51], v[46:47]
	v_add_f64 v[38:39], v[38:39], v[48:49]
	;; [unrolled: 1-line block ×4, first 2 shown]
	ds_read_b128 v[12:15], v26 offset:3328
	ds_read_b128 v[32:35], v27 offset:112
	s_waitcnt lgkmcnt(2)
	v_mul_f64 v[16:17], v[6:7], v[10:11]
	v_fma_f64 v[16:17], v[4:5], v[8:9], -v[16:17]
	v_mul_f64 v[18:19], v[4:5], v[10:11]
	v_fmac_f64_e32 v[18:19], v[6:7], v[8:9]
	v_add_f64 v[44:45], v[44:45], v[16:17]
	s_waitcnt lgkmcnt(1)
	v_mul_f64 v[16:17], v[6:7], v[14:15]
	v_add_f64 v[46:47], v[18:19], v[46:47]
	v_fma_f64 v[52:53], v[4:5], v[12:13], -v[16:17]
	ds_read_b128 v[16:19], v27 offset:2144
	v_mul_f64 v[4:5], v[4:5], v[14:15]
	v_fmac_f64_e32 v[4:5], v[6:7], v[12:13]
	v_add_f64 v[54:55], v[4:5], v[36:37]
	ds_read_b128 v[4:7], v27 offset:2160
	s_waitcnt lgkmcnt(1)
	v_mul_f64 v[36:37], v[18:19], v[10:11]
	v_mul_f64 v[10:11], v[16:17], v[10:11]
	v_fma_f64 v[36:37], v[16:17], v[8:9], -v[36:37]
	v_fmac_f64_e32 v[10:11], v[18:19], v[8:9]
	v_mul_f64 v[8:9], v[18:19], v[14:15]
	v_add_f64 v[40:41], v[40:41], v[36:37]
	v_add_f64 v[42:43], v[10:11], v[42:43]
	v_fma_f64 v[36:37], v[16:17], v[12:13], -v[8:9]
	ds_read_b128 v[8:11], v26 offset:3584
	v_add_f64 v[52:53], v[38:39], v[52:53]
	v_add_f64 v[48:49], v[48:49], v[36:37]
	ds_read_b128 v[36:39], v26 offset:3840
	v_mul_f64 v[14:15], v[16:17], v[14:15]
	v_fmac_f64_e32 v[14:15], v[18:19], v[12:13]
	s_waitcnt lgkmcnt(1)
	v_mul_f64 v[12:13], v[34:35], v[10:11]
	v_add_f64 v[50:51], v[14:15], v[50:51]
	v_fma_f64 v[12:13], v[32:33], v[8:9], -v[12:13]
	v_mul_f64 v[14:15], v[32:33], v[10:11]
	v_fmac_f64_e32 v[14:15], v[34:35], v[8:9]
	v_add_f64 v[16:17], v[44:45], v[12:13]
	s_waitcnt lgkmcnt(0)
	v_mul_f64 v[12:13], v[34:35], v[38:39]
	v_add_f64 v[18:19], v[14:15], v[46:47]
	v_fma_f64 v[12:13], v[32:33], v[36:37], -v[12:13]
	v_mul_f64 v[14:15], v[32:33], v[38:39]
	v_mul_f64 v[32:33], v[6:7], v[10:11]
	v_fma_f64 v[32:33], v[4:5], v[8:9], -v[32:33]
	v_mul_f64 v[10:11], v[4:5], v[10:11]
	v_fmac_f64_e32 v[10:11], v[6:7], v[8:9]
	v_add_f64 v[8:9], v[40:41], v[32:33]
	v_mul_f64 v[32:33], v[6:7], v[38:39]
	v_fma_f64 v[32:33], v[4:5], v[36:37], -v[32:33]
	v_mul_f64 v[4:5], v[4:5], v[38:39]
	v_fmac_f64_e32 v[14:15], v[34:35], v[36:37]
	v_fmac_f64_e32 v[4:5], v[6:7], v[36:37]
	s_add_i32 s5, s5, 8
	v_add_f64 v[12:13], v[52:53], v[12:13]
	v_add_f64 v[14:15], v[14:15], v[54:55]
	;; [unrolled: 1-line block ×5, first 2 shown]
	v_lshl_add_u64 v[0:1], v[0:1], 0, s[22:23]
	s_cmp_lt_i32 s5, s7
	v_lshl_add_u64 v[2:3], v[2:3], 0, s[16:17]
	s_barrier
	s_cbranch_scc0 .LBB397_16
.LBB397_8:                              ; =>This Inner Loop Header: Depth=1
	v_add_u32_e32 v32, s5, v23
	v_cmp_le_i32_e32 vcc, s7, v32
	s_or_b64 s[26:27], s[24:25], vcc
	s_and_saveexec_b64 s[30:31], s[26:27]
	s_xor_b64 s[26:27], exec, s[30:31]
; %bb.9:                                ;   in Loop: Header=BB397_8 Depth=1
	ds_write_b128 v24, v[28:31]
; %bb.10:                               ;   in Loop: Header=BB397_8 Depth=1
	s_andn2_saveexec_b64 s[26:27], s[26:27]
	s_cbranch_execz .LBB397_12
; %bb.11:                               ;   in Loop: Header=BB397_8 Depth=1
	flat_load_dwordx4 v[32:35], v[0:1]
	s_waitcnt vmcnt(0) lgkmcnt(0)
	ds_write2_b64 v24, v[32:33], v[34:35] offset1:1
.LBB397_12:                             ;   in Loop: Header=BB397_8 Depth=1
	s_or_b64 exec, exec, s[26:27]
	v_add_u32_e32 v32, s5, v22
	v_cmp_le_i32_e32 vcc, s7, v32
	s_or_b64 s[26:27], vcc, s[2:3]
	s_and_saveexec_b64 s[30:31], s[26:27]
	s_xor_b64 s[26:27], exec, s[30:31]
; %bb.13:                               ;   in Loop: Header=BB397_8 Depth=1
	ds_write_b128 v25, v[28:31]
; %bb.14:                               ;   in Loop: Header=BB397_8 Depth=1
	s_andn2_saveexec_b64 s[26:27], s[26:27]
	s_cbranch_execz .LBB397_7
; %bb.15:                               ;   in Loop: Header=BB397_8 Depth=1
	flat_load_dwordx4 v[32:35], v[2:3]
	s_waitcnt vmcnt(0) lgkmcnt(0)
	ds_write2_b64 v25, v[32:33], v[34:35] offset1:1
	s_branch .LBB397_7
.LBB397_16:
	s_load_dwordx2 s[2:3], s[0:1], 0x58
	s_load_dword s7, s[0:1], 0x50
	v_add_u32_e32 v20, s4, v20
	v_add_u32_e32 v24, s28, v21
	v_cmp_neq_f64_e64 s[0:1], s[8:9], 0
	s_waitcnt lgkmcnt(0)
	s_lshl_b64 s[2:3], s[2:3], 4
	s_add_u32 s4, s20, s2
	s_addc_u32 s5, s21, s3
	s_xor_b64 s[16:17], s[18:19], -1
	v_mad_i64_i32 v[0:1], s[18:19], v24, s7, 0
	s_or_b64 s[0:1], s[0:1], s[16:17]
	v_cmp_gt_i32_e64 s[2:3], s6, v24
	v_lshl_add_u64 v[22:23], v[0:1], 4, s[4:5]
	v_cmp_le_i32_e32 vcc, v20, v24
	v_cndmask_b32_e64 v0, 0, 1, s[0:1]
	s_and_b64 s[18:19], s[2:3], vcc
	v_ashrrev_i32_e32 v21, 31, v20
	v_cmp_ne_u32_e64 s[0:1], 1, v0
	s_and_saveexec_b64 s[16:17], s[18:19]
	s_cbranch_execz .LBB397_20
; %bb.17:
	v_mul_f64 v[0:1], s[14:15], v[18:19]
	v_mul_f64 v[2:3], s[12:13], v[18:19]
	v_fma_f64 v[0:1], s[12:13], v[16:17], -v[0:1]
	v_fmac_f64_e32 v[2:3], s[14:15], v[16:17]
	s_and_b64 vcc, exec, s[0:1]
	v_lshl_add_u64 v[16:17], v[20:21], 4, v[22:23]
	s_cbranch_vccnz .LBB397_19
; %bb.18:
	flat_load_dwordx4 v[26:29], v[16:17]
	s_waitcnt vmcnt(0) lgkmcnt(0)
	v_mul_f64 v[18:19], s[10:11], v[28:29]
	v_mul_f64 v[28:29], s[8:9], v[28:29]
	v_fma_f64 v[18:19], s[8:9], v[26:27], -v[18:19]
	v_fmac_f64_e32 v[28:29], s[10:11], v[26:27]
	v_add_f64 v[0:1], v[0:1], v[18:19]
	v_add_f64 v[2:3], v[2:3], v[28:29]
.LBB397_19:
	flat_store_dwordx4 v[16:17], v[0:3]
.LBB397_20:
	s_or_b64 exec, exec, s[16:17]
	v_add_u32_e32 v16, 16, v20
	v_cmp_le_i32_e32 vcc, v16, v24
	s_and_b64 s[16:17], s[2:3], vcc
	v_ashrrev_i32_e32 v17, 31, v16
	s_and_saveexec_b64 s[2:3], s[16:17]
	s_cbranch_execz .LBB397_24
; %bb.21:
	v_mul_f64 v[0:1], s[14:15], v[14:15]
	v_mul_f64 v[2:3], s[12:13], v[14:15]
	v_fma_f64 v[0:1], s[12:13], v[12:13], -v[0:1]
	v_fmac_f64_e32 v[2:3], s[14:15], v[12:13]
	s_and_b64 vcc, exec, s[0:1]
	v_lshl_add_u64 v[12:13], v[16:17], 4, v[22:23]
	s_cbranch_vccnz .LBB397_23
; %bb.22:
	flat_load_dwordx4 v[26:29], v[12:13]
	s_waitcnt vmcnt(0) lgkmcnt(0)
	v_mul_f64 v[14:15], s[10:11], v[28:29]
	v_mul_f64 v[18:19], s[8:9], v[28:29]
	v_fma_f64 v[14:15], s[8:9], v[26:27], -v[14:15]
	v_fmac_f64_e32 v[18:19], s[10:11], v[26:27]
	v_add_f64 v[0:1], v[0:1], v[14:15]
	v_add_f64 v[2:3], v[2:3], v[18:19]
.LBB397_23:
	flat_store_dwordx4 v[12:13], v[0:3]
.LBB397_24:
	s_or_b64 exec, exec, s[2:3]
	v_add_u32_e32 v14, 16, v24
	v_cmp_gt_i32_e64 s[2:3], s6, v14
	v_mad_i64_i32 v[0:1], s[6:7], v14, s7, 0
	v_cmp_le_i32_e32 vcc, v20, v14
	v_lshl_add_u64 v[12:13], v[0:1], 4, s[4:5]
	s_and_b64 s[6:7], s[2:3], vcc
	s_and_saveexec_b64 s[4:5], s[6:7]
	s_cbranch_execz .LBB397_28
; %bb.25:
	v_mul_f64 v[0:1], s[14:15], v[10:11]
	v_mul_f64 v[2:3], s[12:13], v[10:11]
	v_fma_f64 v[0:1], s[12:13], v[8:9], -v[0:1]
	v_fmac_f64_e32 v[2:3], s[14:15], v[8:9]
	s_and_b64 vcc, exec, s[0:1]
	v_lshl_add_u64 v[8:9], v[20:21], 4, v[12:13]
	s_cbranch_vccnz .LBB397_27
; %bb.26:
	flat_load_dwordx4 v[18:21], v[8:9]
	s_waitcnt vmcnt(0) lgkmcnt(0)
	v_mul_f64 v[10:11], s[10:11], v[20:21]
	v_mul_f64 v[20:21], s[8:9], v[20:21]
	v_fma_f64 v[10:11], s[8:9], v[18:19], -v[10:11]
	v_fmac_f64_e32 v[20:21], s[10:11], v[18:19]
	v_add_f64 v[0:1], v[0:1], v[10:11]
	v_add_f64 v[2:3], v[2:3], v[20:21]
.LBB397_27:
	flat_store_dwordx4 v[8:9], v[0:3]
.LBB397_28:
	s_or_b64 exec, exec, s[4:5]
	v_cmp_le_i32_e32 vcc, v16, v14
	s_and_b64 s[2:3], s[2:3], vcc
	s_and_saveexec_b64 s[4:5], s[2:3]
	s_cbranch_execz .LBB397_32
; %bb.29:
	v_mul_f64 v[0:1], s[14:15], v[4:5]
	v_mul_f64 v[2:3], s[12:13], v[4:5]
	v_fma_f64 v[0:1], s[12:13], v[6:7], -v[0:1]
	v_fmac_f64_e32 v[2:3], s[14:15], v[6:7]
	s_and_b64 vcc, exec, s[0:1]
	v_lshl_add_u64 v[4:5], v[16:17], 4, v[12:13]
	s_cbranch_vccnz .LBB397_31
; %bb.30:
	flat_load_dwordx4 v[6:9], v[4:5]
	s_waitcnt vmcnt(0) lgkmcnt(0)
	v_mul_f64 v[10:11], s[10:11], v[8:9]
	v_mul_f64 v[8:9], s[8:9], v[8:9]
	v_fma_f64 v[10:11], s[8:9], v[6:7], -v[10:11]
	v_fmac_f64_e32 v[8:9], s[10:11], v[6:7]
	v_add_f64 v[0:1], v[0:1], v[10:11]
	v_add_f64 v[2:3], v[2:3], v[8:9]
.LBB397_31:
	flat_store_dwordx4 v[4:5], v[0:3]
.LBB397_32:
	s_endpgm
	.section	.rodata,"a",@progbits
	.p2align	6, 0x0
	.amdhsa_kernel _ZL29rocblas_internal_gemmt_kernelIiLi16ELi32ELi8ELc78ELc84ELc85ELb0ELb0E19rocblas_complex_numIdEPKS1_PKS3_PKPS1_EviT_T9_T10_S9_lSB_S9_lSA_T11_S9_li
		.amdhsa_group_segment_fixed_size 8192
		.amdhsa_private_segment_fixed_size 0
		.amdhsa_kernarg_size 100
		.amdhsa_user_sgpr_count 2
		.amdhsa_user_sgpr_dispatch_ptr 0
		.amdhsa_user_sgpr_queue_ptr 0
		.amdhsa_user_sgpr_kernarg_segment_ptr 1
		.amdhsa_user_sgpr_dispatch_id 0
		.amdhsa_user_sgpr_kernarg_preload_length 0
		.amdhsa_user_sgpr_kernarg_preload_offset 0
		.amdhsa_user_sgpr_private_segment_size 0
		.amdhsa_uses_dynamic_stack 0
		.amdhsa_enable_private_segment 0
		.amdhsa_system_sgpr_workgroup_id_x 1
		.amdhsa_system_sgpr_workgroup_id_y 1
		.amdhsa_system_sgpr_workgroup_id_z 1
		.amdhsa_system_sgpr_workgroup_info 0
		.amdhsa_system_vgpr_workitem_id 1
		.amdhsa_next_free_vgpr 62
		.amdhsa_next_free_sgpr 40
		.amdhsa_accum_offset 64
		.amdhsa_reserve_vcc 1
		.amdhsa_float_round_mode_32 0
		.amdhsa_float_round_mode_16_64 0
		.amdhsa_float_denorm_mode_32 3
		.amdhsa_float_denorm_mode_16_64 3
		.amdhsa_dx10_clamp 1
		.amdhsa_ieee_mode 1
		.amdhsa_fp16_overflow 0
		.amdhsa_tg_split 0
		.amdhsa_exception_fp_ieee_invalid_op 0
		.amdhsa_exception_fp_denorm_src 0
		.amdhsa_exception_fp_ieee_div_zero 0
		.amdhsa_exception_fp_ieee_overflow 0
		.amdhsa_exception_fp_ieee_underflow 0
		.amdhsa_exception_fp_ieee_inexact 0
		.amdhsa_exception_int_div_zero 0
	.end_amdhsa_kernel
	.section	.text._ZL29rocblas_internal_gemmt_kernelIiLi16ELi32ELi8ELc78ELc84ELc85ELb0ELb0E19rocblas_complex_numIdEPKS1_PKS3_PKPS1_EviT_T9_T10_S9_lSB_S9_lSA_T11_S9_li,"axG",@progbits,_ZL29rocblas_internal_gemmt_kernelIiLi16ELi32ELi8ELc78ELc84ELc85ELb0ELb0E19rocblas_complex_numIdEPKS1_PKS3_PKPS1_EviT_T9_T10_S9_lSB_S9_lSA_T11_S9_li,comdat
.Lfunc_end397:
	.size	_ZL29rocblas_internal_gemmt_kernelIiLi16ELi32ELi8ELc78ELc84ELc85ELb0ELb0E19rocblas_complex_numIdEPKS1_PKS3_PKPS1_EviT_T9_T10_S9_lSB_S9_lSA_T11_S9_li, .Lfunc_end397-_ZL29rocblas_internal_gemmt_kernelIiLi16ELi32ELi8ELc78ELc84ELc85ELb0ELb0E19rocblas_complex_numIdEPKS1_PKS3_PKPS1_EviT_T9_T10_S9_lSB_S9_lSA_T11_S9_li
                                        ; -- End function
	.set _ZL29rocblas_internal_gemmt_kernelIiLi16ELi32ELi8ELc78ELc84ELc85ELb0ELb0E19rocblas_complex_numIdEPKS1_PKS3_PKPS1_EviT_T9_T10_S9_lSB_S9_lSA_T11_S9_li.num_vgpr, 62
	.set _ZL29rocblas_internal_gemmt_kernelIiLi16ELi32ELi8ELc78ELc84ELc85ELb0ELb0E19rocblas_complex_numIdEPKS1_PKS3_PKPS1_EviT_T9_T10_S9_lSB_S9_lSA_T11_S9_li.num_agpr, 0
	.set _ZL29rocblas_internal_gemmt_kernelIiLi16ELi32ELi8ELc78ELc84ELc85ELb0ELb0E19rocblas_complex_numIdEPKS1_PKS3_PKPS1_EviT_T9_T10_S9_lSB_S9_lSA_T11_S9_li.numbered_sgpr, 40
	.set _ZL29rocblas_internal_gemmt_kernelIiLi16ELi32ELi8ELc78ELc84ELc85ELb0ELb0E19rocblas_complex_numIdEPKS1_PKS3_PKPS1_EviT_T9_T10_S9_lSB_S9_lSA_T11_S9_li.num_named_barrier, 0
	.set _ZL29rocblas_internal_gemmt_kernelIiLi16ELi32ELi8ELc78ELc84ELc85ELb0ELb0E19rocblas_complex_numIdEPKS1_PKS3_PKPS1_EviT_T9_T10_S9_lSB_S9_lSA_T11_S9_li.private_seg_size, 0
	.set _ZL29rocblas_internal_gemmt_kernelIiLi16ELi32ELi8ELc78ELc84ELc85ELb0ELb0E19rocblas_complex_numIdEPKS1_PKS3_PKPS1_EviT_T9_T10_S9_lSB_S9_lSA_T11_S9_li.uses_vcc, 1
	.set _ZL29rocblas_internal_gemmt_kernelIiLi16ELi32ELi8ELc78ELc84ELc85ELb0ELb0E19rocblas_complex_numIdEPKS1_PKS3_PKPS1_EviT_T9_T10_S9_lSB_S9_lSA_T11_S9_li.uses_flat_scratch, 0
	.set _ZL29rocblas_internal_gemmt_kernelIiLi16ELi32ELi8ELc78ELc84ELc85ELb0ELb0E19rocblas_complex_numIdEPKS1_PKS3_PKPS1_EviT_T9_T10_S9_lSB_S9_lSA_T11_S9_li.has_dyn_sized_stack, 0
	.set _ZL29rocblas_internal_gemmt_kernelIiLi16ELi32ELi8ELc78ELc84ELc85ELb0ELb0E19rocblas_complex_numIdEPKS1_PKS3_PKPS1_EviT_T9_T10_S9_lSB_S9_lSA_T11_S9_li.has_recursion, 0
	.set _ZL29rocblas_internal_gemmt_kernelIiLi16ELi32ELi8ELc78ELc84ELc85ELb0ELb0E19rocblas_complex_numIdEPKS1_PKS3_PKPS1_EviT_T9_T10_S9_lSB_S9_lSA_T11_S9_li.has_indirect_call, 0
	.section	.AMDGPU.csdata,"",@progbits
; Kernel info:
; codeLenInByte = 3132
; TotalNumSgprs: 46
; NumVgprs: 62
; NumAgprs: 0
; TotalNumVgprs: 62
; ScratchSize: 0
; MemoryBound: 0
; FloatMode: 240
; IeeeMode: 1
; LDSByteSize: 8192 bytes/workgroup (compile time only)
; SGPRBlocks: 5
; VGPRBlocks: 7
; NumSGPRsForWavesPerEU: 46
; NumVGPRsForWavesPerEU: 62
; AccumOffset: 64
; Occupancy: 8
; WaveLimiterHint : 1
; COMPUTE_PGM_RSRC2:SCRATCH_EN: 0
; COMPUTE_PGM_RSRC2:USER_SGPR: 2
; COMPUTE_PGM_RSRC2:TRAP_HANDLER: 0
; COMPUTE_PGM_RSRC2:TGID_X_EN: 1
; COMPUTE_PGM_RSRC2:TGID_Y_EN: 1
; COMPUTE_PGM_RSRC2:TGID_Z_EN: 1
; COMPUTE_PGM_RSRC2:TIDIG_COMP_CNT: 1
; COMPUTE_PGM_RSRC3_GFX90A:ACCUM_OFFSET: 15
; COMPUTE_PGM_RSRC3_GFX90A:TG_SPLIT: 0
	.section	.text._ZL29rocblas_internal_gemmt_kernelIiLi16ELi32ELi8ELc78ELc67ELc85ELb0ELb1E19rocblas_complex_numIdEPKS1_PKS3_PKPS1_EviT_T9_T10_S9_lSB_S9_lSA_T11_S9_li,"axG",@progbits,_ZL29rocblas_internal_gemmt_kernelIiLi16ELi32ELi8ELc78ELc67ELc85ELb0ELb1E19rocblas_complex_numIdEPKS1_PKS3_PKPS1_EviT_T9_T10_S9_lSB_S9_lSA_T11_S9_li,comdat
	.globl	_ZL29rocblas_internal_gemmt_kernelIiLi16ELi32ELi8ELc78ELc67ELc85ELb0ELb1E19rocblas_complex_numIdEPKS1_PKS3_PKPS1_EviT_T9_T10_S9_lSB_S9_lSA_T11_S9_li ; -- Begin function _ZL29rocblas_internal_gemmt_kernelIiLi16ELi32ELi8ELc78ELc67ELc85ELb0ELb1E19rocblas_complex_numIdEPKS1_PKS3_PKPS1_EviT_T9_T10_S9_lSB_S9_lSA_T11_S9_li
	.p2align	8
	.type	_ZL29rocblas_internal_gemmt_kernelIiLi16ELi32ELi8ELc78ELc67ELc85ELb0ELb1E19rocblas_complex_numIdEPKS1_PKS3_PKPS1_EviT_T9_T10_S9_lSB_S9_lSA_T11_S9_li,@function
_ZL29rocblas_internal_gemmt_kernelIiLi16ELi32ELi8ELc78ELc67ELc85ELb0ELb1E19rocblas_complex_numIdEPKS1_PKS3_PKPS1_EviT_T9_T10_S9_lSB_S9_lSA_T11_S9_li: ; @_ZL29rocblas_internal_gemmt_kernelIiLi16ELi32ELi8ELc78ELc67ELc85ELb0ELb1E19rocblas_complex_numIdEPKS1_PKS3_PKPS1_EviT_T9_T10_S9_lSB_S9_lSA_T11_S9_li
; %bb.0:
	s_load_dwordx4 s[16:19], s[0:1], 0x38
	s_load_dwordx4 s[20:23], s[0:1], 0x8
	s_mov_b64 s[24:25], 0
	s_waitcnt lgkmcnt(0)
	s_load_dwordx4 s[8:11], s[18:19], 0x0
	s_load_dwordx2 s[6:7], s[0:1], 0x0
	s_load_dwordx4 s[12:15], s[20:21], 0x0
	s_waitcnt lgkmcnt(0)
	v_cmp_eq_f64_e64 s[20:21], s[8:9], 1.0
	v_cmp_eq_f64_e64 s[18:19], s[10:11], 0
	s_and_b64 s[20:21], s[20:21], s[18:19]
	s_andn2_b64 vcc, exec, s[20:21]
	s_mov_b64 s[20:21], -1
	s_cbranch_vccnz .LBB398_4
; %bb.1:
	s_cmp_lg_u32 s7, 0
	s_cbranch_scc0 .LBB398_3
; %bb.2:
	v_cmp_neq_f64_e64 s[20:21], s[12:13], 0
	v_cmp_neq_f64_e64 s[24:25], s[14:15], 0
	s_or_b64 s[24:25], s[20:21], s[24:25]
.LBB398_3:
	s_mov_b64 s[20:21], s[24:25]
.LBB398_4:
	s_and_b64 vcc, exec, s[20:21]
	s_cbranch_vccz .LBB398_30
; %bb.5:
	s_load_dwordx2 s[20:21], s[0:1], 0x48
	s_mov_b32 s5, 0
	s_lshl_b64 s[24:25], s[4:5], 3
	v_cmp_eq_f64_e64 s[28:29], s[14:15], 0
	v_and_b32_e32 v24, 0x3ff, v0
	s_waitcnt lgkmcnt(0)
	s_add_u32 s20, s20, s24
	s_addc_u32 s21, s21, s25
	s_lshl_b32 s4, s2, 5
	s_lshl_b32 s26, s3, 5
	v_cmp_eq_f64_e64 s[2:3], s[12:13], 0
	s_load_dwordx2 s[20:21], s[20:21], 0x0
	s_and_b64 s[2:3], s[2:3], s[28:29]
	s_cmp_lt_i32 s7, 1
	s_cselect_b64 s[28:29], -1, 0
	s_or_b64 s[2:3], s[2:3], s[28:29]
	v_bfe_u32 v25, v0, 10, 10
	v_mov_b64_e32 v[20:21], 0
	s_and_b64 vcc, exec, s[2:3]
	v_mov_b64_e32 v[22:23], 0
	v_mov_b64_e32 v[16:17], 0
	;; [unrolled: 1-line block ×7, first 2 shown]
	s_cbranch_vccnz .LBB398_14
; %bb.6:
	s_load_dword s34, s[0:1], 0x18
	s_load_dwordx4 s[28:31], s[0:1], 0x20
	s_load_dword s36, s[0:1], 0x30
	v_lshl_add_u32 v1, v25, 4, v24
	v_and_b32_e32 v4, 31, v1
	s_waitcnt lgkmcnt(0)
	s_ashr_i32 s35, s34, 31
	v_lshrrev_b32_e32 v27, 5, v1
	s_ashr_i32 s37, s36, 31
	s_add_u32 s2, s30, s24
	s_addc_u32 s3, s31, s25
	s_load_dwordx2 s[30:31], s[2:3], 0x0
	s_add_u32 s2, s22, s24
	v_lshrrev_b32_e32 v2, 3, v1
	v_or_b32_e32 v1, s4, v4
	s_addc_u32 s3, s23, s25
	v_and_b32_e32 v26, 7, v24
	s_load_dwordx2 s[22:23], s[2:3], 0x0
	v_cmp_gt_i32_e64 s[2:3], s6, v1
	v_lshlrev_b32_e32 v1, 4, v4
	v_lshl_or_b32 v28, v27, 9, v1
	v_lshlrev_b32_e32 v1, 4, v26
	v_add_u32_e32 v0, s26, v2
	v_lshl_or_b32 v1, v2, 7, v1
	v_mov_b32_e32 v2, 0x1000
	v_lshl_add_u32 v31, v25, 7, v2
	v_mad_i64_i32 v[2:3], s[24:25], v27, s34, 0
	s_lshl_b64 s[24:25], s[28:29], 4
	v_add_u32_e32 v4, s4, v4
	v_lshl_add_u64 v[2:3], v[2:3], 4, s[24:25]
	v_ashrrev_i32_e32 v5, 31, v4
	v_lshl_add_u64 v[2:3], v[4:5], 4, v[2:3]
	s_waitcnt lgkmcnt(0)
	v_lshl_add_u64 v[4:5], s[22:23], 0, v[2:3]
	v_mad_i64_i32 v[2:3], s[24:25], s36, v26, 0
	s_lshl_b64 s[16:17], s[16:17], 4
	v_add_u32_e32 v29, 0x1000, v1
	v_ashrrev_i32_e32 v1, 31, v0
	v_lshl_add_u64 v[2:3], v[2:3], 4, s[16:17]
	v_cmp_gt_i32_e32 vcc, s6, v0
	v_lshl_add_u64 v[0:1], v[0:1], 4, v[2:3]
	v_mov_b32_e32 v32, 0
	v_lshlrev_b32_e32 v30, 4, v24
	s_lshl_b64 s[22:23], s[34:35], 7
	v_lshl_add_u64 v[6:7], s[30:31], 0, v[0:1]
	s_lshl_b64 s[16:17], s[36:37], 7
	v_mov_b64_e32 v[8:9], 0
	s_xor_b64 s[24:25], s[2:3], -1
	v_mov_b32_e32 v33, v32
	v_mov_b32_e32 v34, v32
	;; [unrolled: 1-line block ×3, first 2 shown]
	v_mov_b64_e32 v[10:11], 0
	v_mov_b64_e32 v[14:15], 0
	;; [unrolled: 1-line block ×7, first 2 shown]
	s_branch .LBB398_8
.LBB398_7:                              ;   in Loop: Header=BB398_8 Depth=1
	s_or_b64 exec, exec, s[2:3]
	ds_write_b128 v29, v[0:3]
	s_waitcnt lgkmcnt(0)
	s_barrier
	ds_read_b128 v[0:3], v30
	ds_read_b128 v[36:39], v31
	ds_read_b128 v[40:43], v31 offset:16
	ds_read_b128 v[44:47], v31 offset:32
	;; [unrolled: 1-line block ×4, first 2 shown]
	s_waitcnt lgkmcnt(4)
	v_mul_f64 v[56:57], v[38:39], v[2:3]
	v_fma_f64 v[56:57], v[36:37], v[0:1], -v[56:57]
	v_mul_f64 v[58:59], v[36:37], v[2:3]
	v_fmac_f64_e32 v[58:59], v[38:39], v[0:1]
	v_add_f64 v[56:57], v[20:21], v[56:57]
	s_waitcnt lgkmcnt(0)
	v_mul_f64 v[20:21], v[38:39], v[54:55]
	v_add_f64 v[58:59], v[58:59], v[22:23]
	v_fma_f64 v[60:61], v[36:37], v[52:53], -v[20:21]
	ds_read_b128 v[20:23], v31 offset:2048
	v_mul_f64 v[36:37], v[36:37], v[54:55]
	v_fmac_f64_e32 v[36:37], v[38:39], v[52:53]
	v_add_f64 v[38:39], v[16:17], v[60:61]
	v_add_f64 v[36:37], v[36:37], v[18:19]
	ds_read_b128 v[16:19], v31 offset:2064
	s_waitcnt lgkmcnt(1)
	v_mul_f64 v[60:61], v[22:23], v[2:3]
	v_mul_f64 v[2:3], v[20:21], v[2:3]
	v_fma_f64 v[60:61], v[20:21], v[0:1], -v[60:61]
	v_fmac_f64_e32 v[2:3], v[22:23], v[0:1]
	v_mul_f64 v[0:1], v[22:23], v[54:55]
	v_add_f64 v[12:13], v[12:13], v[60:61]
	v_add_f64 v[14:15], v[2:3], v[14:15]
	v_fma_f64 v[60:61], v[20:21], v[52:53], -v[0:1]
	v_mul_f64 v[20:21], v[20:21], v[54:55]
	ds_read_b128 v[0:3], v30 offset:512
	v_fmac_f64_e32 v[20:21], v[22:23], v[52:53]
	v_add_f64 v[22:23], v[10:11], v[60:61]
	v_add_f64 v[20:21], v[20:21], v[8:9]
	ds_read_b128 v[8:11], v30 offset:768
	s_waitcnt lgkmcnt(1)
	v_mul_f64 v[52:53], v[42:43], v[2:3]
	v_fma_f64 v[52:53], v[40:41], v[0:1], -v[52:53]
	v_add_f64 v[52:53], v[56:57], v[52:53]
	v_mul_f64 v[54:55], v[40:41], v[2:3]
	s_waitcnt lgkmcnt(0)
	v_mul_f64 v[56:57], v[42:43], v[10:11]
	v_fma_f64 v[56:57], v[40:41], v[8:9], -v[56:57]
	v_mul_f64 v[40:41], v[40:41], v[10:11]
	v_fmac_f64_e32 v[40:41], v[42:43], v[8:9]
	v_add_f64 v[36:37], v[40:41], v[36:37]
	v_mul_f64 v[40:41], v[18:19], v[2:3]
	v_mul_f64 v[2:3], v[16:17], v[2:3]
	v_fmac_f64_e32 v[54:55], v[42:43], v[0:1]
	v_fma_f64 v[40:41], v[16:17], v[0:1], -v[40:41]
	v_fmac_f64_e32 v[2:3], v[18:19], v[0:1]
	v_mul_f64 v[0:1], v[18:19], v[10:11]
	v_add_f64 v[40:41], v[12:13], v[40:41]
	v_add_f64 v[42:43], v[2:3], v[14:15]
	v_fma_f64 v[12:13], v[16:17], v[8:9], -v[0:1]
	v_mul_f64 v[10:11], v[16:17], v[10:11]
	ds_read_b128 v[0:3], v30 offset:1024
	v_fmac_f64_e32 v[10:11], v[18:19], v[8:9]
	v_add_f64 v[20:21], v[10:11], v[20:21]
	ds_read_b128 v[8:11], v30 offset:1280
	v_add_f64 v[22:23], v[22:23], v[12:13]
	s_waitcnt lgkmcnt(1)
	v_mul_f64 v[12:13], v[46:47], v[2:3]
	v_fma_f64 v[12:13], v[44:45], v[0:1], -v[12:13]
	v_mul_f64 v[14:15], v[44:45], v[2:3]
	v_add_f64 v[54:55], v[54:55], v[58:59]
	v_fmac_f64_e32 v[14:15], v[46:47], v[0:1]
	v_add_f64 v[52:53], v[52:53], v[12:13]
	s_waitcnt lgkmcnt(0)
	v_mul_f64 v[12:13], v[46:47], v[10:11]
	v_add_f64 v[54:55], v[14:15], v[54:55]
	v_fma_f64 v[16:17], v[44:45], v[8:9], -v[12:13]
	ds_read_b128 v[12:15], v31 offset:2080
	v_mul_f64 v[18:19], v[44:45], v[10:11]
	v_add_f64 v[38:39], v[38:39], v[56:57]
	v_fmac_f64_e32 v[18:19], v[46:47], v[8:9]
	v_add_f64 v[38:39], v[38:39], v[16:17]
	v_add_f64 v[36:37], v[18:19], v[36:37]
	ds_read_b128 v[16:19], v31 offset:2096
	s_waitcnt lgkmcnt(1)
	v_mul_f64 v[44:45], v[14:15], v[2:3]
	v_mul_f64 v[2:3], v[12:13], v[2:3]
	v_fma_f64 v[44:45], v[12:13], v[0:1], -v[44:45]
	v_fmac_f64_e32 v[2:3], v[14:15], v[0:1]
	v_mul_f64 v[0:1], v[14:15], v[10:11]
	v_mul_f64 v[10:11], v[12:13], v[10:11]
	v_fmac_f64_e32 v[10:11], v[14:15], v[8:9]
	v_add_f64 v[40:41], v[40:41], v[44:45]
	v_add_f64 v[42:43], v[2:3], v[42:43]
	v_fma_f64 v[44:45], v[12:13], v[8:9], -v[0:1]
	ds_read_b128 v[0:3], v30 offset:1536
	v_add_f64 v[14:15], v[10:11], v[20:21]
	ds_read_b128 v[8:11], v30 offset:1792
	v_add_f64 v[12:13], v[22:23], v[44:45]
	s_add_i32 s5, s5, 8
	s_waitcnt lgkmcnt(1)
	v_mul_f64 v[20:21], v[50:51], v[2:3]
	v_mul_f64 v[22:23], v[48:49], v[2:3]
	s_waitcnt lgkmcnt(0)
	v_mul_f64 v[44:45], v[50:51], v[10:11]
	v_fma_f64 v[44:45], v[48:49], v[8:9], -v[44:45]
	v_add_f64 v[38:39], v[38:39], v[44:45]
	v_mul_f64 v[44:45], v[18:19], v[2:3]
	v_mul_f64 v[2:3], v[16:17], v[2:3]
	v_fma_f64 v[20:21], v[48:49], v[0:1], -v[20:21]
	v_fmac_f64_e32 v[22:23], v[50:51], v[0:1]
	v_fma_f64 v[44:45], v[16:17], v[0:1], -v[44:45]
	v_fmac_f64_e32 v[2:3], v[18:19], v[0:1]
	v_mul_f64 v[0:1], v[18:19], v[10:11]
	v_mul_f64 v[46:47], v[48:49], v[10:11]
	v_add_f64 v[40:41], v[40:41], v[44:45]
	v_fma_f64 v[44:45], v[16:17], v[8:9], -v[0:1]
	v_mul_f64 v[16:17], v[16:17], v[10:11]
	v_fmac_f64_e32 v[46:47], v[50:51], v[8:9]
	v_add_f64 v[42:43], v[2:3], v[42:43]
	v_fmac_f64_e32 v[16:17], v[18:19], v[8:9]
	ds_read_b128 v[0:3], v31 offset:64
	ds_read_b128 v[8:11], v30 offset:2048
	v_add_f64 v[36:37], v[46:47], v[36:37]
	v_add_f64 v[44:45], v[12:13], v[44:45]
	;; [unrolled: 1-line block ×3, first 2 shown]
	ds_read_b128 v[12:15], v30 offset:2304
	ds_read_b128 v[16:19], v31 offset:80
	s_waitcnt lgkmcnt(2)
	v_mul_f64 v[48:49], v[2:3], v[10:11]
	v_add_f64 v[20:21], v[52:53], v[20:21]
	v_fma_f64 v[48:49], v[0:1], v[8:9], -v[48:49]
	v_mul_f64 v[50:51], v[0:1], v[10:11]
	v_add_f64 v[22:23], v[22:23], v[54:55]
	v_fmac_f64_e32 v[50:51], v[2:3], v[8:9]
	v_add_f64 v[48:49], v[20:21], v[48:49]
	s_waitcnt lgkmcnt(1)
	v_mul_f64 v[20:21], v[2:3], v[14:15]
	v_add_f64 v[50:51], v[50:51], v[22:23]
	v_fma_f64 v[52:53], v[0:1], v[12:13], -v[20:21]
	ds_read_b128 v[20:23], v31 offset:2112
	v_mul_f64 v[0:1], v[0:1], v[14:15]
	v_fmac_f64_e32 v[0:1], v[2:3], v[12:13]
	v_add_f64 v[38:39], v[38:39], v[52:53]
	v_add_f64 v[36:37], v[0:1], v[36:37]
	ds_read_b128 v[0:3], v31 offset:2128
	s_waitcnt lgkmcnt(1)
	v_mul_f64 v[52:53], v[22:23], v[10:11]
	v_mul_f64 v[10:11], v[20:21], v[10:11]
	v_fma_f64 v[52:53], v[20:21], v[8:9], -v[52:53]
	v_fmac_f64_e32 v[10:11], v[22:23], v[8:9]
	v_mul_f64 v[8:9], v[22:23], v[14:15]
	v_add_f64 v[40:41], v[40:41], v[52:53]
	v_add_f64 v[42:43], v[10:11], v[42:43]
	v_fma_f64 v[52:53], v[20:21], v[12:13], -v[8:9]
	v_mul_f64 v[14:15], v[20:21], v[14:15]
	ds_read_b128 v[8:11], v30 offset:2560
	v_fmac_f64_e32 v[14:15], v[22:23], v[12:13]
	v_add_f64 v[22:23], v[14:15], v[46:47]
	ds_read_b128 v[12:15], v30 offset:2816
	v_add_f64 v[20:21], v[44:45], v[52:53]
	s_waitcnt lgkmcnt(1)
	v_mul_f64 v[44:45], v[18:19], v[10:11]
	v_fma_f64 v[44:45], v[16:17], v[8:9], -v[44:45]
	v_add_f64 v[44:45], v[48:49], v[44:45]
	s_waitcnt lgkmcnt(0)
	v_mul_f64 v[48:49], v[18:19], v[14:15]
	v_mul_f64 v[46:47], v[16:17], v[10:11]
	v_fma_f64 v[48:49], v[16:17], v[12:13], -v[48:49]
	v_mul_f64 v[16:17], v[16:17], v[14:15]
	v_fmac_f64_e32 v[16:17], v[18:19], v[12:13]
	v_add_f64 v[36:37], v[16:17], v[36:37]
	v_mul_f64 v[16:17], v[2:3], v[10:11]
	v_mul_f64 v[10:11], v[0:1], v[10:11]
	v_fmac_f64_e32 v[46:47], v[18:19], v[8:9]
	v_fma_f64 v[16:17], v[0:1], v[8:9], -v[16:17]
	v_fmac_f64_e32 v[10:11], v[2:3], v[8:9]
	v_mul_f64 v[8:9], v[2:3], v[14:15]
	v_mul_f64 v[14:15], v[0:1], v[14:15]
	v_add_f64 v[40:41], v[40:41], v[16:17]
	v_add_f64 v[42:43], v[10:11], v[42:43]
	v_fma_f64 v[16:17], v[0:1], v[12:13], -v[8:9]
	v_fmac_f64_e32 v[14:15], v[2:3], v[12:13]
	ds_read_b128 v[0:3], v31 offset:96
	ds_read_b128 v[8:11], v30 offset:3072
	v_add_f64 v[46:47], v[46:47], v[50:51]
	v_add_f64 v[38:39], v[38:39], v[48:49]
	;; [unrolled: 1-line block ×4, first 2 shown]
	ds_read_b128 v[12:15], v30 offset:3328
	ds_read_b128 v[16:19], v31 offset:112
	s_waitcnt lgkmcnt(2)
	v_mul_f64 v[20:21], v[2:3], v[10:11]
	v_fma_f64 v[20:21], v[0:1], v[8:9], -v[20:21]
	v_mul_f64 v[22:23], v[0:1], v[10:11]
	v_fmac_f64_e32 v[22:23], v[2:3], v[8:9]
	v_add_f64 v[44:45], v[44:45], v[20:21]
	s_waitcnt lgkmcnt(1)
	v_mul_f64 v[20:21], v[2:3], v[14:15]
	v_add_f64 v[46:47], v[22:23], v[46:47]
	v_fma_f64 v[52:53], v[0:1], v[12:13], -v[20:21]
	ds_read_b128 v[20:23], v31 offset:2144
	v_mul_f64 v[0:1], v[0:1], v[14:15]
	v_fmac_f64_e32 v[0:1], v[2:3], v[12:13]
	v_add_f64 v[54:55], v[0:1], v[36:37]
	ds_read_b128 v[0:3], v31 offset:2160
	s_waitcnt lgkmcnt(1)
	v_mul_f64 v[36:37], v[22:23], v[10:11]
	v_mul_f64 v[10:11], v[20:21], v[10:11]
	v_fma_f64 v[36:37], v[20:21], v[8:9], -v[36:37]
	v_fmac_f64_e32 v[10:11], v[22:23], v[8:9]
	v_mul_f64 v[8:9], v[22:23], v[14:15]
	v_add_f64 v[40:41], v[40:41], v[36:37]
	v_add_f64 v[42:43], v[10:11], v[42:43]
	v_fma_f64 v[36:37], v[20:21], v[12:13], -v[8:9]
	ds_read_b128 v[8:11], v30 offset:3584
	v_add_f64 v[52:53], v[38:39], v[52:53]
	v_add_f64 v[48:49], v[48:49], v[36:37]
	ds_read_b128 v[36:39], v30 offset:3840
	v_mul_f64 v[14:15], v[20:21], v[14:15]
	v_fmac_f64_e32 v[14:15], v[22:23], v[12:13]
	s_waitcnt lgkmcnt(1)
	v_mul_f64 v[12:13], v[18:19], v[10:11]
	v_fma_f64 v[12:13], v[16:17], v[8:9], -v[12:13]
	v_add_f64 v[50:51], v[14:15], v[50:51]
	v_mul_f64 v[14:15], v[16:17], v[10:11]
	v_add_f64 v[20:21], v[44:45], v[12:13]
	s_waitcnt lgkmcnt(0)
	v_mul_f64 v[12:13], v[18:19], v[38:39]
	v_fmac_f64_e32 v[14:15], v[18:19], v[8:9]
	v_fma_f64 v[12:13], v[16:17], v[36:37], -v[12:13]
	v_add_f64 v[22:23], v[14:15], v[46:47]
	v_mul_f64 v[14:15], v[16:17], v[38:39]
	v_add_f64 v[16:17], v[52:53], v[12:13]
	v_mul_f64 v[12:13], v[2:3], v[10:11]
	v_mul_f64 v[10:11], v[0:1], v[10:11]
	v_fma_f64 v[12:13], v[0:1], v[8:9], -v[12:13]
	v_fmac_f64_e32 v[10:11], v[2:3], v[8:9]
	v_mul_f64 v[8:9], v[2:3], v[38:39]
	v_fma_f64 v[8:9], v[0:1], v[36:37], -v[8:9]
	v_mul_f64 v[0:1], v[0:1], v[38:39]
	v_fmac_f64_e32 v[14:15], v[18:19], v[36:37]
	v_fmac_f64_e32 v[0:1], v[2:3], v[36:37]
	v_add_f64 v[18:19], v[14:15], v[54:55]
	v_add_f64 v[12:13], v[40:41], v[12:13]
	;; [unrolled: 1-line block ×5, first 2 shown]
	v_lshl_add_u64 v[4:5], v[4:5], 0, s[22:23]
	s_cmp_lt_i32 s5, s7
	v_lshl_add_u64 v[6:7], v[6:7], 0, s[16:17]
	s_barrier
	s_cbranch_scc0 .LBB398_14
.LBB398_8:                              ; =>This Inner Loop Header: Depth=1
	v_add_u32_e32 v0, s5, v27
	v_cmp_le_i32_e64 s[2:3], s7, v0
	s_or_b64 s[2:3], s[24:25], s[2:3]
	s_and_saveexec_b64 s[28:29], s[2:3]
	s_xor_b64 s[2:3], exec, s[28:29]
; %bb.9:                                ;   in Loop: Header=BB398_8 Depth=1
	ds_write_b128 v28, v[32:35]
; %bb.10:                               ;   in Loop: Header=BB398_8 Depth=1
	s_andn2_saveexec_b64 s[2:3], s[2:3]
	s_cbranch_execz .LBB398_12
; %bb.11:                               ;   in Loop: Header=BB398_8 Depth=1
	flat_load_dwordx4 v[0:3], v[4:5]
	s_waitcnt vmcnt(0) lgkmcnt(0)
	ds_write2_b64 v28, v[0:1], v[2:3] offset1:1
.LBB398_12:                             ;   in Loop: Header=BB398_8 Depth=1
	s_or_b64 exec, exec, s[2:3]
	v_add_u32_e32 v0, s5, v26
	v_cmp_gt_i32_e64 s[2:3], s7, v0
	s_and_b64 s[28:29], s[2:3], vcc
	v_mov_b64_e32 v[0:1], 0
	v_mov_b64_e32 v[2:3], 0
	s_and_saveexec_b64 s[2:3], s[28:29]
	s_cbranch_execz .LBB398_7
; %bb.13:                               ;   in Loop: Header=BB398_8 Depth=1
	flat_load_dwordx4 v[0:3], v[6:7]
	s_waitcnt vmcnt(0) lgkmcnt(0)
	v_xor_b32_e32 v3, 0x80000000, v3
	s_branch .LBB398_7
.LBB398_14:
	s_load_dwordx2 s[2:3], s[0:1], 0x58
	s_load_dword s7, s[0:1], 0x50
	v_add_u32_e32 v4, s4, v24
	v_add_u32_e32 v26, s26, v25
	v_cmp_neq_f64_e64 s[0:1], s[8:9], 0
	s_waitcnt lgkmcnt(0)
	s_lshl_b64 s[2:3], s[2:3], 4
	s_add_u32 s4, s20, s2
	s_addc_u32 s5, s21, s3
	s_xor_b64 s[16:17], s[18:19], -1
	v_mad_i64_i32 v[0:1], s[18:19], v26, s7, 0
	s_or_b64 s[0:1], s[0:1], s[16:17]
	v_cmp_gt_i32_e64 s[2:3], s6, v26
	v_lshl_add_u64 v[24:25], v[0:1], 4, s[4:5]
	v_cmp_le_i32_e32 vcc, v4, v26
	v_cndmask_b32_e64 v0, 0, 1, s[0:1]
	s_and_b64 s[18:19], s[2:3], vcc
	v_ashrrev_i32_e32 v5, 31, v4
	v_cmp_ne_u32_e64 s[0:1], 1, v0
	s_and_saveexec_b64 s[16:17], s[18:19]
	s_cbranch_execz .LBB398_18
; %bb.15:
	v_mul_f64 v[0:1], s[14:15], v[22:23]
	v_mul_f64 v[2:3], s[12:13], v[22:23]
	v_fma_f64 v[0:1], s[12:13], v[20:21], -v[0:1]
	v_fmac_f64_e32 v[2:3], s[14:15], v[20:21]
	s_and_b64 vcc, exec, s[0:1]
	v_lshl_add_u64 v[6:7], v[4:5], 4, v[24:25]
	s_cbranch_vccnz .LBB398_17
; %bb.16:
	flat_load_dwordx4 v[20:23], v[6:7]
	s_waitcnt vmcnt(0) lgkmcnt(0)
	v_mul_f64 v[28:29], s[10:11], v[22:23]
	v_mul_f64 v[22:23], s[8:9], v[22:23]
	v_fma_f64 v[28:29], s[8:9], v[20:21], -v[28:29]
	v_fmac_f64_e32 v[22:23], s[10:11], v[20:21]
	v_add_f64 v[0:1], v[0:1], v[28:29]
	v_add_f64 v[2:3], v[2:3], v[22:23]
.LBB398_17:
	flat_store_dwordx4 v[6:7], v[0:3]
.LBB398_18:
	s_or_b64 exec, exec, s[16:17]
	v_add_u32_e32 v6, 16, v4
	v_cmp_le_i32_e32 vcc, v6, v26
	s_and_b64 s[16:17], s[2:3], vcc
	v_ashrrev_i32_e32 v7, 31, v6
	s_and_saveexec_b64 s[2:3], s[16:17]
	s_cbranch_execz .LBB398_22
; %bb.19:
	v_mul_f64 v[0:1], s[14:15], v[18:19]
	v_mul_f64 v[2:3], s[12:13], v[18:19]
	v_fma_f64 v[0:1], s[12:13], v[16:17], -v[0:1]
	v_fmac_f64_e32 v[2:3], s[14:15], v[16:17]
	s_and_b64 vcc, exec, s[0:1]
	v_lshl_add_u64 v[16:17], v[6:7], 4, v[24:25]
	s_cbranch_vccnz .LBB398_21
; %bb.20:
	flat_load_dwordx4 v[18:21], v[16:17]
	s_waitcnt vmcnt(0) lgkmcnt(0)
	v_mul_f64 v[22:23], s[10:11], v[20:21]
	v_mul_f64 v[20:21], s[8:9], v[20:21]
	v_fma_f64 v[22:23], s[8:9], v[18:19], -v[22:23]
	v_fmac_f64_e32 v[20:21], s[10:11], v[18:19]
	v_add_f64 v[0:1], v[0:1], v[22:23]
	v_add_f64 v[2:3], v[2:3], v[20:21]
.LBB398_21:
	flat_store_dwordx4 v[16:17], v[0:3]
.LBB398_22:
	s_or_b64 exec, exec, s[2:3]
	v_add_u32_e32 v18, 16, v26
	v_cmp_gt_i32_e64 s[2:3], s6, v18
	v_mad_i64_i32 v[0:1], s[6:7], v18, s7, 0
	v_cmp_le_i32_e32 vcc, v4, v18
	v_lshl_add_u64 v[16:17], v[0:1], 4, s[4:5]
	s_and_b64 s[6:7], s[2:3], vcc
	s_and_saveexec_b64 s[4:5], s[6:7]
	s_cbranch_execz .LBB398_26
; %bb.23:
	v_mul_f64 v[0:1], s[14:15], v[14:15]
	v_mul_f64 v[2:3], s[12:13], v[14:15]
	v_fma_f64 v[0:1], s[12:13], v[12:13], -v[0:1]
	v_fmac_f64_e32 v[2:3], s[14:15], v[12:13]
	s_and_b64 vcc, exec, s[0:1]
	v_lshl_add_u64 v[4:5], v[4:5], 4, v[16:17]
	s_cbranch_vccnz .LBB398_25
; %bb.24:
	flat_load_dwordx4 v[12:15], v[4:5]
	s_waitcnt vmcnt(0) lgkmcnt(0)
	v_mul_f64 v[20:21], s[10:11], v[14:15]
	v_mul_f64 v[14:15], s[8:9], v[14:15]
	v_fma_f64 v[20:21], s[8:9], v[12:13], -v[20:21]
	v_fmac_f64_e32 v[14:15], s[10:11], v[12:13]
	v_add_f64 v[0:1], v[0:1], v[20:21]
	v_add_f64 v[2:3], v[2:3], v[14:15]
.LBB398_25:
	flat_store_dwordx4 v[4:5], v[0:3]
.LBB398_26:
	s_or_b64 exec, exec, s[4:5]
	v_cmp_le_i32_e32 vcc, v6, v18
	s_and_b64 s[2:3], s[2:3], vcc
	s_and_saveexec_b64 s[4:5], s[2:3]
	s_cbranch_execz .LBB398_30
; %bb.27:
	v_mul_f64 v[0:1], s[14:15], v[8:9]
	v_mul_f64 v[2:3], s[12:13], v[8:9]
	v_fma_f64 v[0:1], s[12:13], v[10:11], -v[0:1]
	v_fmac_f64_e32 v[2:3], s[14:15], v[10:11]
	s_and_b64 vcc, exec, s[0:1]
	v_lshl_add_u64 v[4:5], v[6:7], 4, v[16:17]
	s_cbranch_vccnz .LBB398_29
; %bb.28:
	flat_load_dwordx4 v[6:9], v[4:5]
	s_waitcnt vmcnt(0) lgkmcnt(0)
	v_mul_f64 v[10:11], s[10:11], v[8:9]
	v_mul_f64 v[8:9], s[8:9], v[8:9]
	v_fma_f64 v[10:11], s[8:9], v[6:7], -v[10:11]
	v_fmac_f64_e32 v[8:9], s[10:11], v[6:7]
	v_add_f64 v[0:1], v[0:1], v[10:11]
	v_add_f64 v[2:3], v[2:3], v[8:9]
.LBB398_29:
	flat_store_dwordx4 v[4:5], v[0:3]
.LBB398_30:
	s_endpgm
	.section	.rodata,"a",@progbits
	.p2align	6, 0x0
	.amdhsa_kernel _ZL29rocblas_internal_gemmt_kernelIiLi16ELi32ELi8ELc78ELc67ELc85ELb0ELb1E19rocblas_complex_numIdEPKS1_PKS3_PKPS1_EviT_T9_T10_S9_lSB_S9_lSA_T11_S9_li
		.amdhsa_group_segment_fixed_size 8192
		.amdhsa_private_segment_fixed_size 0
		.amdhsa_kernarg_size 100
		.amdhsa_user_sgpr_count 2
		.amdhsa_user_sgpr_dispatch_ptr 0
		.amdhsa_user_sgpr_queue_ptr 0
		.amdhsa_user_sgpr_kernarg_segment_ptr 1
		.amdhsa_user_sgpr_dispatch_id 0
		.amdhsa_user_sgpr_kernarg_preload_length 0
		.amdhsa_user_sgpr_kernarg_preload_offset 0
		.amdhsa_user_sgpr_private_segment_size 0
		.amdhsa_uses_dynamic_stack 0
		.amdhsa_enable_private_segment 0
		.amdhsa_system_sgpr_workgroup_id_x 1
		.amdhsa_system_sgpr_workgroup_id_y 1
		.amdhsa_system_sgpr_workgroup_id_z 1
		.amdhsa_system_sgpr_workgroup_info 0
		.amdhsa_system_vgpr_workitem_id 1
		.amdhsa_next_free_vgpr 62
		.amdhsa_next_free_sgpr 38
		.amdhsa_accum_offset 64
		.amdhsa_reserve_vcc 1
		.amdhsa_float_round_mode_32 0
		.amdhsa_float_round_mode_16_64 0
		.amdhsa_float_denorm_mode_32 3
		.amdhsa_float_denorm_mode_16_64 3
		.amdhsa_dx10_clamp 1
		.amdhsa_ieee_mode 1
		.amdhsa_fp16_overflow 0
		.amdhsa_tg_split 0
		.amdhsa_exception_fp_ieee_invalid_op 0
		.amdhsa_exception_fp_denorm_src 0
		.amdhsa_exception_fp_ieee_div_zero 0
		.amdhsa_exception_fp_ieee_overflow 0
		.amdhsa_exception_fp_ieee_underflow 0
		.amdhsa_exception_fp_ieee_inexact 0
		.amdhsa_exception_int_div_zero 0
	.end_amdhsa_kernel
	.section	.text._ZL29rocblas_internal_gemmt_kernelIiLi16ELi32ELi8ELc78ELc67ELc85ELb0ELb1E19rocblas_complex_numIdEPKS1_PKS3_PKPS1_EviT_T9_T10_S9_lSB_S9_lSA_T11_S9_li,"axG",@progbits,_ZL29rocblas_internal_gemmt_kernelIiLi16ELi32ELi8ELc78ELc67ELc85ELb0ELb1E19rocblas_complex_numIdEPKS1_PKS3_PKPS1_EviT_T9_T10_S9_lSB_S9_lSA_T11_S9_li,comdat
.Lfunc_end398:
	.size	_ZL29rocblas_internal_gemmt_kernelIiLi16ELi32ELi8ELc78ELc67ELc85ELb0ELb1E19rocblas_complex_numIdEPKS1_PKS3_PKPS1_EviT_T9_T10_S9_lSB_S9_lSA_T11_S9_li, .Lfunc_end398-_ZL29rocblas_internal_gemmt_kernelIiLi16ELi32ELi8ELc78ELc67ELc85ELb0ELb1E19rocblas_complex_numIdEPKS1_PKS3_PKPS1_EviT_T9_T10_S9_lSB_S9_lSA_T11_S9_li
                                        ; -- End function
	.set _ZL29rocblas_internal_gemmt_kernelIiLi16ELi32ELi8ELc78ELc67ELc85ELb0ELb1E19rocblas_complex_numIdEPKS1_PKS3_PKPS1_EviT_T9_T10_S9_lSB_S9_lSA_T11_S9_li.num_vgpr, 62
	.set _ZL29rocblas_internal_gemmt_kernelIiLi16ELi32ELi8ELc78ELc67ELc85ELb0ELb1E19rocblas_complex_numIdEPKS1_PKS3_PKPS1_EviT_T9_T10_S9_lSB_S9_lSA_T11_S9_li.num_agpr, 0
	.set _ZL29rocblas_internal_gemmt_kernelIiLi16ELi32ELi8ELc78ELc67ELc85ELb0ELb1E19rocblas_complex_numIdEPKS1_PKS3_PKPS1_EviT_T9_T10_S9_lSB_S9_lSA_T11_S9_li.numbered_sgpr, 38
	.set _ZL29rocblas_internal_gemmt_kernelIiLi16ELi32ELi8ELc78ELc67ELc85ELb0ELb1E19rocblas_complex_numIdEPKS1_PKS3_PKPS1_EviT_T9_T10_S9_lSB_S9_lSA_T11_S9_li.num_named_barrier, 0
	.set _ZL29rocblas_internal_gemmt_kernelIiLi16ELi32ELi8ELc78ELc67ELc85ELb0ELb1E19rocblas_complex_numIdEPKS1_PKS3_PKPS1_EviT_T9_T10_S9_lSB_S9_lSA_T11_S9_li.private_seg_size, 0
	.set _ZL29rocblas_internal_gemmt_kernelIiLi16ELi32ELi8ELc78ELc67ELc85ELb0ELb1E19rocblas_complex_numIdEPKS1_PKS3_PKPS1_EviT_T9_T10_S9_lSB_S9_lSA_T11_S9_li.uses_vcc, 1
	.set _ZL29rocblas_internal_gemmt_kernelIiLi16ELi32ELi8ELc78ELc67ELc85ELb0ELb1E19rocblas_complex_numIdEPKS1_PKS3_PKPS1_EviT_T9_T10_S9_lSB_S9_lSA_T11_S9_li.uses_flat_scratch, 0
	.set _ZL29rocblas_internal_gemmt_kernelIiLi16ELi32ELi8ELc78ELc67ELc85ELb0ELb1E19rocblas_complex_numIdEPKS1_PKS3_PKPS1_EviT_T9_T10_S9_lSB_S9_lSA_T11_S9_li.has_dyn_sized_stack, 0
	.set _ZL29rocblas_internal_gemmt_kernelIiLi16ELi32ELi8ELc78ELc67ELc85ELb0ELb1E19rocblas_complex_numIdEPKS1_PKS3_PKPS1_EviT_T9_T10_S9_lSB_S9_lSA_T11_S9_li.has_recursion, 0
	.set _ZL29rocblas_internal_gemmt_kernelIiLi16ELi32ELi8ELc78ELc67ELc85ELb0ELb1E19rocblas_complex_numIdEPKS1_PKS3_PKPS1_EviT_T9_T10_S9_lSB_S9_lSA_T11_S9_li.has_indirect_call, 0
	.section	.AMDGPU.csdata,"",@progbits
; Kernel info:
; codeLenInByte = 3136
; TotalNumSgprs: 44
; NumVgprs: 62
; NumAgprs: 0
; TotalNumVgprs: 62
; ScratchSize: 0
; MemoryBound: 1
; FloatMode: 240
; IeeeMode: 1
; LDSByteSize: 8192 bytes/workgroup (compile time only)
; SGPRBlocks: 5
; VGPRBlocks: 7
; NumSGPRsForWavesPerEU: 44
; NumVGPRsForWavesPerEU: 62
; AccumOffset: 64
; Occupancy: 8
; WaveLimiterHint : 1
; COMPUTE_PGM_RSRC2:SCRATCH_EN: 0
; COMPUTE_PGM_RSRC2:USER_SGPR: 2
; COMPUTE_PGM_RSRC2:TRAP_HANDLER: 0
; COMPUTE_PGM_RSRC2:TGID_X_EN: 1
; COMPUTE_PGM_RSRC2:TGID_Y_EN: 1
; COMPUTE_PGM_RSRC2:TGID_Z_EN: 1
; COMPUTE_PGM_RSRC2:TIDIG_COMP_CNT: 1
; COMPUTE_PGM_RSRC3_GFX90A:ACCUM_OFFSET: 15
; COMPUTE_PGM_RSRC3_GFX90A:TG_SPLIT: 0
	.section	.text._ZL29rocblas_internal_gemmt_kernelIiLi16ELi32ELi8ELc84ELc78ELc85ELb0ELb0E19rocblas_complex_numIdEPKS1_PKS3_PKPS1_EviT_T9_T10_S9_lSB_S9_lSA_T11_S9_li,"axG",@progbits,_ZL29rocblas_internal_gemmt_kernelIiLi16ELi32ELi8ELc84ELc78ELc85ELb0ELb0E19rocblas_complex_numIdEPKS1_PKS3_PKPS1_EviT_T9_T10_S9_lSB_S9_lSA_T11_S9_li,comdat
	.globl	_ZL29rocblas_internal_gemmt_kernelIiLi16ELi32ELi8ELc84ELc78ELc85ELb0ELb0E19rocblas_complex_numIdEPKS1_PKS3_PKPS1_EviT_T9_T10_S9_lSB_S9_lSA_T11_S9_li ; -- Begin function _ZL29rocblas_internal_gemmt_kernelIiLi16ELi32ELi8ELc84ELc78ELc85ELb0ELb0E19rocblas_complex_numIdEPKS1_PKS3_PKPS1_EviT_T9_T10_S9_lSB_S9_lSA_T11_S9_li
	.p2align	8
	.type	_ZL29rocblas_internal_gemmt_kernelIiLi16ELi32ELi8ELc84ELc78ELc85ELb0ELb0E19rocblas_complex_numIdEPKS1_PKS3_PKPS1_EviT_T9_T10_S9_lSB_S9_lSA_T11_S9_li,@function
_ZL29rocblas_internal_gemmt_kernelIiLi16ELi32ELi8ELc84ELc78ELc85ELb0ELb0E19rocblas_complex_numIdEPKS1_PKS3_PKPS1_EviT_T9_T10_S9_lSB_S9_lSA_T11_S9_li: ; @_ZL29rocblas_internal_gemmt_kernelIiLi16ELi32ELi8ELc84ELc78ELc85ELb0ELb0E19rocblas_complex_numIdEPKS1_PKS3_PKPS1_EviT_T9_T10_S9_lSB_S9_lSA_T11_S9_li
; %bb.0:
	s_load_dwordx4 s[16:19], s[0:1], 0x38
	s_load_dwordx4 s[20:23], s[0:1], 0x8
	s_mov_b64 s[24:25], 0
	s_waitcnt lgkmcnt(0)
	s_load_dwordx4 s[8:11], s[18:19], 0x0
	s_load_dwordx2 s[6:7], s[0:1], 0x0
	s_load_dwordx4 s[12:15], s[20:21], 0x0
	s_waitcnt lgkmcnt(0)
	v_cmp_eq_f64_e64 s[20:21], s[8:9], 1.0
	v_cmp_eq_f64_e64 s[18:19], s[10:11], 0
	s_and_b64 s[20:21], s[20:21], s[18:19]
	s_andn2_b64 vcc, exec, s[20:21]
	s_mov_b64 s[20:21], -1
	s_cbranch_vccnz .LBB399_4
; %bb.1:
	s_cmp_lg_u32 s7, 0
	s_cbranch_scc0 .LBB399_3
; %bb.2:
	v_cmp_neq_f64_e64 s[20:21], s[12:13], 0
	v_cmp_neq_f64_e64 s[24:25], s[14:15], 0
	s_or_b64 s[24:25], s[20:21], s[24:25]
.LBB399_3:
	s_mov_b64 s[20:21], s[24:25]
.LBB399_4:
	s_and_b64 vcc, exec, s[20:21]
	s_cbranch_vccz .LBB399_32
; %bb.5:
	s_load_dwordx2 s[20:21], s[0:1], 0x48
	s_mov_b32 s5, 0
	s_lshl_b64 s[24:25], s[4:5], 3
	v_cmp_eq_f64_e64 s[28:29], s[14:15], 0
	v_and_b32_e32 v24, 0x3ff, v0
	s_waitcnt lgkmcnt(0)
	s_add_u32 s20, s20, s24
	s_addc_u32 s21, s21, s25
	s_lshl_b32 s4, s2, 5
	s_lshl_b32 s26, s3, 5
	v_cmp_eq_f64_e64 s[2:3], s[12:13], 0
	s_load_dwordx2 s[20:21], s[20:21], 0x0
	s_and_b64 s[2:3], s[2:3], s[28:29]
	s_cmp_lt_i32 s7, 1
	s_cselect_b64 s[28:29], -1, 0
	s_or_b64 s[2:3], s[2:3], s[28:29]
	v_bfe_u32 v25, v0, 10, 10
	v_mov_b64_e32 v[20:21], 0
	s_and_b64 vcc, exec, s[2:3]
	v_mov_b64_e32 v[22:23], 0
	v_mov_b64_e32 v[16:17], 0
	;; [unrolled: 1-line block ×7, first 2 shown]
	s_cbranch_vccnz .LBB399_16
; %bb.6:
	s_load_dword s27, s[0:1], 0x18
	s_load_dwordx4 s[28:31], s[0:1], 0x20
	s_load_dword s33, s[0:1], 0x30
	v_lshl_add_u32 v0, v25, 4, v24
	v_lshrrev_b32_e32 v27, 5, v0
	v_lshrrev_b32_e32 v1, 3, v0
	v_and_b32_e32 v0, 31, v0
	v_or_b32_e32 v2, s4, v0
	s_waitcnt lgkmcnt(0)
	s_add_u32 s2, s30, s24
	v_and_b32_e32 v26, 7, v24
	s_addc_u32 s3, s31, s25
	v_cmp_gt_i32_e32 vcc, s6, v2
	v_lshlrev_b32_e32 v2, 4, v0
	s_load_dwordx2 s[30:31], s[2:3], 0x0
	s_add_u32 s2, s22, s24
	v_lshl_or_b32 v28, v27, 9, v2
	v_lshlrev_b32_e32 v2, 4, v26
	v_add_u32_e32 v3, s26, v1
	s_addc_u32 s3, s23, s25
	v_lshl_or_b32 v1, v1, 7, v2
	s_load_dwordx2 s[22:23], s[2:3], 0x0
	v_add_u32_e32 v29, 0x1000, v1
	v_mov_b32_e32 v1, 0x1000
	v_add_u32_e32 v0, s4, v0
	v_lshl_add_u32 v31, v25, 7, v1
	v_mad_i64_i32 v[0:1], s[24:25], s27, v0, 0
	s_lshl_b64 s[24:25], s[28:29], 4
	s_nop 0
	v_lshl_add_u64 v[4:5], v[0:1], 4, s[24:25]
	v_lshlrev_b32_e32 v0, 4, v27
	v_mov_b32_e32 v1, 0
	v_lshl_add_u64 v[4:5], v[4:5], 0, v[0:1]
	s_waitcnt lgkmcnt(0)
	v_lshl_add_u64 v[4:5], s[22:23], 0, v[4:5]
	v_mad_i64_i32 v[6:7], s[22:23], s33, v3, 0
	s_lshl_b64 s[16:17], s[16:17], 4
	v_cmp_gt_i32_e64 s[2:3], s6, v3
	v_lshl_add_u64 v[6:7], v[6:7], 4, s[16:17]
	v_mov_b32_e32 v3, v1
	v_lshl_add_u64 v[2:3], v[6:7], 0, v[2:3]
	v_lshlrev_b32_e32 v30, 4, v24
	v_lshl_add_u64 v[6:7], s[30:31], 0, v[2:3]
	v_mov_b64_e32 v[8:9], 0
	s_xor_b64 s[16:17], vcc, -1
	s_xor_b64 s[2:3], s[2:3], -1
	s_mov_b64 s[22:23], 0x80
	v_mov_b32_e32 v0, v1
	v_mov_b32_e32 v2, v1
	;; [unrolled: 1-line block ×3, first 2 shown]
	v_mov_b64_e32 v[10:11], 0
	v_mov_b64_e32 v[14:15], 0
	;; [unrolled: 1-line block ×7, first 2 shown]
	s_branch .LBB399_8
.LBB399_7:                              ;   in Loop: Header=BB399_8 Depth=1
	s_or_b64 exec, exec, s[24:25]
	s_waitcnt lgkmcnt(0)
	s_barrier
	ds_read_b128 v[32:35], v30
	ds_read_b128 v[36:39], v31
	ds_read_b128 v[40:43], v31 offset:16
	ds_read_b128 v[44:47], v31 offset:32
	;; [unrolled: 1-line block ×4, first 2 shown]
	s_waitcnt lgkmcnt(4)
	v_mul_f64 v[56:57], v[38:39], v[34:35]
	v_fma_f64 v[56:57], v[36:37], v[32:33], -v[56:57]
	v_mul_f64 v[58:59], v[36:37], v[34:35]
	v_fmac_f64_e32 v[58:59], v[38:39], v[32:33]
	v_add_f64 v[56:57], v[20:21], v[56:57]
	s_waitcnt lgkmcnt(0)
	v_mul_f64 v[20:21], v[38:39], v[54:55]
	v_add_f64 v[58:59], v[58:59], v[22:23]
	v_fma_f64 v[60:61], v[36:37], v[52:53], -v[20:21]
	ds_read_b128 v[20:23], v31 offset:2048
	v_mul_f64 v[36:37], v[36:37], v[54:55]
	v_fmac_f64_e32 v[36:37], v[38:39], v[52:53]
	v_add_f64 v[38:39], v[16:17], v[60:61]
	v_add_f64 v[36:37], v[36:37], v[18:19]
	ds_read_b128 v[16:19], v31 offset:2064
	s_waitcnt lgkmcnt(1)
	v_mul_f64 v[60:61], v[22:23], v[34:35]
	v_fma_f64 v[60:61], v[20:21], v[32:33], -v[60:61]
	v_mul_f64 v[34:35], v[20:21], v[34:35]
	v_fmac_f64_e32 v[34:35], v[22:23], v[32:33]
	v_add_f64 v[32:33], v[12:13], v[60:61]
	v_mul_f64 v[12:13], v[22:23], v[54:55]
	v_add_f64 v[34:35], v[34:35], v[14:15]
	v_fma_f64 v[60:61], v[20:21], v[52:53], -v[12:13]
	v_mul_f64 v[20:21], v[20:21], v[54:55]
	ds_read_b128 v[12:15], v30 offset:512
	v_fmac_f64_e32 v[20:21], v[22:23], v[52:53]
	v_add_f64 v[22:23], v[10:11], v[60:61]
	v_add_f64 v[20:21], v[20:21], v[8:9]
	ds_read_b128 v[8:11], v30 offset:768
	s_waitcnt lgkmcnt(1)
	v_mul_f64 v[52:53], v[42:43], v[14:15]
	v_fma_f64 v[52:53], v[40:41], v[12:13], -v[52:53]
	v_add_f64 v[52:53], v[56:57], v[52:53]
	v_mul_f64 v[54:55], v[40:41], v[14:15]
	s_waitcnt lgkmcnt(0)
	v_mul_f64 v[56:57], v[42:43], v[10:11]
	v_fma_f64 v[56:57], v[40:41], v[8:9], -v[56:57]
	v_mul_f64 v[40:41], v[40:41], v[10:11]
	v_fmac_f64_e32 v[40:41], v[42:43], v[8:9]
	v_add_f64 v[36:37], v[40:41], v[36:37]
	v_mul_f64 v[40:41], v[18:19], v[14:15]
	v_mul_f64 v[14:15], v[16:17], v[14:15]
	v_fmac_f64_e32 v[54:55], v[42:43], v[12:13]
	v_fma_f64 v[40:41], v[16:17], v[12:13], -v[40:41]
	v_fmac_f64_e32 v[14:15], v[18:19], v[12:13]
	v_mul_f64 v[12:13], v[18:19], v[10:11]
	v_add_f64 v[42:43], v[14:15], v[34:35]
	v_fma_f64 v[14:15], v[16:17], v[8:9], -v[12:13]
	v_mul_f64 v[16:17], v[16:17], v[10:11]
	ds_read_b128 v[10:13], v30 offset:1024
	v_fmac_f64_e32 v[16:17], v[18:19], v[8:9]
	v_add_f64 v[38:39], v[38:39], v[56:57]
	v_add_f64 v[22:23], v[22:23], v[14:15]
	;; [unrolled: 1-line block ×3, first 2 shown]
	ds_read_b128 v[14:17], v30 offset:1280
	s_waitcnt lgkmcnt(1)
	v_mul_f64 v[18:19], v[44:45], v[12:13]
	v_add_f64 v[54:55], v[54:55], v[58:59]
	v_fmac_f64_e32 v[18:19], v[46:47], v[10:11]
	v_add_f64 v[54:55], v[18:19], v[54:55]
	ds_read_b128 v[18:21], v31 offset:2080
	v_mul_f64 v[8:9], v[46:47], v[12:13]
	v_fma_f64 v[8:9], v[44:45], v[10:11], -v[8:9]
	v_add_f64 v[40:41], v[32:33], v[40:41]
	v_add_f64 v[52:53], v[52:53], v[8:9]
	s_waitcnt lgkmcnt(1)
	v_mul_f64 v[8:9], v[46:47], v[16:17]
	v_mul_f64 v[32:33], v[44:45], v[16:17]
	v_fma_f64 v[8:9], v[44:45], v[14:15], -v[8:9]
	v_fmac_f64_e32 v[32:33], v[46:47], v[14:15]
	v_add_f64 v[38:39], v[38:39], v[8:9]
	v_add_f64 v[36:37], v[32:33], v[36:37]
	ds_read_b128 v[32:35], v31 offset:2096
	s_waitcnt lgkmcnt(1)
	v_mul_f64 v[8:9], v[20:21], v[12:13]
	v_fma_f64 v[8:9], v[18:19], v[10:11], -v[8:9]
	v_mul_f64 v[12:13], v[18:19], v[12:13]
	v_fmac_f64_e32 v[12:13], v[20:21], v[10:11]
	v_add_f64 v[40:41], v[40:41], v[8:9]
	v_mul_f64 v[8:9], v[20:21], v[16:17]
	v_add_f64 v[42:43], v[12:13], v[42:43]
	v_fma_f64 v[12:13], v[18:19], v[14:15], -v[8:9]
	ds_read_b128 v[8:11], v30 offset:1536
	v_mul_f64 v[16:17], v[18:19], v[16:17]
	v_fmac_f64_e32 v[16:17], v[20:21], v[14:15]
	v_add_f64 v[18:19], v[22:23], v[12:13]
	ds_read_b128 v[12:15], v30 offset:1792
	s_waitcnt lgkmcnt(1)
	v_mul_f64 v[20:21], v[50:51], v[10:11]
	v_fma_f64 v[20:21], v[48:49], v[8:9], -v[20:21]
	v_mul_f64 v[22:23], v[48:49], v[10:11]
	v_fmac_f64_e32 v[22:23], v[50:51], v[8:9]
	v_add_f64 v[44:45], v[52:53], v[20:21]
	s_waitcnt lgkmcnt(0)
	v_mul_f64 v[20:21], v[50:51], v[14:15]
	v_add_f64 v[46:47], v[22:23], v[54:55]
	v_fma_f64 v[20:21], v[48:49], v[12:13], -v[20:21]
	v_mul_f64 v[22:23], v[48:49], v[14:15]
	v_fmac_f64_e32 v[22:23], v[50:51], v[12:13]
	v_add_f64 v[38:39], v[38:39], v[20:21]
	v_mul_f64 v[20:21], v[34:35], v[10:11]
	v_mul_f64 v[10:11], v[32:33], v[10:11]
	v_add_f64 v[36:37], v[22:23], v[36:37]
	v_fma_f64 v[20:21], v[32:33], v[8:9], -v[20:21]
	v_fmac_f64_e32 v[10:11], v[34:35], v[8:9]
	v_mul_f64 v[8:9], v[34:35], v[14:15]
	v_mul_f64 v[22:23], v[32:33], v[14:15]
	v_add_f64 v[40:41], v[40:41], v[20:21]
	v_add_f64 v[42:43], v[10:11], v[42:43]
	v_fma_f64 v[20:21], v[32:33], v[12:13], -v[8:9]
	v_fmac_f64_e32 v[22:23], v[34:35], v[12:13]
	ds_read_b128 v[8:11], v31 offset:64
	ds_read_b128 v[12:15], v30 offset:2048
	v_add_f64 v[16:17], v[16:17], v[56:57]
	v_add_f64 v[48:49], v[18:19], v[20:21]
	;; [unrolled: 1-line block ×3, first 2 shown]
	ds_read_b128 v[16:19], v30 offset:2304
	ds_read_b128 v[20:23], v31 offset:80
	s_waitcnt lgkmcnt(2)
	v_mul_f64 v[32:33], v[10:11], v[14:15]
	v_fma_f64 v[32:33], v[8:9], v[12:13], -v[32:33]
	v_mul_f64 v[34:35], v[8:9], v[14:15]
	v_fmac_f64_e32 v[34:35], v[10:11], v[12:13]
	v_add_f64 v[44:45], v[44:45], v[32:33]
	s_waitcnt lgkmcnt(1)
	v_mul_f64 v[32:33], v[10:11], v[18:19]
	v_add_f64 v[46:47], v[34:35], v[46:47]
	v_fma_f64 v[52:53], v[8:9], v[16:17], -v[32:33]
	ds_read_b128 v[32:35], v31 offset:2112
	v_mul_f64 v[8:9], v[8:9], v[18:19]
	v_fmac_f64_e32 v[8:9], v[10:11], v[16:17]
	v_add_f64 v[38:39], v[38:39], v[52:53]
	v_add_f64 v[36:37], v[8:9], v[36:37]
	ds_read_b128 v[8:11], v31 offset:2128
	s_waitcnt lgkmcnt(1)
	v_mul_f64 v[52:53], v[34:35], v[14:15]
	v_mul_f64 v[14:15], v[32:33], v[14:15]
	v_fma_f64 v[52:53], v[32:33], v[12:13], -v[52:53]
	v_fmac_f64_e32 v[14:15], v[34:35], v[12:13]
	v_mul_f64 v[12:13], v[34:35], v[18:19]
	v_add_f64 v[40:41], v[40:41], v[52:53]
	v_add_f64 v[42:43], v[14:15], v[42:43]
	v_fma_f64 v[52:53], v[32:33], v[16:17], -v[12:13]
	v_mul_f64 v[18:19], v[32:33], v[18:19]
	ds_read_b128 v[12:15], v30 offset:2560
	v_fmac_f64_e32 v[18:19], v[34:35], v[16:17]
	v_add_f64 v[34:35], v[18:19], v[50:51]
	ds_read_b128 v[16:19], v30 offset:2816
	v_add_f64 v[32:33], v[48:49], v[52:53]
	s_waitcnt lgkmcnt(1)
	v_mul_f64 v[48:49], v[22:23], v[14:15]
	v_fma_f64 v[48:49], v[20:21], v[12:13], -v[48:49]
	v_add_f64 v[44:45], v[44:45], v[48:49]
	s_waitcnt lgkmcnt(0)
	v_mul_f64 v[48:49], v[22:23], v[18:19]
	v_mul_f64 v[50:51], v[20:21], v[14:15]
	v_fma_f64 v[48:49], v[20:21], v[16:17], -v[48:49]
	v_mul_f64 v[20:21], v[20:21], v[18:19]
	v_fmac_f64_e32 v[20:21], v[22:23], v[16:17]
	v_add_f64 v[36:37], v[20:21], v[36:37]
	v_mul_f64 v[20:21], v[10:11], v[14:15]
	v_mul_f64 v[14:15], v[8:9], v[14:15]
	v_fmac_f64_e32 v[50:51], v[22:23], v[12:13]
	v_fma_f64 v[20:21], v[8:9], v[12:13], -v[20:21]
	v_fmac_f64_e32 v[14:15], v[10:11], v[12:13]
	v_mul_f64 v[12:13], v[10:11], v[18:19]
	v_mul_f64 v[18:19], v[8:9], v[18:19]
	v_add_f64 v[40:41], v[40:41], v[20:21]
	v_add_f64 v[42:43], v[14:15], v[42:43]
	v_fma_f64 v[20:21], v[8:9], v[16:17], -v[12:13]
	v_fmac_f64_e32 v[18:19], v[10:11], v[16:17]
	ds_read_b128 v[8:11], v31 offset:96
	ds_read_b128 v[12:15], v30 offset:3072
	v_add_f64 v[46:47], v[50:51], v[46:47]
	v_add_f64 v[38:39], v[38:39], v[48:49]
	v_add_f64 v[48:49], v[32:33], v[20:21]
	v_add_f64 v[50:51], v[18:19], v[34:35]
	ds_read_b128 v[16:19], v30 offset:3328
	ds_read_b128 v[32:35], v31 offset:112
	s_waitcnt lgkmcnt(2)
	v_mul_f64 v[20:21], v[10:11], v[14:15]
	v_fma_f64 v[20:21], v[8:9], v[12:13], -v[20:21]
	v_mul_f64 v[22:23], v[8:9], v[14:15]
	v_fmac_f64_e32 v[22:23], v[10:11], v[12:13]
	v_add_f64 v[44:45], v[44:45], v[20:21]
	s_waitcnt lgkmcnt(1)
	v_mul_f64 v[20:21], v[10:11], v[18:19]
	v_add_f64 v[46:47], v[22:23], v[46:47]
	v_fma_f64 v[52:53], v[8:9], v[16:17], -v[20:21]
	ds_read_b128 v[20:23], v31 offset:2144
	v_mul_f64 v[8:9], v[8:9], v[18:19]
	v_fmac_f64_e32 v[8:9], v[10:11], v[16:17]
	v_add_f64 v[54:55], v[8:9], v[36:37]
	ds_read_b128 v[8:11], v31 offset:2160
	s_waitcnt lgkmcnt(1)
	v_mul_f64 v[36:37], v[22:23], v[14:15]
	v_mul_f64 v[14:15], v[20:21], v[14:15]
	v_fma_f64 v[36:37], v[20:21], v[12:13], -v[36:37]
	v_fmac_f64_e32 v[14:15], v[22:23], v[12:13]
	v_mul_f64 v[12:13], v[22:23], v[18:19]
	v_add_f64 v[40:41], v[40:41], v[36:37]
	v_add_f64 v[42:43], v[14:15], v[42:43]
	v_fma_f64 v[36:37], v[20:21], v[16:17], -v[12:13]
	ds_read_b128 v[12:15], v30 offset:3584
	v_add_f64 v[52:53], v[38:39], v[52:53]
	v_add_f64 v[48:49], v[48:49], v[36:37]
	ds_read_b128 v[36:39], v30 offset:3840
	v_mul_f64 v[18:19], v[20:21], v[18:19]
	v_fmac_f64_e32 v[18:19], v[22:23], v[16:17]
	s_waitcnt lgkmcnt(1)
	v_mul_f64 v[16:17], v[34:35], v[14:15]
	v_add_f64 v[50:51], v[18:19], v[50:51]
	v_fma_f64 v[16:17], v[32:33], v[12:13], -v[16:17]
	v_mul_f64 v[18:19], v[32:33], v[14:15]
	v_fmac_f64_e32 v[18:19], v[34:35], v[12:13]
	v_add_f64 v[20:21], v[44:45], v[16:17]
	s_waitcnt lgkmcnt(0)
	v_mul_f64 v[16:17], v[34:35], v[38:39]
	v_add_f64 v[22:23], v[18:19], v[46:47]
	v_fma_f64 v[16:17], v[32:33], v[36:37], -v[16:17]
	v_mul_f64 v[18:19], v[32:33], v[38:39]
	v_mul_f64 v[32:33], v[10:11], v[14:15]
	v_fma_f64 v[32:33], v[8:9], v[12:13], -v[32:33]
	v_mul_f64 v[14:15], v[8:9], v[14:15]
	v_fmac_f64_e32 v[14:15], v[10:11], v[12:13]
	v_add_f64 v[12:13], v[40:41], v[32:33]
	v_mul_f64 v[32:33], v[10:11], v[38:39]
	v_fma_f64 v[32:33], v[8:9], v[36:37], -v[32:33]
	v_mul_f64 v[8:9], v[8:9], v[38:39]
	v_fmac_f64_e32 v[18:19], v[34:35], v[36:37]
	v_fmac_f64_e32 v[8:9], v[10:11], v[36:37]
	s_add_i32 s5, s5, 8
	v_add_f64 v[16:17], v[52:53], v[16:17]
	v_add_f64 v[18:19], v[18:19], v[54:55]
	;; [unrolled: 1-line block ×5, first 2 shown]
	v_lshl_add_u64 v[4:5], v[4:5], 0, s[22:23]
	s_cmp_lt_i32 s5, s7
	v_lshl_add_u64 v[6:7], v[6:7], 0, s[22:23]
	s_barrier
	s_cbranch_scc0 .LBB399_16
.LBB399_8:                              ; =>This Inner Loop Header: Depth=1
	v_add_u32_e32 v32, s5, v27
	v_cmp_le_i32_e32 vcc, s7, v32
	s_or_b64 s[24:25], s[16:17], vcc
	s_and_saveexec_b64 s[28:29], s[24:25]
	s_xor_b64 s[24:25], exec, s[28:29]
; %bb.9:                                ;   in Loop: Header=BB399_8 Depth=1
	ds_write_b128 v28, v[0:3]
; %bb.10:                               ;   in Loop: Header=BB399_8 Depth=1
	s_andn2_saveexec_b64 s[24:25], s[24:25]
	s_cbranch_execz .LBB399_12
; %bb.11:                               ;   in Loop: Header=BB399_8 Depth=1
	flat_load_dwordx4 v[32:35], v[4:5]
	s_waitcnt vmcnt(0) lgkmcnt(0)
	ds_write2_b64 v28, v[32:33], v[34:35] offset1:1
.LBB399_12:                             ;   in Loop: Header=BB399_8 Depth=1
	s_or_b64 exec, exec, s[24:25]
	v_add_u32_e32 v32, s5, v26
	v_cmp_le_i32_e32 vcc, s7, v32
	s_or_b64 s[24:25], vcc, s[2:3]
	s_and_saveexec_b64 s[28:29], s[24:25]
	s_xor_b64 s[24:25], exec, s[28:29]
; %bb.13:                               ;   in Loop: Header=BB399_8 Depth=1
	ds_write_b128 v29, v[0:3]
; %bb.14:                               ;   in Loop: Header=BB399_8 Depth=1
	s_andn2_saveexec_b64 s[24:25], s[24:25]
	s_cbranch_execz .LBB399_7
; %bb.15:                               ;   in Loop: Header=BB399_8 Depth=1
	flat_load_dwordx4 v[32:35], v[6:7]
	s_waitcnt vmcnt(0) lgkmcnt(0)
	ds_write2_b64 v29, v[32:33], v[34:35] offset1:1
	s_branch .LBB399_7
.LBB399_16:
	s_load_dwordx2 s[2:3], s[0:1], 0x58
	s_load_dword s7, s[0:1], 0x50
	v_add_u32_e32 v4, s4, v24
	v_add_u32_e32 v26, s26, v25
	v_cmp_neq_f64_e64 s[0:1], s[8:9], 0
	s_waitcnt lgkmcnt(0)
	s_lshl_b64 s[2:3], s[2:3], 4
	s_add_u32 s4, s20, s2
	s_addc_u32 s5, s21, s3
	s_xor_b64 s[16:17], s[18:19], -1
	v_mad_i64_i32 v[0:1], s[18:19], v26, s7, 0
	s_or_b64 s[0:1], s[0:1], s[16:17]
	v_cmp_gt_i32_e64 s[2:3], s6, v26
	v_lshl_add_u64 v[24:25], v[0:1], 4, s[4:5]
	v_cmp_le_i32_e32 vcc, v4, v26
	v_cndmask_b32_e64 v0, 0, 1, s[0:1]
	s_and_b64 s[18:19], s[2:3], vcc
	v_ashrrev_i32_e32 v5, 31, v4
	v_cmp_ne_u32_e64 s[0:1], 1, v0
	s_and_saveexec_b64 s[16:17], s[18:19]
	s_cbranch_execz .LBB399_20
; %bb.17:
	v_mul_f64 v[0:1], s[14:15], v[22:23]
	v_mul_f64 v[2:3], s[12:13], v[22:23]
	v_fma_f64 v[0:1], s[12:13], v[20:21], -v[0:1]
	v_fmac_f64_e32 v[2:3], s[14:15], v[20:21]
	s_and_b64 vcc, exec, s[0:1]
	v_lshl_add_u64 v[6:7], v[4:5], 4, v[24:25]
	s_cbranch_vccnz .LBB399_19
; %bb.18:
	flat_load_dwordx4 v[20:23], v[6:7]
	s_waitcnt vmcnt(0) lgkmcnt(0)
	v_mul_f64 v[28:29], s[10:11], v[22:23]
	v_mul_f64 v[22:23], s[8:9], v[22:23]
	v_fma_f64 v[28:29], s[8:9], v[20:21], -v[28:29]
	v_fmac_f64_e32 v[22:23], s[10:11], v[20:21]
	v_add_f64 v[0:1], v[0:1], v[28:29]
	v_add_f64 v[2:3], v[2:3], v[22:23]
.LBB399_19:
	flat_store_dwordx4 v[6:7], v[0:3]
.LBB399_20:
	s_or_b64 exec, exec, s[16:17]
	v_add_u32_e32 v6, 16, v4
	v_cmp_le_i32_e32 vcc, v6, v26
	s_and_b64 s[16:17], s[2:3], vcc
	v_ashrrev_i32_e32 v7, 31, v6
	s_and_saveexec_b64 s[2:3], s[16:17]
	s_cbranch_execz .LBB399_24
; %bb.21:
	v_mul_f64 v[0:1], s[14:15], v[18:19]
	v_mul_f64 v[2:3], s[12:13], v[18:19]
	v_fma_f64 v[0:1], s[12:13], v[16:17], -v[0:1]
	v_fmac_f64_e32 v[2:3], s[14:15], v[16:17]
	s_and_b64 vcc, exec, s[0:1]
	v_lshl_add_u64 v[16:17], v[6:7], 4, v[24:25]
	s_cbranch_vccnz .LBB399_23
; %bb.22:
	flat_load_dwordx4 v[18:21], v[16:17]
	s_waitcnt vmcnt(0) lgkmcnt(0)
	v_mul_f64 v[22:23], s[10:11], v[20:21]
	v_mul_f64 v[20:21], s[8:9], v[20:21]
	v_fma_f64 v[22:23], s[8:9], v[18:19], -v[22:23]
	v_fmac_f64_e32 v[20:21], s[10:11], v[18:19]
	v_add_f64 v[0:1], v[0:1], v[22:23]
	v_add_f64 v[2:3], v[2:3], v[20:21]
.LBB399_23:
	flat_store_dwordx4 v[16:17], v[0:3]
.LBB399_24:
	s_or_b64 exec, exec, s[2:3]
	v_add_u32_e32 v18, 16, v26
	v_cmp_gt_i32_e64 s[2:3], s6, v18
	v_mad_i64_i32 v[0:1], s[6:7], v18, s7, 0
	v_cmp_le_i32_e32 vcc, v4, v18
	v_lshl_add_u64 v[16:17], v[0:1], 4, s[4:5]
	s_and_b64 s[6:7], s[2:3], vcc
	s_and_saveexec_b64 s[4:5], s[6:7]
	s_cbranch_execz .LBB399_28
; %bb.25:
	v_mul_f64 v[0:1], s[14:15], v[14:15]
	v_mul_f64 v[2:3], s[12:13], v[14:15]
	v_fma_f64 v[0:1], s[12:13], v[12:13], -v[0:1]
	v_fmac_f64_e32 v[2:3], s[14:15], v[12:13]
	s_and_b64 vcc, exec, s[0:1]
	v_lshl_add_u64 v[4:5], v[4:5], 4, v[16:17]
	s_cbranch_vccnz .LBB399_27
; %bb.26:
	flat_load_dwordx4 v[12:15], v[4:5]
	s_waitcnt vmcnt(0) lgkmcnt(0)
	v_mul_f64 v[20:21], s[10:11], v[14:15]
	v_mul_f64 v[14:15], s[8:9], v[14:15]
	v_fma_f64 v[20:21], s[8:9], v[12:13], -v[20:21]
	v_fmac_f64_e32 v[14:15], s[10:11], v[12:13]
	v_add_f64 v[0:1], v[0:1], v[20:21]
	v_add_f64 v[2:3], v[2:3], v[14:15]
.LBB399_27:
	flat_store_dwordx4 v[4:5], v[0:3]
.LBB399_28:
	s_or_b64 exec, exec, s[4:5]
	v_cmp_le_i32_e32 vcc, v6, v18
	s_and_b64 s[2:3], s[2:3], vcc
	s_and_saveexec_b64 s[4:5], s[2:3]
	s_cbranch_execz .LBB399_32
; %bb.29:
	v_mul_f64 v[0:1], s[14:15], v[8:9]
	v_mul_f64 v[2:3], s[12:13], v[8:9]
	v_fma_f64 v[0:1], s[12:13], v[10:11], -v[0:1]
	v_fmac_f64_e32 v[2:3], s[14:15], v[10:11]
	s_and_b64 vcc, exec, s[0:1]
	v_lshl_add_u64 v[4:5], v[6:7], 4, v[16:17]
	s_cbranch_vccnz .LBB399_31
; %bb.30:
	flat_load_dwordx4 v[6:9], v[4:5]
	s_waitcnt vmcnt(0) lgkmcnt(0)
	v_mul_f64 v[10:11], s[10:11], v[8:9]
	v_mul_f64 v[8:9], s[8:9], v[8:9]
	v_fma_f64 v[10:11], s[8:9], v[6:7], -v[10:11]
	v_fmac_f64_e32 v[8:9], s[10:11], v[6:7]
	v_add_f64 v[0:1], v[0:1], v[10:11]
	v_add_f64 v[2:3], v[2:3], v[8:9]
.LBB399_31:
	flat_store_dwordx4 v[4:5], v[0:3]
.LBB399_32:
	s_endpgm
	.section	.rodata,"a",@progbits
	.p2align	6, 0x0
	.amdhsa_kernel _ZL29rocblas_internal_gemmt_kernelIiLi16ELi32ELi8ELc84ELc78ELc85ELb0ELb0E19rocblas_complex_numIdEPKS1_PKS3_PKPS1_EviT_T9_T10_S9_lSB_S9_lSA_T11_S9_li
		.amdhsa_group_segment_fixed_size 8192
		.amdhsa_private_segment_fixed_size 0
		.amdhsa_kernarg_size 100
		.amdhsa_user_sgpr_count 2
		.amdhsa_user_sgpr_dispatch_ptr 0
		.amdhsa_user_sgpr_queue_ptr 0
		.amdhsa_user_sgpr_kernarg_segment_ptr 1
		.amdhsa_user_sgpr_dispatch_id 0
		.amdhsa_user_sgpr_kernarg_preload_length 0
		.amdhsa_user_sgpr_kernarg_preload_offset 0
		.amdhsa_user_sgpr_private_segment_size 0
		.amdhsa_uses_dynamic_stack 0
		.amdhsa_enable_private_segment 0
		.amdhsa_system_sgpr_workgroup_id_x 1
		.amdhsa_system_sgpr_workgroup_id_y 1
		.amdhsa_system_sgpr_workgroup_id_z 1
		.amdhsa_system_sgpr_workgroup_info 0
		.amdhsa_system_vgpr_workitem_id 1
		.amdhsa_next_free_vgpr 62
		.amdhsa_next_free_sgpr 34
		.amdhsa_accum_offset 64
		.amdhsa_reserve_vcc 1
		.amdhsa_float_round_mode_32 0
		.amdhsa_float_round_mode_16_64 0
		.amdhsa_float_denorm_mode_32 3
		.amdhsa_float_denorm_mode_16_64 3
		.amdhsa_dx10_clamp 1
		.amdhsa_ieee_mode 1
		.amdhsa_fp16_overflow 0
		.amdhsa_tg_split 0
		.amdhsa_exception_fp_ieee_invalid_op 0
		.amdhsa_exception_fp_denorm_src 0
		.amdhsa_exception_fp_ieee_div_zero 0
		.amdhsa_exception_fp_ieee_overflow 0
		.amdhsa_exception_fp_ieee_underflow 0
		.amdhsa_exception_fp_ieee_inexact 0
		.amdhsa_exception_int_div_zero 0
	.end_amdhsa_kernel
	.section	.text._ZL29rocblas_internal_gemmt_kernelIiLi16ELi32ELi8ELc84ELc78ELc85ELb0ELb0E19rocblas_complex_numIdEPKS1_PKS3_PKPS1_EviT_T9_T10_S9_lSB_S9_lSA_T11_S9_li,"axG",@progbits,_ZL29rocblas_internal_gemmt_kernelIiLi16ELi32ELi8ELc84ELc78ELc85ELb0ELb0E19rocblas_complex_numIdEPKS1_PKS3_PKPS1_EviT_T9_T10_S9_lSB_S9_lSA_T11_S9_li,comdat
.Lfunc_end399:
	.size	_ZL29rocblas_internal_gemmt_kernelIiLi16ELi32ELi8ELc84ELc78ELc85ELb0ELb0E19rocblas_complex_numIdEPKS1_PKS3_PKPS1_EviT_T9_T10_S9_lSB_S9_lSA_T11_S9_li, .Lfunc_end399-_ZL29rocblas_internal_gemmt_kernelIiLi16ELi32ELi8ELc84ELc78ELc85ELb0ELb0E19rocblas_complex_numIdEPKS1_PKS3_PKPS1_EviT_T9_T10_S9_lSB_S9_lSA_T11_S9_li
                                        ; -- End function
	.set _ZL29rocblas_internal_gemmt_kernelIiLi16ELi32ELi8ELc84ELc78ELc85ELb0ELb0E19rocblas_complex_numIdEPKS1_PKS3_PKPS1_EviT_T9_T10_S9_lSB_S9_lSA_T11_S9_li.num_vgpr, 62
	.set _ZL29rocblas_internal_gemmt_kernelIiLi16ELi32ELi8ELc84ELc78ELc85ELb0ELb0E19rocblas_complex_numIdEPKS1_PKS3_PKPS1_EviT_T9_T10_S9_lSB_S9_lSA_T11_S9_li.num_agpr, 0
	.set _ZL29rocblas_internal_gemmt_kernelIiLi16ELi32ELi8ELc84ELc78ELc85ELb0ELb0E19rocblas_complex_numIdEPKS1_PKS3_PKPS1_EviT_T9_T10_S9_lSB_S9_lSA_T11_S9_li.numbered_sgpr, 34
	.set _ZL29rocblas_internal_gemmt_kernelIiLi16ELi32ELi8ELc84ELc78ELc85ELb0ELb0E19rocblas_complex_numIdEPKS1_PKS3_PKPS1_EviT_T9_T10_S9_lSB_S9_lSA_T11_S9_li.num_named_barrier, 0
	.set _ZL29rocblas_internal_gemmt_kernelIiLi16ELi32ELi8ELc84ELc78ELc85ELb0ELb0E19rocblas_complex_numIdEPKS1_PKS3_PKPS1_EviT_T9_T10_S9_lSB_S9_lSA_T11_S9_li.private_seg_size, 0
	.set _ZL29rocblas_internal_gemmt_kernelIiLi16ELi32ELi8ELc84ELc78ELc85ELb0ELb0E19rocblas_complex_numIdEPKS1_PKS3_PKPS1_EviT_T9_T10_S9_lSB_S9_lSA_T11_S9_li.uses_vcc, 1
	.set _ZL29rocblas_internal_gemmt_kernelIiLi16ELi32ELi8ELc84ELc78ELc85ELb0ELb0E19rocblas_complex_numIdEPKS1_PKS3_PKPS1_EviT_T9_T10_S9_lSB_S9_lSA_T11_S9_li.uses_flat_scratch, 0
	.set _ZL29rocblas_internal_gemmt_kernelIiLi16ELi32ELi8ELc84ELc78ELc85ELb0ELb0E19rocblas_complex_numIdEPKS1_PKS3_PKPS1_EviT_T9_T10_S9_lSB_S9_lSA_T11_S9_li.has_dyn_sized_stack, 0
	.set _ZL29rocblas_internal_gemmt_kernelIiLi16ELi32ELi8ELc84ELc78ELc85ELb0ELb0E19rocblas_complex_numIdEPKS1_PKS3_PKPS1_EviT_T9_T10_S9_lSB_S9_lSA_T11_S9_li.has_recursion, 0
	.set _ZL29rocblas_internal_gemmt_kernelIiLi16ELi32ELi8ELc84ELc78ELc85ELb0ELb0E19rocblas_complex_numIdEPKS1_PKS3_PKPS1_EviT_T9_T10_S9_lSB_S9_lSA_T11_S9_li.has_indirect_call, 0
	.section	.AMDGPU.csdata,"",@progbits
; Kernel info:
; codeLenInByte = 3128
; TotalNumSgprs: 40
; NumVgprs: 62
; NumAgprs: 0
; TotalNumVgprs: 62
; ScratchSize: 0
; MemoryBound: 0
; FloatMode: 240
; IeeeMode: 1
; LDSByteSize: 8192 bytes/workgroup (compile time only)
; SGPRBlocks: 4
; VGPRBlocks: 7
; NumSGPRsForWavesPerEU: 40
; NumVGPRsForWavesPerEU: 62
; AccumOffset: 64
; Occupancy: 8
; WaveLimiterHint : 1
; COMPUTE_PGM_RSRC2:SCRATCH_EN: 0
; COMPUTE_PGM_RSRC2:USER_SGPR: 2
; COMPUTE_PGM_RSRC2:TRAP_HANDLER: 0
; COMPUTE_PGM_RSRC2:TGID_X_EN: 1
; COMPUTE_PGM_RSRC2:TGID_Y_EN: 1
; COMPUTE_PGM_RSRC2:TGID_Z_EN: 1
; COMPUTE_PGM_RSRC2:TIDIG_COMP_CNT: 1
; COMPUTE_PGM_RSRC3_GFX90A:ACCUM_OFFSET: 15
; COMPUTE_PGM_RSRC3_GFX90A:TG_SPLIT: 0
	.section	.text._ZL29rocblas_internal_gemmt_kernelIiLi16ELi32ELi8ELc84ELc84ELc85ELb0ELb0E19rocblas_complex_numIdEPKS1_PKS3_PKPS1_EviT_T9_T10_S9_lSB_S9_lSA_T11_S9_li,"axG",@progbits,_ZL29rocblas_internal_gemmt_kernelIiLi16ELi32ELi8ELc84ELc84ELc85ELb0ELb0E19rocblas_complex_numIdEPKS1_PKS3_PKPS1_EviT_T9_T10_S9_lSB_S9_lSA_T11_S9_li,comdat
	.globl	_ZL29rocblas_internal_gemmt_kernelIiLi16ELi32ELi8ELc84ELc84ELc85ELb0ELb0E19rocblas_complex_numIdEPKS1_PKS3_PKPS1_EviT_T9_T10_S9_lSB_S9_lSA_T11_S9_li ; -- Begin function _ZL29rocblas_internal_gemmt_kernelIiLi16ELi32ELi8ELc84ELc84ELc85ELb0ELb0E19rocblas_complex_numIdEPKS1_PKS3_PKPS1_EviT_T9_T10_S9_lSB_S9_lSA_T11_S9_li
	.p2align	8
	.type	_ZL29rocblas_internal_gemmt_kernelIiLi16ELi32ELi8ELc84ELc84ELc85ELb0ELb0E19rocblas_complex_numIdEPKS1_PKS3_PKPS1_EviT_T9_T10_S9_lSB_S9_lSA_T11_S9_li,@function
_ZL29rocblas_internal_gemmt_kernelIiLi16ELi32ELi8ELc84ELc84ELc85ELb0ELb0E19rocblas_complex_numIdEPKS1_PKS3_PKPS1_EviT_T9_T10_S9_lSB_S9_lSA_T11_S9_li: ; @_ZL29rocblas_internal_gemmt_kernelIiLi16ELi32ELi8ELc84ELc84ELc85ELb0ELb0E19rocblas_complex_numIdEPKS1_PKS3_PKPS1_EviT_T9_T10_S9_lSB_S9_lSA_T11_S9_li
; %bb.0:
	s_load_dwordx4 s[16:19], s[0:1], 0x38
	s_load_dwordx4 s[20:23], s[0:1], 0x8
	s_mov_b64 s[24:25], 0
	s_waitcnt lgkmcnt(0)
	s_load_dwordx4 s[8:11], s[18:19], 0x0
	s_load_dwordx2 s[6:7], s[0:1], 0x0
	s_load_dwordx4 s[12:15], s[20:21], 0x0
	s_waitcnt lgkmcnt(0)
	v_cmp_eq_f64_e64 s[20:21], s[8:9], 1.0
	v_cmp_eq_f64_e64 s[18:19], s[10:11], 0
	s_and_b64 s[20:21], s[20:21], s[18:19]
	s_andn2_b64 vcc, exec, s[20:21]
	s_mov_b64 s[20:21], -1
	s_cbranch_vccnz .LBB400_4
; %bb.1:
	s_cmp_lg_u32 s7, 0
	s_cbranch_scc0 .LBB400_3
; %bb.2:
	v_cmp_neq_f64_e64 s[20:21], s[12:13], 0
	v_cmp_neq_f64_e64 s[24:25], s[14:15], 0
	s_or_b64 s[24:25], s[20:21], s[24:25]
.LBB400_3:
	s_mov_b64 s[20:21], s[24:25]
.LBB400_4:
	s_and_b64 vcc, exec, s[20:21]
	s_cbranch_vccz .LBB400_32
; %bb.5:
	s_load_dwordx2 s[20:21], s[0:1], 0x48
	s_mov_b32 s5, 0
	s_lshl_b64 s[24:25], s[4:5], 3
	v_cmp_eq_f64_e64 s[26:27], s[14:15], 0
	v_and_b32_e32 v24, 0x3ff, v0
	s_waitcnt lgkmcnt(0)
	s_add_u32 s20, s20, s24
	s_addc_u32 s21, s21, s25
	s_lshl_b32 s4, s2, 5
	s_lshl_b32 s28, s3, 5
	v_cmp_eq_f64_e64 s[2:3], s[12:13], 0
	s_load_dwordx2 s[20:21], s[20:21], 0x0
	s_and_b64 s[2:3], s[2:3], s[26:27]
	s_cmp_lt_i32 s7, 1
	s_cselect_b64 s[26:27], -1, 0
	s_or_b64 s[2:3], s[2:3], s[26:27]
	v_bfe_u32 v25, v0, 10, 10
	v_mov_b64_e32 v[20:21], 0
	s_and_b64 vcc, exec, s[2:3]
	v_mov_b64_e32 v[22:23], 0
	v_mov_b64_e32 v[16:17], 0
	;; [unrolled: 1-line block ×7, first 2 shown]
	s_cbranch_vccnz .LBB400_16
; %bb.6:
	s_load_dword s29, s[0:1], 0x18
	s_load_dword s26, s[0:1], 0x30
	s_load_dwordx4 s[36:39], s[0:1], 0x20
	v_lshl_add_u32 v0, v25, 4, v24
	v_lshrrev_b32_e32 v27, 5, v0
	v_lshrrev_b32_e32 v1, 3, v0
	s_waitcnt lgkmcnt(0)
	s_ashr_i32 s27, s26, 31
	v_and_b32_e32 v0, 31, v0
	v_or_b32_e32 v3, s4, v0
	s_add_u32 s2, s38, s24
	v_and_b32_e32 v26, 7, v24
	s_addc_u32 s3, s39, s25
	v_cmp_gt_i32_e32 vcc, s6, v3
	v_lshlrev_b32_e32 v3, 4, v0
	s_load_dwordx2 s[30:31], s[2:3], 0x0
	s_add_u32 s2, s22, s24
	v_lshl_or_b32 v28, v27, 9, v3
	v_lshlrev_b32_e32 v3, 4, v26
	v_add_u32_e32 v2, s28, v1
	s_addc_u32 s3, s23, s25
	v_lshl_or_b32 v1, v1, 7, v3
	s_load_dwordx2 s[22:23], s[2:3], 0x0
	v_add_u32_e32 v29, 0x1000, v1
	v_mov_b32_e32 v1, 0x1000
	v_add_u32_e32 v0, s4, v0
	v_lshl_add_u32 v31, v25, 7, v1
	v_mad_i64_i32 v[0:1], s[24:25], s29, v0, 0
	s_lshl_b64 s[24:25], s[36:37], 4
	s_nop 0
	v_lshl_add_u64 v[4:5], v[0:1], 4, s[24:25]
	v_lshlrev_b32_e32 v0, 4, v27
	v_mov_b32_e32 v1, 0
	v_lshl_add_u64 v[4:5], v[4:5], 0, v[0:1]
	s_waitcnt lgkmcnt(0)
	v_lshl_add_u64 v[4:5], s[22:23], 0, v[4:5]
	v_mad_i64_i32 v[6:7], s[22:23], s26, v26, 0
	s_lshl_b64 s[16:17], s[16:17], 4
	v_ashrrev_i32_e32 v3, 31, v2
	v_lshl_add_u64 v[6:7], v[6:7], 4, s[16:17]
	v_cmp_gt_i32_e64 s[2:3], s6, v2
	v_lshl_add_u64 v[2:3], v[2:3], 4, v[6:7]
	v_lshlrev_b32_e32 v30, 4, v24
	v_lshl_add_u64 v[6:7], s[30:31], 0, v[2:3]
	s_lshl_b64 s[16:17], s[26:27], 7
	v_mov_b64_e32 v[8:9], 0
	s_xor_b64 s[22:23], vcc, -1
	s_xor_b64 s[2:3], s[2:3], -1
	s_mov_b64 s[24:25], 0x80
	v_mov_b32_e32 v0, v1
	v_mov_b32_e32 v2, v1
	;; [unrolled: 1-line block ×3, first 2 shown]
	v_mov_b64_e32 v[10:11], 0
	v_mov_b64_e32 v[14:15], 0
	;; [unrolled: 1-line block ×7, first 2 shown]
	s_branch .LBB400_8
.LBB400_7:                              ;   in Loop: Header=BB400_8 Depth=1
	s_or_b64 exec, exec, s[26:27]
	s_waitcnt lgkmcnt(0)
	s_barrier
	ds_read_b128 v[32:35], v30
	ds_read_b128 v[36:39], v31
	ds_read_b128 v[40:43], v31 offset:16
	ds_read_b128 v[44:47], v31 offset:32
	;; [unrolled: 1-line block ×4, first 2 shown]
	s_waitcnt lgkmcnt(4)
	v_mul_f64 v[56:57], v[38:39], v[34:35]
	v_fma_f64 v[56:57], v[36:37], v[32:33], -v[56:57]
	v_mul_f64 v[58:59], v[36:37], v[34:35]
	v_fmac_f64_e32 v[58:59], v[38:39], v[32:33]
	v_add_f64 v[56:57], v[20:21], v[56:57]
	s_waitcnt lgkmcnt(0)
	v_mul_f64 v[20:21], v[38:39], v[54:55]
	v_add_f64 v[58:59], v[58:59], v[22:23]
	v_fma_f64 v[60:61], v[36:37], v[52:53], -v[20:21]
	ds_read_b128 v[20:23], v31 offset:2048
	v_mul_f64 v[36:37], v[36:37], v[54:55]
	v_fmac_f64_e32 v[36:37], v[38:39], v[52:53]
	v_add_f64 v[38:39], v[16:17], v[60:61]
	v_add_f64 v[36:37], v[36:37], v[18:19]
	ds_read_b128 v[16:19], v31 offset:2064
	s_waitcnt lgkmcnt(1)
	v_mul_f64 v[60:61], v[22:23], v[34:35]
	v_fma_f64 v[60:61], v[20:21], v[32:33], -v[60:61]
	v_mul_f64 v[34:35], v[20:21], v[34:35]
	v_fmac_f64_e32 v[34:35], v[22:23], v[32:33]
	v_add_f64 v[32:33], v[12:13], v[60:61]
	v_mul_f64 v[12:13], v[22:23], v[54:55]
	v_add_f64 v[34:35], v[34:35], v[14:15]
	v_fma_f64 v[60:61], v[20:21], v[52:53], -v[12:13]
	v_mul_f64 v[20:21], v[20:21], v[54:55]
	ds_read_b128 v[12:15], v30 offset:512
	v_fmac_f64_e32 v[20:21], v[22:23], v[52:53]
	v_add_f64 v[22:23], v[10:11], v[60:61]
	v_add_f64 v[20:21], v[20:21], v[8:9]
	ds_read_b128 v[8:11], v30 offset:768
	s_waitcnt lgkmcnt(1)
	v_mul_f64 v[52:53], v[42:43], v[14:15]
	v_fma_f64 v[52:53], v[40:41], v[12:13], -v[52:53]
	v_add_f64 v[52:53], v[56:57], v[52:53]
	v_mul_f64 v[54:55], v[40:41], v[14:15]
	s_waitcnt lgkmcnt(0)
	v_mul_f64 v[56:57], v[42:43], v[10:11]
	v_fma_f64 v[56:57], v[40:41], v[8:9], -v[56:57]
	v_mul_f64 v[40:41], v[40:41], v[10:11]
	v_fmac_f64_e32 v[40:41], v[42:43], v[8:9]
	v_add_f64 v[36:37], v[40:41], v[36:37]
	v_mul_f64 v[40:41], v[18:19], v[14:15]
	v_mul_f64 v[14:15], v[16:17], v[14:15]
	v_fmac_f64_e32 v[54:55], v[42:43], v[12:13]
	v_fma_f64 v[40:41], v[16:17], v[12:13], -v[40:41]
	v_fmac_f64_e32 v[14:15], v[18:19], v[12:13]
	v_mul_f64 v[12:13], v[18:19], v[10:11]
	v_add_f64 v[42:43], v[14:15], v[34:35]
	v_fma_f64 v[14:15], v[16:17], v[8:9], -v[12:13]
	v_mul_f64 v[16:17], v[16:17], v[10:11]
	ds_read_b128 v[10:13], v30 offset:1024
	v_fmac_f64_e32 v[16:17], v[18:19], v[8:9]
	v_add_f64 v[38:39], v[38:39], v[56:57]
	v_add_f64 v[22:23], v[22:23], v[14:15]
	;; [unrolled: 1-line block ×3, first 2 shown]
	ds_read_b128 v[14:17], v30 offset:1280
	s_waitcnt lgkmcnt(1)
	v_mul_f64 v[18:19], v[44:45], v[12:13]
	v_add_f64 v[54:55], v[54:55], v[58:59]
	v_fmac_f64_e32 v[18:19], v[46:47], v[10:11]
	v_add_f64 v[54:55], v[18:19], v[54:55]
	ds_read_b128 v[18:21], v31 offset:2080
	v_mul_f64 v[8:9], v[46:47], v[12:13]
	v_fma_f64 v[8:9], v[44:45], v[10:11], -v[8:9]
	v_add_f64 v[40:41], v[32:33], v[40:41]
	v_add_f64 v[52:53], v[52:53], v[8:9]
	s_waitcnt lgkmcnt(1)
	v_mul_f64 v[8:9], v[46:47], v[16:17]
	v_mul_f64 v[32:33], v[44:45], v[16:17]
	v_fma_f64 v[8:9], v[44:45], v[14:15], -v[8:9]
	v_fmac_f64_e32 v[32:33], v[46:47], v[14:15]
	v_add_f64 v[38:39], v[38:39], v[8:9]
	v_add_f64 v[36:37], v[32:33], v[36:37]
	ds_read_b128 v[32:35], v31 offset:2096
	s_waitcnt lgkmcnt(1)
	v_mul_f64 v[8:9], v[20:21], v[12:13]
	v_fma_f64 v[8:9], v[18:19], v[10:11], -v[8:9]
	v_mul_f64 v[12:13], v[18:19], v[12:13]
	v_fmac_f64_e32 v[12:13], v[20:21], v[10:11]
	v_add_f64 v[40:41], v[40:41], v[8:9]
	v_mul_f64 v[8:9], v[20:21], v[16:17]
	v_add_f64 v[42:43], v[12:13], v[42:43]
	v_fma_f64 v[12:13], v[18:19], v[14:15], -v[8:9]
	ds_read_b128 v[8:11], v30 offset:1536
	v_mul_f64 v[16:17], v[18:19], v[16:17]
	v_fmac_f64_e32 v[16:17], v[20:21], v[14:15]
	v_add_f64 v[18:19], v[22:23], v[12:13]
	ds_read_b128 v[12:15], v30 offset:1792
	s_waitcnt lgkmcnt(1)
	v_mul_f64 v[20:21], v[50:51], v[10:11]
	v_fma_f64 v[20:21], v[48:49], v[8:9], -v[20:21]
	v_mul_f64 v[22:23], v[48:49], v[10:11]
	v_fmac_f64_e32 v[22:23], v[50:51], v[8:9]
	v_add_f64 v[44:45], v[52:53], v[20:21]
	s_waitcnt lgkmcnt(0)
	v_mul_f64 v[20:21], v[50:51], v[14:15]
	v_add_f64 v[46:47], v[22:23], v[54:55]
	v_fma_f64 v[20:21], v[48:49], v[12:13], -v[20:21]
	v_mul_f64 v[22:23], v[48:49], v[14:15]
	v_fmac_f64_e32 v[22:23], v[50:51], v[12:13]
	v_add_f64 v[38:39], v[38:39], v[20:21]
	v_mul_f64 v[20:21], v[34:35], v[10:11]
	v_mul_f64 v[10:11], v[32:33], v[10:11]
	v_add_f64 v[36:37], v[22:23], v[36:37]
	v_fma_f64 v[20:21], v[32:33], v[8:9], -v[20:21]
	v_fmac_f64_e32 v[10:11], v[34:35], v[8:9]
	v_mul_f64 v[8:9], v[34:35], v[14:15]
	v_mul_f64 v[22:23], v[32:33], v[14:15]
	v_add_f64 v[40:41], v[40:41], v[20:21]
	v_add_f64 v[42:43], v[10:11], v[42:43]
	v_fma_f64 v[20:21], v[32:33], v[12:13], -v[8:9]
	v_fmac_f64_e32 v[22:23], v[34:35], v[12:13]
	ds_read_b128 v[8:11], v31 offset:64
	ds_read_b128 v[12:15], v30 offset:2048
	v_add_f64 v[16:17], v[16:17], v[56:57]
	v_add_f64 v[48:49], v[18:19], v[20:21]
	;; [unrolled: 1-line block ×3, first 2 shown]
	ds_read_b128 v[16:19], v30 offset:2304
	ds_read_b128 v[20:23], v31 offset:80
	s_waitcnt lgkmcnt(2)
	v_mul_f64 v[32:33], v[10:11], v[14:15]
	v_fma_f64 v[32:33], v[8:9], v[12:13], -v[32:33]
	v_mul_f64 v[34:35], v[8:9], v[14:15]
	v_fmac_f64_e32 v[34:35], v[10:11], v[12:13]
	v_add_f64 v[44:45], v[44:45], v[32:33]
	s_waitcnt lgkmcnt(1)
	v_mul_f64 v[32:33], v[10:11], v[18:19]
	v_add_f64 v[46:47], v[34:35], v[46:47]
	v_fma_f64 v[52:53], v[8:9], v[16:17], -v[32:33]
	ds_read_b128 v[32:35], v31 offset:2112
	v_mul_f64 v[8:9], v[8:9], v[18:19]
	v_fmac_f64_e32 v[8:9], v[10:11], v[16:17]
	v_add_f64 v[38:39], v[38:39], v[52:53]
	v_add_f64 v[36:37], v[8:9], v[36:37]
	ds_read_b128 v[8:11], v31 offset:2128
	s_waitcnt lgkmcnt(1)
	v_mul_f64 v[52:53], v[34:35], v[14:15]
	v_mul_f64 v[14:15], v[32:33], v[14:15]
	v_fma_f64 v[52:53], v[32:33], v[12:13], -v[52:53]
	v_fmac_f64_e32 v[14:15], v[34:35], v[12:13]
	v_mul_f64 v[12:13], v[34:35], v[18:19]
	v_add_f64 v[40:41], v[40:41], v[52:53]
	v_add_f64 v[42:43], v[14:15], v[42:43]
	v_fma_f64 v[52:53], v[32:33], v[16:17], -v[12:13]
	v_mul_f64 v[18:19], v[32:33], v[18:19]
	ds_read_b128 v[12:15], v30 offset:2560
	v_fmac_f64_e32 v[18:19], v[34:35], v[16:17]
	v_add_f64 v[34:35], v[18:19], v[50:51]
	ds_read_b128 v[16:19], v30 offset:2816
	v_add_f64 v[32:33], v[48:49], v[52:53]
	s_waitcnt lgkmcnt(1)
	v_mul_f64 v[48:49], v[22:23], v[14:15]
	v_fma_f64 v[48:49], v[20:21], v[12:13], -v[48:49]
	v_add_f64 v[44:45], v[44:45], v[48:49]
	s_waitcnt lgkmcnt(0)
	v_mul_f64 v[48:49], v[22:23], v[18:19]
	v_mul_f64 v[50:51], v[20:21], v[14:15]
	v_fma_f64 v[48:49], v[20:21], v[16:17], -v[48:49]
	v_mul_f64 v[20:21], v[20:21], v[18:19]
	v_fmac_f64_e32 v[20:21], v[22:23], v[16:17]
	v_add_f64 v[36:37], v[20:21], v[36:37]
	v_mul_f64 v[20:21], v[10:11], v[14:15]
	v_mul_f64 v[14:15], v[8:9], v[14:15]
	v_fmac_f64_e32 v[50:51], v[22:23], v[12:13]
	v_fma_f64 v[20:21], v[8:9], v[12:13], -v[20:21]
	v_fmac_f64_e32 v[14:15], v[10:11], v[12:13]
	v_mul_f64 v[12:13], v[10:11], v[18:19]
	v_mul_f64 v[18:19], v[8:9], v[18:19]
	v_add_f64 v[40:41], v[40:41], v[20:21]
	v_add_f64 v[42:43], v[14:15], v[42:43]
	v_fma_f64 v[20:21], v[8:9], v[16:17], -v[12:13]
	v_fmac_f64_e32 v[18:19], v[10:11], v[16:17]
	ds_read_b128 v[8:11], v31 offset:96
	ds_read_b128 v[12:15], v30 offset:3072
	v_add_f64 v[46:47], v[50:51], v[46:47]
	v_add_f64 v[38:39], v[38:39], v[48:49]
	;; [unrolled: 1-line block ×4, first 2 shown]
	ds_read_b128 v[16:19], v30 offset:3328
	ds_read_b128 v[32:35], v31 offset:112
	s_waitcnt lgkmcnt(2)
	v_mul_f64 v[20:21], v[10:11], v[14:15]
	v_fma_f64 v[20:21], v[8:9], v[12:13], -v[20:21]
	v_mul_f64 v[22:23], v[8:9], v[14:15]
	v_fmac_f64_e32 v[22:23], v[10:11], v[12:13]
	v_add_f64 v[44:45], v[44:45], v[20:21]
	s_waitcnt lgkmcnt(1)
	v_mul_f64 v[20:21], v[10:11], v[18:19]
	v_add_f64 v[46:47], v[22:23], v[46:47]
	v_fma_f64 v[52:53], v[8:9], v[16:17], -v[20:21]
	ds_read_b128 v[20:23], v31 offset:2144
	v_mul_f64 v[8:9], v[8:9], v[18:19]
	v_fmac_f64_e32 v[8:9], v[10:11], v[16:17]
	v_add_f64 v[54:55], v[8:9], v[36:37]
	ds_read_b128 v[8:11], v31 offset:2160
	s_waitcnt lgkmcnt(1)
	v_mul_f64 v[36:37], v[22:23], v[14:15]
	v_mul_f64 v[14:15], v[20:21], v[14:15]
	v_fma_f64 v[36:37], v[20:21], v[12:13], -v[36:37]
	v_fmac_f64_e32 v[14:15], v[22:23], v[12:13]
	v_mul_f64 v[12:13], v[22:23], v[18:19]
	v_add_f64 v[40:41], v[40:41], v[36:37]
	v_add_f64 v[42:43], v[14:15], v[42:43]
	v_fma_f64 v[36:37], v[20:21], v[16:17], -v[12:13]
	ds_read_b128 v[12:15], v30 offset:3584
	v_add_f64 v[52:53], v[38:39], v[52:53]
	v_add_f64 v[48:49], v[48:49], v[36:37]
	ds_read_b128 v[36:39], v30 offset:3840
	v_mul_f64 v[18:19], v[20:21], v[18:19]
	v_fmac_f64_e32 v[18:19], v[22:23], v[16:17]
	s_waitcnt lgkmcnt(1)
	v_mul_f64 v[16:17], v[34:35], v[14:15]
	v_add_f64 v[50:51], v[18:19], v[50:51]
	v_fma_f64 v[16:17], v[32:33], v[12:13], -v[16:17]
	v_mul_f64 v[18:19], v[32:33], v[14:15]
	v_fmac_f64_e32 v[18:19], v[34:35], v[12:13]
	v_add_f64 v[20:21], v[44:45], v[16:17]
	s_waitcnt lgkmcnt(0)
	v_mul_f64 v[16:17], v[34:35], v[38:39]
	v_add_f64 v[22:23], v[18:19], v[46:47]
	v_fma_f64 v[16:17], v[32:33], v[36:37], -v[16:17]
	v_mul_f64 v[18:19], v[32:33], v[38:39]
	v_mul_f64 v[32:33], v[10:11], v[14:15]
	v_fma_f64 v[32:33], v[8:9], v[12:13], -v[32:33]
	v_mul_f64 v[14:15], v[8:9], v[14:15]
	v_fmac_f64_e32 v[14:15], v[10:11], v[12:13]
	v_add_f64 v[12:13], v[40:41], v[32:33]
	v_mul_f64 v[32:33], v[10:11], v[38:39]
	v_fma_f64 v[32:33], v[8:9], v[36:37], -v[32:33]
	v_mul_f64 v[8:9], v[8:9], v[38:39]
	v_fmac_f64_e32 v[18:19], v[34:35], v[36:37]
	v_fmac_f64_e32 v[8:9], v[10:11], v[36:37]
	s_add_i32 s5, s5, 8
	v_add_f64 v[16:17], v[52:53], v[16:17]
	v_add_f64 v[18:19], v[18:19], v[54:55]
	;; [unrolled: 1-line block ×5, first 2 shown]
	v_lshl_add_u64 v[4:5], v[4:5], 0, s[24:25]
	s_cmp_lt_i32 s5, s7
	v_lshl_add_u64 v[6:7], v[6:7], 0, s[16:17]
	s_barrier
	s_cbranch_scc0 .LBB400_16
.LBB400_8:                              ; =>This Inner Loop Header: Depth=1
	v_add_u32_e32 v32, s5, v27
	v_cmp_le_i32_e32 vcc, s7, v32
	s_or_b64 s[26:27], s[22:23], vcc
	s_and_saveexec_b64 s[30:31], s[26:27]
	s_xor_b64 s[26:27], exec, s[30:31]
; %bb.9:                                ;   in Loop: Header=BB400_8 Depth=1
	ds_write_b128 v28, v[0:3]
; %bb.10:                               ;   in Loop: Header=BB400_8 Depth=1
	s_andn2_saveexec_b64 s[26:27], s[26:27]
	s_cbranch_execz .LBB400_12
; %bb.11:                               ;   in Loop: Header=BB400_8 Depth=1
	flat_load_dwordx4 v[32:35], v[4:5]
	s_waitcnt vmcnt(0) lgkmcnt(0)
	ds_write2_b64 v28, v[32:33], v[34:35] offset1:1
.LBB400_12:                             ;   in Loop: Header=BB400_8 Depth=1
	s_or_b64 exec, exec, s[26:27]
	v_add_u32_e32 v32, s5, v26
	v_cmp_le_i32_e32 vcc, s7, v32
	s_or_b64 s[26:27], vcc, s[2:3]
	s_and_saveexec_b64 s[30:31], s[26:27]
	s_xor_b64 s[26:27], exec, s[30:31]
; %bb.13:                               ;   in Loop: Header=BB400_8 Depth=1
	ds_write_b128 v29, v[0:3]
; %bb.14:                               ;   in Loop: Header=BB400_8 Depth=1
	s_andn2_saveexec_b64 s[26:27], s[26:27]
	s_cbranch_execz .LBB400_7
; %bb.15:                               ;   in Loop: Header=BB400_8 Depth=1
	flat_load_dwordx4 v[32:35], v[6:7]
	s_waitcnt vmcnt(0) lgkmcnt(0)
	ds_write2_b64 v29, v[32:33], v[34:35] offset1:1
	s_branch .LBB400_7
.LBB400_16:
	s_load_dwordx2 s[2:3], s[0:1], 0x58
	s_load_dword s7, s[0:1], 0x50
	v_add_u32_e32 v4, s4, v24
	v_add_u32_e32 v26, s28, v25
	v_cmp_neq_f64_e64 s[0:1], s[8:9], 0
	s_waitcnt lgkmcnt(0)
	s_lshl_b64 s[2:3], s[2:3], 4
	s_add_u32 s4, s20, s2
	s_addc_u32 s5, s21, s3
	s_xor_b64 s[16:17], s[18:19], -1
	v_mad_i64_i32 v[0:1], s[18:19], v26, s7, 0
	s_or_b64 s[0:1], s[0:1], s[16:17]
	v_cmp_gt_i32_e64 s[2:3], s6, v26
	v_lshl_add_u64 v[24:25], v[0:1], 4, s[4:5]
	v_cmp_le_i32_e32 vcc, v4, v26
	v_cndmask_b32_e64 v0, 0, 1, s[0:1]
	s_and_b64 s[18:19], s[2:3], vcc
	v_ashrrev_i32_e32 v5, 31, v4
	v_cmp_ne_u32_e64 s[0:1], 1, v0
	s_and_saveexec_b64 s[16:17], s[18:19]
	s_cbranch_execz .LBB400_20
; %bb.17:
	v_mul_f64 v[0:1], s[14:15], v[22:23]
	v_mul_f64 v[2:3], s[12:13], v[22:23]
	v_fma_f64 v[0:1], s[12:13], v[20:21], -v[0:1]
	v_fmac_f64_e32 v[2:3], s[14:15], v[20:21]
	s_and_b64 vcc, exec, s[0:1]
	v_lshl_add_u64 v[6:7], v[4:5], 4, v[24:25]
	s_cbranch_vccnz .LBB400_19
; %bb.18:
	flat_load_dwordx4 v[20:23], v[6:7]
	s_waitcnt vmcnt(0) lgkmcnt(0)
	v_mul_f64 v[28:29], s[10:11], v[22:23]
	v_mul_f64 v[22:23], s[8:9], v[22:23]
	v_fma_f64 v[28:29], s[8:9], v[20:21], -v[28:29]
	v_fmac_f64_e32 v[22:23], s[10:11], v[20:21]
	v_add_f64 v[0:1], v[0:1], v[28:29]
	v_add_f64 v[2:3], v[2:3], v[22:23]
.LBB400_19:
	flat_store_dwordx4 v[6:7], v[0:3]
.LBB400_20:
	s_or_b64 exec, exec, s[16:17]
	v_add_u32_e32 v6, 16, v4
	v_cmp_le_i32_e32 vcc, v6, v26
	s_and_b64 s[16:17], s[2:3], vcc
	v_ashrrev_i32_e32 v7, 31, v6
	s_and_saveexec_b64 s[2:3], s[16:17]
	s_cbranch_execz .LBB400_24
; %bb.21:
	v_mul_f64 v[0:1], s[14:15], v[18:19]
	v_mul_f64 v[2:3], s[12:13], v[18:19]
	v_fma_f64 v[0:1], s[12:13], v[16:17], -v[0:1]
	v_fmac_f64_e32 v[2:3], s[14:15], v[16:17]
	s_and_b64 vcc, exec, s[0:1]
	v_lshl_add_u64 v[16:17], v[6:7], 4, v[24:25]
	s_cbranch_vccnz .LBB400_23
; %bb.22:
	flat_load_dwordx4 v[18:21], v[16:17]
	s_waitcnt vmcnt(0) lgkmcnt(0)
	v_mul_f64 v[22:23], s[10:11], v[20:21]
	v_mul_f64 v[20:21], s[8:9], v[20:21]
	v_fma_f64 v[22:23], s[8:9], v[18:19], -v[22:23]
	v_fmac_f64_e32 v[20:21], s[10:11], v[18:19]
	v_add_f64 v[0:1], v[0:1], v[22:23]
	v_add_f64 v[2:3], v[2:3], v[20:21]
.LBB400_23:
	flat_store_dwordx4 v[16:17], v[0:3]
.LBB400_24:
	s_or_b64 exec, exec, s[2:3]
	v_add_u32_e32 v18, 16, v26
	v_cmp_gt_i32_e64 s[2:3], s6, v18
	v_mad_i64_i32 v[0:1], s[6:7], v18, s7, 0
	v_cmp_le_i32_e32 vcc, v4, v18
	v_lshl_add_u64 v[16:17], v[0:1], 4, s[4:5]
	s_and_b64 s[6:7], s[2:3], vcc
	s_and_saveexec_b64 s[4:5], s[6:7]
	s_cbranch_execz .LBB400_28
; %bb.25:
	v_mul_f64 v[0:1], s[14:15], v[14:15]
	v_mul_f64 v[2:3], s[12:13], v[14:15]
	v_fma_f64 v[0:1], s[12:13], v[12:13], -v[0:1]
	v_fmac_f64_e32 v[2:3], s[14:15], v[12:13]
	s_and_b64 vcc, exec, s[0:1]
	v_lshl_add_u64 v[4:5], v[4:5], 4, v[16:17]
	s_cbranch_vccnz .LBB400_27
; %bb.26:
	flat_load_dwordx4 v[12:15], v[4:5]
	s_waitcnt vmcnt(0) lgkmcnt(0)
	v_mul_f64 v[20:21], s[10:11], v[14:15]
	v_mul_f64 v[14:15], s[8:9], v[14:15]
	v_fma_f64 v[20:21], s[8:9], v[12:13], -v[20:21]
	v_fmac_f64_e32 v[14:15], s[10:11], v[12:13]
	v_add_f64 v[0:1], v[0:1], v[20:21]
	v_add_f64 v[2:3], v[2:3], v[14:15]
.LBB400_27:
	flat_store_dwordx4 v[4:5], v[0:3]
.LBB400_28:
	s_or_b64 exec, exec, s[4:5]
	v_cmp_le_i32_e32 vcc, v6, v18
	s_and_b64 s[2:3], s[2:3], vcc
	s_and_saveexec_b64 s[4:5], s[2:3]
	s_cbranch_execz .LBB400_32
; %bb.29:
	v_mul_f64 v[0:1], s[14:15], v[8:9]
	v_mul_f64 v[2:3], s[12:13], v[8:9]
	v_fma_f64 v[0:1], s[12:13], v[10:11], -v[0:1]
	v_fmac_f64_e32 v[2:3], s[14:15], v[10:11]
	s_and_b64 vcc, exec, s[0:1]
	v_lshl_add_u64 v[4:5], v[6:7], 4, v[16:17]
	s_cbranch_vccnz .LBB400_31
; %bb.30:
	flat_load_dwordx4 v[6:9], v[4:5]
	s_waitcnt vmcnt(0) lgkmcnt(0)
	v_mul_f64 v[10:11], s[10:11], v[8:9]
	v_mul_f64 v[8:9], s[8:9], v[8:9]
	v_fma_f64 v[10:11], s[8:9], v[6:7], -v[10:11]
	v_fmac_f64_e32 v[8:9], s[10:11], v[6:7]
	v_add_f64 v[0:1], v[0:1], v[10:11]
	v_add_f64 v[2:3], v[2:3], v[8:9]
.LBB400_31:
	flat_store_dwordx4 v[4:5], v[0:3]
.LBB400_32:
	s_endpgm
	.section	.rodata,"a",@progbits
	.p2align	6, 0x0
	.amdhsa_kernel _ZL29rocblas_internal_gemmt_kernelIiLi16ELi32ELi8ELc84ELc84ELc85ELb0ELb0E19rocblas_complex_numIdEPKS1_PKS3_PKPS1_EviT_T9_T10_S9_lSB_S9_lSA_T11_S9_li
		.amdhsa_group_segment_fixed_size 8192
		.amdhsa_private_segment_fixed_size 0
		.amdhsa_kernarg_size 100
		.amdhsa_user_sgpr_count 2
		.amdhsa_user_sgpr_dispatch_ptr 0
		.amdhsa_user_sgpr_queue_ptr 0
		.amdhsa_user_sgpr_kernarg_segment_ptr 1
		.amdhsa_user_sgpr_dispatch_id 0
		.amdhsa_user_sgpr_kernarg_preload_length 0
		.amdhsa_user_sgpr_kernarg_preload_offset 0
		.amdhsa_user_sgpr_private_segment_size 0
		.amdhsa_uses_dynamic_stack 0
		.amdhsa_enable_private_segment 0
		.amdhsa_system_sgpr_workgroup_id_x 1
		.amdhsa_system_sgpr_workgroup_id_y 1
		.amdhsa_system_sgpr_workgroup_id_z 1
		.amdhsa_system_sgpr_workgroup_info 0
		.amdhsa_system_vgpr_workitem_id 1
		.amdhsa_next_free_vgpr 62
		.amdhsa_next_free_sgpr 40
		.amdhsa_accum_offset 64
		.amdhsa_reserve_vcc 1
		.amdhsa_float_round_mode_32 0
		.amdhsa_float_round_mode_16_64 0
		.amdhsa_float_denorm_mode_32 3
		.amdhsa_float_denorm_mode_16_64 3
		.amdhsa_dx10_clamp 1
		.amdhsa_ieee_mode 1
		.amdhsa_fp16_overflow 0
		.amdhsa_tg_split 0
		.amdhsa_exception_fp_ieee_invalid_op 0
		.amdhsa_exception_fp_denorm_src 0
		.amdhsa_exception_fp_ieee_div_zero 0
		.amdhsa_exception_fp_ieee_overflow 0
		.amdhsa_exception_fp_ieee_underflow 0
		.amdhsa_exception_fp_ieee_inexact 0
		.amdhsa_exception_int_div_zero 0
	.end_amdhsa_kernel
	.section	.text._ZL29rocblas_internal_gemmt_kernelIiLi16ELi32ELi8ELc84ELc84ELc85ELb0ELb0E19rocblas_complex_numIdEPKS1_PKS3_PKPS1_EviT_T9_T10_S9_lSB_S9_lSA_T11_S9_li,"axG",@progbits,_ZL29rocblas_internal_gemmt_kernelIiLi16ELi32ELi8ELc84ELc84ELc85ELb0ELb0E19rocblas_complex_numIdEPKS1_PKS3_PKPS1_EviT_T9_T10_S9_lSB_S9_lSA_T11_S9_li,comdat
.Lfunc_end400:
	.size	_ZL29rocblas_internal_gemmt_kernelIiLi16ELi32ELi8ELc84ELc84ELc85ELb0ELb0E19rocblas_complex_numIdEPKS1_PKS3_PKPS1_EviT_T9_T10_S9_lSB_S9_lSA_T11_S9_li, .Lfunc_end400-_ZL29rocblas_internal_gemmt_kernelIiLi16ELi32ELi8ELc84ELc84ELc85ELb0ELb0E19rocblas_complex_numIdEPKS1_PKS3_PKPS1_EviT_T9_T10_S9_lSB_S9_lSA_T11_S9_li
                                        ; -- End function
	.set _ZL29rocblas_internal_gemmt_kernelIiLi16ELi32ELi8ELc84ELc84ELc85ELb0ELb0E19rocblas_complex_numIdEPKS1_PKS3_PKPS1_EviT_T9_T10_S9_lSB_S9_lSA_T11_S9_li.num_vgpr, 62
	.set _ZL29rocblas_internal_gemmt_kernelIiLi16ELi32ELi8ELc84ELc84ELc85ELb0ELb0E19rocblas_complex_numIdEPKS1_PKS3_PKPS1_EviT_T9_T10_S9_lSB_S9_lSA_T11_S9_li.num_agpr, 0
	.set _ZL29rocblas_internal_gemmt_kernelIiLi16ELi32ELi8ELc84ELc84ELc85ELb0ELb0E19rocblas_complex_numIdEPKS1_PKS3_PKPS1_EviT_T9_T10_S9_lSB_S9_lSA_T11_S9_li.numbered_sgpr, 40
	.set _ZL29rocblas_internal_gemmt_kernelIiLi16ELi32ELi8ELc84ELc84ELc85ELb0ELb0E19rocblas_complex_numIdEPKS1_PKS3_PKPS1_EviT_T9_T10_S9_lSB_S9_lSA_T11_S9_li.num_named_barrier, 0
	.set _ZL29rocblas_internal_gemmt_kernelIiLi16ELi32ELi8ELc84ELc84ELc85ELb0ELb0E19rocblas_complex_numIdEPKS1_PKS3_PKPS1_EviT_T9_T10_S9_lSB_S9_lSA_T11_S9_li.private_seg_size, 0
	.set _ZL29rocblas_internal_gemmt_kernelIiLi16ELi32ELi8ELc84ELc84ELc85ELb0ELb0E19rocblas_complex_numIdEPKS1_PKS3_PKPS1_EviT_T9_T10_S9_lSB_S9_lSA_T11_S9_li.uses_vcc, 1
	.set _ZL29rocblas_internal_gemmt_kernelIiLi16ELi32ELi8ELc84ELc84ELc85ELb0ELb0E19rocblas_complex_numIdEPKS1_PKS3_PKPS1_EviT_T9_T10_S9_lSB_S9_lSA_T11_S9_li.uses_flat_scratch, 0
	.set _ZL29rocblas_internal_gemmt_kernelIiLi16ELi32ELi8ELc84ELc84ELc85ELb0ELb0E19rocblas_complex_numIdEPKS1_PKS3_PKPS1_EviT_T9_T10_S9_lSB_S9_lSA_T11_S9_li.has_dyn_sized_stack, 0
	.set _ZL29rocblas_internal_gemmt_kernelIiLi16ELi32ELi8ELc84ELc84ELc85ELb0ELb0E19rocblas_complex_numIdEPKS1_PKS3_PKPS1_EviT_T9_T10_S9_lSB_S9_lSA_T11_S9_li.has_recursion, 0
	.set _ZL29rocblas_internal_gemmt_kernelIiLi16ELi32ELi8ELc84ELc84ELc85ELb0ELb0E19rocblas_complex_numIdEPKS1_PKS3_PKPS1_EviT_T9_T10_S9_lSB_S9_lSA_T11_S9_li.has_indirect_call, 0
	.section	.AMDGPU.csdata,"",@progbits
; Kernel info:
; codeLenInByte = 3136
; TotalNumSgprs: 46
; NumVgprs: 62
; NumAgprs: 0
; TotalNumVgprs: 62
; ScratchSize: 0
; MemoryBound: 0
; FloatMode: 240
; IeeeMode: 1
; LDSByteSize: 8192 bytes/workgroup (compile time only)
; SGPRBlocks: 5
; VGPRBlocks: 7
; NumSGPRsForWavesPerEU: 46
; NumVGPRsForWavesPerEU: 62
; AccumOffset: 64
; Occupancy: 8
; WaveLimiterHint : 1
; COMPUTE_PGM_RSRC2:SCRATCH_EN: 0
; COMPUTE_PGM_RSRC2:USER_SGPR: 2
; COMPUTE_PGM_RSRC2:TRAP_HANDLER: 0
; COMPUTE_PGM_RSRC2:TGID_X_EN: 1
; COMPUTE_PGM_RSRC2:TGID_Y_EN: 1
; COMPUTE_PGM_RSRC2:TGID_Z_EN: 1
; COMPUTE_PGM_RSRC2:TIDIG_COMP_CNT: 1
; COMPUTE_PGM_RSRC3_GFX90A:ACCUM_OFFSET: 15
; COMPUTE_PGM_RSRC3_GFX90A:TG_SPLIT: 0
	.section	.text._ZL29rocblas_internal_gemmt_kernelIiLi16ELi32ELi8ELc84ELc67ELc85ELb0ELb1E19rocblas_complex_numIdEPKS1_PKS3_PKPS1_EviT_T9_T10_S9_lSB_S9_lSA_T11_S9_li,"axG",@progbits,_ZL29rocblas_internal_gemmt_kernelIiLi16ELi32ELi8ELc84ELc67ELc85ELb0ELb1E19rocblas_complex_numIdEPKS1_PKS3_PKPS1_EviT_T9_T10_S9_lSB_S9_lSA_T11_S9_li,comdat
	.globl	_ZL29rocblas_internal_gemmt_kernelIiLi16ELi32ELi8ELc84ELc67ELc85ELb0ELb1E19rocblas_complex_numIdEPKS1_PKS3_PKPS1_EviT_T9_T10_S9_lSB_S9_lSA_T11_S9_li ; -- Begin function _ZL29rocblas_internal_gemmt_kernelIiLi16ELi32ELi8ELc84ELc67ELc85ELb0ELb1E19rocblas_complex_numIdEPKS1_PKS3_PKPS1_EviT_T9_T10_S9_lSB_S9_lSA_T11_S9_li
	.p2align	8
	.type	_ZL29rocblas_internal_gemmt_kernelIiLi16ELi32ELi8ELc84ELc67ELc85ELb0ELb1E19rocblas_complex_numIdEPKS1_PKS3_PKPS1_EviT_T9_T10_S9_lSB_S9_lSA_T11_S9_li,@function
_ZL29rocblas_internal_gemmt_kernelIiLi16ELi32ELi8ELc84ELc67ELc85ELb0ELb1E19rocblas_complex_numIdEPKS1_PKS3_PKPS1_EviT_T9_T10_S9_lSB_S9_lSA_T11_S9_li: ; @_ZL29rocblas_internal_gemmt_kernelIiLi16ELi32ELi8ELc84ELc67ELc85ELb0ELb1E19rocblas_complex_numIdEPKS1_PKS3_PKPS1_EviT_T9_T10_S9_lSB_S9_lSA_T11_S9_li
; %bb.0:
	s_load_dwordx4 s[16:19], s[0:1], 0x38
	s_load_dwordx4 s[20:23], s[0:1], 0x8
	s_mov_b64 s[24:25], 0
	s_waitcnt lgkmcnt(0)
	s_load_dwordx4 s[8:11], s[18:19], 0x0
	s_load_dwordx2 s[6:7], s[0:1], 0x0
	s_load_dwordx4 s[12:15], s[20:21], 0x0
	s_waitcnt lgkmcnt(0)
	v_cmp_eq_f64_e64 s[20:21], s[8:9], 1.0
	v_cmp_eq_f64_e64 s[18:19], s[10:11], 0
	s_and_b64 s[20:21], s[20:21], s[18:19]
	s_andn2_b64 vcc, exec, s[20:21]
	s_mov_b64 s[20:21], -1
	s_cbranch_vccnz .LBB401_4
; %bb.1:
	s_cmp_lg_u32 s7, 0
	s_cbranch_scc0 .LBB401_3
; %bb.2:
	v_cmp_neq_f64_e64 s[20:21], s[12:13], 0
	v_cmp_neq_f64_e64 s[24:25], s[14:15], 0
	s_or_b64 s[24:25], s[20:21], s[24:25]
.LBB401_3:
	s_mov_b64 s[20:21], s[24:25]
.LBB401_4:
	s_and_b64 vcc, exec, s[20:21]
	s_cbranch_vccz .LBB401_30
; %bb.5:
	s_load_dwordx2 s[20:21], s[0:1], 0x48
	s_mov_b32 s5, 0
	s_lshl_b64 s[24:25], s[4:5], 3
	v_cmp_eq_f64_e64 s[28:29], s[14:15], 0
	v_and_b32_e32 v28, 0x3ff, v0
	s_waitcnt lgkmcnt(0)
	s_add_u32 s20, s20, s24
	s_addc_u32 s21, s21, s25
	s_lshl_b32 s4, s2, 5
	s_lshl_b32 s26, s3, 5
	v_cmp_eq_f64_e64 s[2:3], s[12:13], 0
	s_load_dwordx2 s[20:21], s[20:21], 0x0
	s_and_b64 s[2:3], s[2:3], s[28:29]
	s_cmp_lt_i32 s7, 1
	s_cselect_b64 s[28:29], -1, 0
	s_or_b64 s[2:3], s[2:3], s[28:29]
	v_bfe_u32 v29, v0, 10, 10
	v_mov_b64_e32 v[24:25], 0
	s_and_b64 vcc, exec, s[2:3]
	v_mov_b64_e32 v[26:27], 0
	v_mov_b64_e32 v[20:21], 0
	v_mov_b64_e32 v[22:23], 0
	v_mov_b64_e32 v[16:17], 0
	v_mov_b64_e32 v[18:19], 0
	v_mov_b64_e32 v[14:15], 0
	v_mov_b64_e32 v[12:13], 0
	s_cbranch_vccnz .LBB401_14
; %bb.6:
	s_load_dword s27, s[0:1], 0x18
	s_load_dword s34, s[0:1], 0x30
	s_load_dwordx4 s[28:31], s[0:1], 0x20
	v_lshl_add_u32 v0, v29, 4, v28
	v_lshrrev_b32_e32 v31, 5, v0
	v_lshrrev_b32_e32 v1, 3, v0
	s_waitcnt lgkmcnt(0)
	s_ashr_i32 s35, s34, 31
	s_add_u32 s2, s30, s24
	s_addc_u32 s3, s31, s25
	v_and_b32_e32 v0, 31, v0
	s_load_dwordx2 s[30:31], s[2:3], 0x0
	s_add_u32 s2, s22, s24
	v_or_b32_e32 v3, s4, v0
	s_addc_u32 s3, s23, s25
	v_and_b32_e32 v30, 7, v28
	s_load_dwordx2 s[22:23], s[2:3], 0x0
	v_cmp_gt_i32_e64 s[2:3], s6, v3
	v_lshlrev_b32_e32 v3, 4, v0
	v_lshl_or_b32 v32, v31, 9, v3
	v_lshlrev_b32_e32 v3, 4, v30
	v_add_u32_e32 v2, s26, v1
	v_lshl_or_b32 v1, v1, 7, v3
	v_add_u32_e32 v33, 0x1000, v1
	v_mov_b32_e32 v1, 0x1000
	v_add_u32_e32 v0, s4, v0
	v_lshl_add_u32 v35, v29, 7, v1
	v_mad_i64_i32 v[0:1], s[24:25], s27, v0, 0
	s_lshl_b64 s[24:25], s[28:29], 4
	s_nop 0
	v_lshl_add_u64 v[4:5], v[0:1], 4, s[24:25]
	v_lshlrev_b32_e32 v0, 4, v31
	v_mov_b32_e32 v1, 0
	v_lshl_add_u64 v[4:5], v[4:5], 0, v[0:1]
	s_waitcnt lgkmcnt(0)
	v_lshl_add_u64 v[8:9], s[22:23], 0, v[4:5]
	v_mad_i64_i32 v[4:5], s[22:23], s34, v30, 0
	s_lshl_b64 s[16:17], s[16:17], 4
	v_ashrrev_i32_e32 v3, 31, v2
	v_lshl_add_u64 v[4:5], v[4:5], 4, s[16:17]
	v_cmp_gt_i32_e32 vcc, s6, v2
	v_lshl_add_u64 v[2:3], v[2:3], 4, v[4:5]
	v_lshlrev_b32_e32 v34, 4, v28
	v_lshl_add_u64 v[10:11], s[30:31], 0, v[2:3]
	s_lshl_b64 s[16:17], s[34:35], 7
	v_mov_b64_e32 v[12:13], 0
	s_xor_b64 s[22:23], s[2:3], -1
	s_mov_b64 s[24:25], 0x80
	v_mov_b32_e32 v0, v1
	v_mov_b32_e32 v2, v1
	;; [unrolled: 1-line block ×3, first 2 shown]
	v_mov_b64_e32 v[14:15], 0
	v_mov_b64_e32 v[18:19], 0
	;; [unrolled: 1-line block ×7, first 2 shown]
	s_branch .LBB401_8
.LBB401_7:                              ;   in Loop: Header=BB401_8 Depth=1
	s_or_b64 exec, exec, s[2:3]
	ds_write_b128 v33, v[4:7]
	s_waitcnt lgkmcnt(0)
	s_barrier
	ds_read_b128 v[4:7], v34
	ds_read_b128 v[36:39], v35
	ds_read_b128 v[40:43], v35 offset:16
	ds_read_b128 v[44:47], v35 offset:32
	;; [unrolled: 1-line block ×4, first 2 shown]
	s_waitcnt lgkmcnt(4)
	v_mul_f64 v[56:57], v[38:39], v[6:7]
	v_fma_f64 v[56:57], v[36:37], v[4:5], -v[56:57]
	v_mul_f64 v[58:59], v[36:37], v[6:7]
	v_fmac_f64_e32 v[58:59], v[38:39], v[4:5]
	v_add_f64 v[56:57], v[24:25], v[56:57]
	s_waitcnt lgkmcnt(0)
	v_mul_f64 v[24:25], v[38:39], v[54:55]
	v_add_f64 v[58:59], v[58:59], v[26:27]
	v_fma_f64 v[60:61], v[36:37], v[52:53], -v[24:25]
	ds_read_b128 v[24:27], v35 offset:2048
	v_mul_f64 v[36:37], v[36:37], v[54:55]
	v_fmac_f64_e32 v[36:37], v[38:39], v[52:53]
	v_add_f64 v[38:39], v[20:21], v[60:61]
	v_add_f64 v[36:37], v[36:37], v[22:23]
	ds_read_b128 v[20:23], v35 offset:2064
	s_waitcnt lgkmcnt(1)
	v_mul_f64 v[60:61], v[26:27], v[6:7]
	v_mul_f64 v[6:7], v[24:25], v[6:7]
	v_fma_f64 v[60:61], v[24:25], v[4:5], -v[60:61]
	v_fmac_f64_e32 v[6:7], v[26:27], v[4:5]
	v_mul_f64 v[4:5], v[26:27], v[54:55]
	v_add_f64 v[16:17], v[16:17], v[60:61]
	v_add_f64 v[18:19], v[6:7], v[18:19]
	v_fma_f64 v[60:61], v[24:25], v[52:53], -v[4:5]
	v_mul_f64 v[24:25], v[24:25], v[54:55]
	ds_read_b128 v[4:7], v34 offset:512
	v_fmac_f64_e32 v[24:25], v[26:27], v[52:53]
	v_add_f64 v[26:27], v[14:15], v[60:61]
	v_add_f64 v[24:25], v[24:25], v[12:13]
	ds_read_b128 v[12:15], v34 offset:768
	s_waitcnt lgkmcnt(1)
	v_mul_f64 v[52:53], v[42:43], v[6:7]
	v_fma_f64 v[52:53], v[40:41], v[4:5], -v[52:53]
	v_add_f64 v[52:53], v[56:57], v[52:53]
	v_mul_f64 v[54:55], v[40:41], v[6:7]
	s_waitcnt lgkmcnt(0)
	v_mul_f64 v[56:57], v[42:43], v[14:15]
	v_fma_f64 v[56:57], v[40:41], v[12:13], -v[56:57]
	v_mul_f64 v[40:41], v[40:41], v[14:15]
	v_fmac_f64_e32 v[40:41], v[42:43], v[12:13]
	v_add_f64 v[36:37], v[40:41], v[36:37]
	v_mul_f64 v[40:41], v[22:23], v[6:7]
	v_mul_f64 v[6:7], v[20:21], v[6:7]
	v_fmac_f64_e32 v[54:55], v[42:43], v[4:5]
	v_fma_f64 v[40:41], v[20:21], v[4:5], -v[40:41]
	v_fmac_f64_e32 v[6:7], v[22:23], v[4:5]
	v_mul_f64 v[4:5], v[22:23], v[14:15]
	v_add_f64 v[40:41], v[16:17], v[40:41]
	v_add_f64 v[42:43], v[6:7], v[18:19]
	v_fma_f64 v[16:17], v[20:21], v[12:13], -v[4:5]
	v_mul_f64 v[14:15], v[20:21], v[14:15]
	ds_read_b128 v[4:7], v34 offset:1024
	v_fmac_f64_e32 v[14:15], v[22:23], v[12:13]
	v_add_f64 v[24:25], v[14:15], v[24:25]
	ds_read_b128 v[12:15], v34 offset:1280
	v_add_f64 v[26:27], v[26:27], v[16:17]
	s_waitcnt lgkmcnt(1)
	v_mul_f64 v[16:17], v[46:47], v[6:7]
	v_fma_f64 v[16:17], v[44:45], v[4:5], -v[16:17]
	v_mul_f64 v[18:19], v[44:45], v[6:7]
	v_add_f64 v[54:55], v[54:55], v[58:59]
	v_fmac_f64_e32 v[18:19], v[46:47], v[4:5]
	v_add_f64 v[52:53], v[52:53], v[16:17]
	s_waitcnt lgkmcnt(0)
	v_mul_f64 v[16:17], v[46:47], v[14:15]
	v_add_f64 v[54:55], v[18:19], v[54:55]
	v_fma_f64 v[20:21], v[44:45], v[12:13], -v[16:17]
	ds_read_b128 v[16:19], v35 offset:2080
	v_mul_f64 v[22:23], v[44:45], v[14:15]
	v_add_f64 v[38:39], v[38:39], v[56:57]
	v_fmac_f64_e32 v[22:23], v[46:47], v[12:13]
	v_add_f64 v[38:39], v[38:39], v[20:21]
	v_add_f64 v[36:37], v[22:23], v[36:37]
	ds_read_b128 v[20:23], v35 offset:2096
	s_waitcnt lgkmcnt(1)
	v_mul_f64 v[44:45], v[18:19], v[6:7]
	v_mul_f64 v[6:7], v[16:17], v[6:7]
	v_fma_f64 v[44:45], v[16:17], v[4:5], -v[44:45]
	v_fmac_f64_e32 v[6:7], v[18:19], v[4:5]
	v_mul_f64 v[4:5], v[18:19], v[14:15]
	v_mul_f64 v[14:15], v[16:17], v[14:15]
	v_fmac_f64_e32 v[14:15], v[18:19], v[12:13]
	v_add_f64 v[40:41], v[40:41], v[44:45]
	v_add_f64 v[42:43], v[6:7], v[42:43]
	v_fma_f64 v[44:45], v[16:17], v[12:13], -v[4:5]
	ds_read_b128 v[4:7], v34 offset:1536
	v_add_f64 v[18:19], v[14:15], v[24:25]
	ds_read_b128 v[12:15], v34 offset:1792
	v_add_f64 v[16:17], v[26:27], v[44:45]
	s_add_i32 s5, s5, 8
	s_waitcnt lgkmcnt(1)
	v_mul_f64 v[24:25], v[50:51], v[6:7]
	v_mul_f64 v[26:27], v[48:49], v[6:7]
	s_waitcnt lgkmcnt(0)
	v_mul_f64 v[44:45], v[50:51], v[14:15]
	v_fma_f64 v[44:45], v[48:49], v[12:13], -v[44:45]
	v_add_f64 v[38:39], v[38:39], v[44:45]
	v_mul_f64 v[44:45], v[22:23], v[6:7]
	v_mul_f64 v[6:7], v[20:21], v[6:7]
	v_fma_f64 v[24:25], v[48:49], v[4:5], -v[24:25]
	v_fmac_f64_e32 v[26:27], v[50:51], v[4:5]
	v_fma_f64 v[44:45], v[20:21], v[4:5], -v[44:45]
	v_fmac_f64_e32 v[6:7], v[22:23], v[4:5]
	v_mul_f64 v[4:5], v[22:23], v[14:15]
	v_mul_f64 v[46:47], v[48:49], v[14:15]
	v_add_f64 v[40:41], v[40:41], v[44:45]
	v_fma_f64 v[44:45], v[20:21], v[12:13], -v[4:5]
	v_mul_f64 v[20:21], v[20:21], v[14:15]
	v_fmac_f64_e32 v[46:47], v[50:51], v[12:13]
	v_add_f64 v[42:43], v[6:7], v[42:43]
	v_fmac_f64_e32 v[20:21], v[22:23], v[12:13]
	ds_read_b128 v[4:7], v35 offset:64
	ds_read_b128 v[12:15], v34 offset:2048
	v_add_f64 v[36:37], v[46:47], v[36:37]
	v_add_f64 v[44:45], v[16:17], v[44:45]
	;; [unrolled: 1-line block ×3, first 2 shown]
	ds_read_b128 v[16:19], v34 offset:2304
	ds_read_b128 v[20:23], v35 offset:80
	s_waitcnt lgkmcnt(2)
	v_mul_f64 v[48:49], v[6:7], v[14:15]
	v_add_f64 v[24:25], v[52:53], v[24:25]
	v_fma_f64 v[48:49], v[4:5], v[12:13], -v[48:49]
	v_mul_f64 v[50:51], v[4:5], v[14:15]
	v_add_f64 v[26:27], v[26:27], v[54:55]
	v_fmac_f64_e32 v[50:51], v[6:7], v[12:13]
	v_add_f64 v[48:49], v[24:25], v[48:49]
	s_waitcnt lgkmcnt(1)
	v_mul_f64 v[24:25], v[6:7], v[18:19]
	v_add_f64 v[50:51], v[50:51], v[26:27]
	v_fma_f64 v[52:53], v[4:5], v[16:17], -v[24:25]
	ds_read_b128 v[24:27], v35 offset:2112
	v_mul_f64 v[4:5], v[4:5], v[18:19]
	v_fmac_f64_e32 v[4:5], v[6:7], v[16:17]
	v_add_f64 v[38:39], v[38:39], v[52:53]
	v_add_f64 v[36:37], v[4:5], v[36:37]
	ds_read_b128 v[4:7], v35 offset:2128
	s_waitcnt lgkmcnt(1)
	v_mul_f64 v[52:53], v[26:27], v[14:15]
	v_mul_f64 v[14:15], v[24:25], v[14:15]
	v_fma_f64 v[52:53], v[24:25], v[12:13], -v[52:53]
	v_fmac_f64_e32 v[14:15], v[26:27], v[12:13]
	v_mul_f64 v[12:13], v[26:27], v[18:19]
	v_add_f64 v[40:41], v[40:41], v[52:53]
	v_add_f64 v[42:43], v[14:15], v[42:43]
	v_fma_f64 v[52:53], v[24:25], v[16:17], -v[12:13]
	v_mul_f64 v[18:19], v[24:25], v[18:19]
	ds_read_b128 v[12:15], v34 offset:2560
	v_fmac_f64_e32 v[18:19], v[26:27], v[16:17]
	v_add_f64 v[26:27], v[18:19], v[46:47]
	ds_read_b128 v[16:19], v34 offset:2816
	v_add_f64 v[24:25], v[44:45], v[52:53]
	s_waitcnt lgkmcnt(1)
	v_mul_f64 v[44:45], v[22:23], v[14:15]
	v_fma_f64 v[44:45], v[20:21], v[12:13], -v[44:45]
	v_add_f64 v[44:45], v[48:49], v[44:45]
	s_waitcnt lgkmcnt(0)
	v_mul_f64 v[48:49], v[22:23], v[18:19]
	v_mul_f64 v[46:47], v[20:21], v[14:15]
	v_fma_f64 v[48:49], v[20:21], v[16:17], -v[48:49]
	v_mul_f64 v[20:21], v[20:21], v[18:19]
	v_fmac_f64_e32 v[20:21], v[22:23], v[16:17]
	v_add_f64 v[36:37], v[20:21], v[36:37]
	v_mul_f64 v[20:21], v[6:7], v[14:15]
	v_mul_f64 v[14:15], v[4:5], v[14:15]
	v_fmac_f64_e32 v[46:47], v[22:23], v[12:13]
	v_fma_f64 v[20:21], v[4:5], v[12:13], -v[20:21]
	v_fmac_f64_e32 v[14:15], v[6:7], v[12:13]
	v_mul_f64 v[12:13], v[6:7], v[18:19]
	v_mul_f64 v[18:19], v[4:5], v[18:19]
	v_add_f64 v[40:41], v[40:41], v[20:21]
	v_add_f64 v[42:43], v[14:15], v[42:43]
	v_fma_f64 v[20:21], v[4:5], v[16:17], -v[12:13]
	v_fmac_f64_e32 v[18:19], v[6:7], v[16:17]
	ds_read_b128 v[4:7], v35 offset:96
	ds_read_b128 v[12:15], v34 offset:3072
	v_add_f64 v[46:47], v[46:47], v[50:51]
	v_add_f64 v[38:39], v[38:39], v[48:49]
	;; [unrolled: 1-line block ×4, first 2 shown]
	ds_read_b128 v[16:19], v34 offset:3328
	ds_read_b128 v[20:23], v35 offset:112
	s_waitcnt lgkmcnt(2)
	v_mul_f64 v[24:25], v[6:7], v[14:15]
	v_fma_f64 v[24:25], v[4:5], v[12:13], -v[24:25]
	v_mul_f64 v[26:27], v[4:5], v[14:15]
	v_fmac_f64_e32 v[26:27], v[6:7], v[12:13]
	v_add_f64 v[44:45], v[44:45], v[24:25]
	s_waitcnt lgkmcnt(1)
	v_mul_f64 v[24:25], v[6:7], v[18:19]
	v_add_f64 v[46:47], v[26:27], v[46:47]
	v_fma_f64 v[52:53], v[4:5], v[16:17], -v[24:25]
	ds_read_b128 v[24:27], v35 offset:2144
	v_mul_f64 v[4:5], v[4:5], v[18:19]
	v_fmac_f64_e32 v[4:5], v[6:7], v[16:17]
	v_add_f64 v[54:55], v[4:5], v[36:37]
	ds_read_b128 v[4:7], v35 offset:2160
	s_waitcnt lgkmcnt(1)
	v_mul_f64 v[36:37], v[26:27], v[14:15]
	v_mul_f64 v[14:15], v[24:25], v[14:15]
	v_fma_f64 v[36:37], v[24:25], v[12:13], -v[36:37]
	v_fmac_f64_e32 v[14:15], v[26:27], v[12:13]
	v_mul_f64 v[12:13], v[26:27], v[18:19]
	v_add_f64 v[40:41], v[40:41], v[36:37]
	v_add_f64 v[42:43], v[14:15], v[42:43]
	v_fma_f64 v[36:37], v[24:25], v[16:17], -v[12:13]
	ds_read_b128 v[12:15], v34 offset:3584
	v_add_f64 v[52:53], v[38:39], v[52:53]
	v_add_f64 v[48:49], v[48:49], v[36:37]
	ds_read_b128 v[36:39], v34 offset:3840
	v_mul_f64 v[18:19], v[24:25], v[18:19]
	v_fmac_f64_e32 v[18:19], v[26:27], v[16:17]
	s_waitcnt lgkmcnt(1)
	v_mul_f64 v[16:17], v[22:23], v[14:15]
	v_fma_f64 v[16:17], v[20:21], v[12:13], -v[16:17]
	v_add_f64 v[50:51], v[18:19], v[50:51]
	v_mul_f64 v[18:19], v[20:21], v[14:15]
	v_add_f64 v[24:25], v[44:45], v[16:17]
	s_waitcnt lgkmcnt(0)
	v_mul_f64 v[16:17], v[22:23], v[38:39]
	v_fmac_f64_e32 v[18:19], v[22:23], v[12:13]
	v_fma_f64 v[16:17], v[20:21], v[36:37], -v[16:17]
	v_add_f64 v[26:27], v[18:19], v[46:47]
	v_mul_f64 v[18:19], v[20:21], v[38:39]
	v_add_f64 v[20:21], v[52:53], v[16:17]
	v_mul_f64 v[16:17], v[6:7], v[14:15]
	v_mul_f64 v[14:15], v[4:5], v[14:15]
	v_fma_f64 v[16:17], v[4:5], v[12:13], -v[16:17]
	v_fmac_f64_e32 v[14:15], v[6:7], v[12:13]
	v_mul_f64 v[12:13], v[6:7], v[38:39]
	v_fma_f64 v[12:13], v[4:5], v[36:37], -v[12:13]
	v_mul_f64 v[4:5], v[4:5], v[38:39]
	v_fmac_f64_e32 v[18:19], v[22:23], v[36:37]
	v_fmac_f64_e32 v[4:5], v[6:7], v[36:37]
	v_add_f64 v[22:23], v[18:19], v[54:55]
	v_add_f64 v[16:17], v[40:41], v[16:17]
	;; [unrolled: 1-line block ×5, first 2 shown]
	v_lshl_add_u64 v[8:9], v[8:9], 0, s[24:25]
	s_cmp_lt_i32 s5, s7
	v_lshl_add_u64 v[10:11], v[10:11], 0, s[16:17]
	s_barrier
	s_cbranch_scc0 .LBB401_14
.LBB401_8:                              ; =>This Inner Loop Header: Depth=1
	v_add_u32_e32 v4, s5, v31
	v_cmp_le_i32_e64 s[2:3], s7, v4
	s_or_b64 s[2:3], s[22:23], s[2:3]
	s_and_saveexec_b64 s[28:29], s[2:3]
	s_xor_b64 s[2:3], exec, s[28:29]
; %bb.9:                                ;   in Loop: Header=BB401_8 Depth=1
	ds_write_b128 v32, v[0:3]
; %bb.10:                               ;   in Loop: Header=BB401_8 Depth=1
	s_andn2_saveexec_b64 s[2:3], s[2:3]
	s_cbranch_execz .LBB401_12
; %bb.11:                               ;   in Loop: Header=BB401_8 Depth=1
	flat_load_dwordx4 v[4:7], v[8:9]
	s_waitcnt vmcnt(0) lgkmcnt(0)
	ds_write2_b64 v32, v[4:5], v[6:7] offset1:1
.LBB401_12:                             ;   in Loop: Header=BB401_8 Depth=1
	s_or_b64 exec, exec, s[2:3]
	v_add_u32_e32 v4, s5, v30
	v_cmp_gt_i32_e64 s[2:3], s7, v4
	s_and_b64 s[28:29], s[2:3], vcc
	v_mov_b64_e32 v[4:5], 0
	v_mov_b64_e32 v[6:7], 0
	s_and_saveexec_b64 s[2:3], s[28:29]
	s_cbranch_execz .LBB401_7
; %bb.13:                               ;   in Loop: Header=BB401_8 Depth=1
	flat_load_dwordx4 v[4:7], v[10:11]
	s_waitcnt vmcnt(0) lgkmcnt(0)
	v_xor_b32_e32 v7, 0x80000000, v7
	s_branch .LBB401_7
.LBB401_14:
	s_load_dwordx2 s[2:3], s[0:1], 0x58
	s_load_dword s7, s[0:1], 0x50
	v_add_u32_e32 v4, s4, v28
	v_add_u32_e32 v10, s26, v29
	v_cmp_neq_f64_e64 s[0:1], s[8:9], 0
	s_waitcnt lgkmcnt(0)
	s_lshl_b64 s[2:3], s[2:3], 4
	s_add_u32 s4, s20, s2
	s_addc_u32 s5, s21, s3
	s_xor_b64 s[16:17], s[18:19], -1
	v_mad_i64_i32 v[0:1], s[18:19], v10, s7, 0
	s_or_b64 s[0:1], s[0:1], s[16:17]
	v_cmp_gt_i32_e64 s[2:3], s6, v10
	v_lshl_add_u64 v[8:9], v[0:1], 4, s[4:5]
	v_cmp_le_i32_e32 vcc, v4, v10
	v_cndmask_b32_e64 v0, 0, 1, s[0:1]
	s_and_b64 s[18:19], s[2:3], vcc
	v_ashrrev_i32_e32 v5, 31, v4
	v_cmp_ne_u32_e64 s[0:1], 1, v0
	s_and_saveexec_b64 s[16:17], s[18:19]
	s_cbranch_execz .LBB401_18
; %bb.15:
	v_mul_f64 v[0:1], s[14:15], v[26:27]
	v_mul_f64 v[2:3], s[12:13], v[26:27]
	v_fma_f64 v[0:1], s[12:13], v[24:25], -v[0:1]
	v_fmac_f64_e32 v[2:3], s[14:15], v[24:25]
	s_and_b64 vcc, exec, s[0:1]
	v_lshl_add_u64 v[6:7], v[4:5], 4, v[8:9]
	s_cbranch_vccnz .LBB401_17
; %bb.16:
	flat_load_dwordx4 v[24:27], v[6:7]
	s_waitcnt vmcnt(0) lgkmcnt(0)
	v_mul_f64 v[28:29], s[10:11], v[26:27]
	v_mul_f64 v[26:27], s[8:9], v[26:27]
	v_fma_f64 v[28:29], s[8:9], v[24:25], -v[28:29]
	v_fmac_f64_e32 v[26:27], s[10:11], v[24:25]
	v_add_f64 v[0:1], v[0:1], v[28:29]
	v_add_f64 v[2:3], v[2:3], v[26:27]
.LBB401_17:
	flat_store_dwordx4 v[6:7], v[0:3]
.LBB401_18:
	s_or_b64 exec, exec, s[16:17]
	v_add_u32_e32 v6, 16, v4
	v_cmp_le_i32_e32 vcc, v6, v10
	s_and_b64 s[16:17], s[2:3], vcc
	v_ashrrev_i32_e32 v7, 31, v6
	s_and_saveexec_b64 s[2:3], s[16:17]
	s_cbranch_execz .LBB401_22
; %bb.19:
	v_mul_f64 v[0:1], s[14:15], v[22:23]
	v_mul_f64 v[2:3], s[12:13], v[22:23]
	v_fma_f64 v[0:1], s[12:13], v[20:21], -v[0:1]
	v_fmac_f64_e32 v[2:3], s[14:15], v[20:21]
	s_and_b64 vcc, exec, s[0:1]
	v_lshl_add_u64 v[8:9], v[6:7], 4, v[8:9]
	s_cbranch_vccnz .LBB401_21
; %bb.20:
	flat_load_dwordx4 v[20:23], v[8:9]
	s_waitcnt vmcnt(0) lgkmcnt(0)
	v_mul_f64 v[24:25], s[10:11], v[22:23]
	v_mul_f64 v[22:23], s[8:9], v[22:23]
	v_fma_f64 v[24:25], s[8:9], v[20:21], -v[24:25]
	v_fmac_f64_e32 v[22:23], s[10:11], v[20:21]
	v_add_f64 v[0:1], v[0:1], v[24:25]
	v_add_f64 v[2:3], v[2:3], v[22:23]
.LBB401_21:
	flat_store_dwordx4 v[8:9], v[0:3]
.LBB401_22:
	s_or_b64 exec, exec, s[2:3]
	v_add_u32_e32 v10, 16, v10
	v_cmp_gt_i32_e64 s[2:3], s6, v10
	v_mad_i64_i32 v[0:1], s[6:7], v10, s7, 0
	v_cmp_le_i32_e32 vcc, v4, v10
	v_lshl_add_u64 v[8:9], v[0:1], 4, s[4:5]
	s_and_b64 s[6:7], s[2:3], vcc
	s_and_saveexec_b64 s[4:5], s[6:7]
	s_cbranch_execz .LBB401_26
; %bb.23:
	v_mul_f64 v[0:1], s[14:15], v[18:19]
	v_mul_f64 v[2:3], s[12:13], v[18:19]
	v_fma_f64 v[0:1], s[12:13], v[16:17], -v[0:1]
	v_fmac_f64_e32 v[2:3], s[14:15], v[16:17]
	s_and_b64 vcc, exec, s[0:1]
	v_lshl_add_u64 v[4:5], v[4:5], 4, v[8:9]
	s_cbranch_vccnz .LBB401_25
; %bb.24:
	flat_load_dwordx4 v[16:19], v[4:5]
	s_waitcnt vmcnt(0) lgkmcnt(0)
	v_mul_f64 v[20:21], s[10:11], v[18:19]
	v_mul_f64 v[18:19], s[8:9], v[18:19]
	v_fma_f64 v[20:21], s[8:9], v[16:17], -v[20:21]
	v_fmac_f64_e32 v[18:19], s[10:11], v[16:17]
	v_add_f64 v[0:1], v[0:1], v[20:21]
	v_add_f64 v[2:3], v[2:3], v[18:19]
.LBB401_25:
	flat_store_dwordx4 v[4:5], v[0:3]
.LBB401_26:
	s_or_b64 exec, exec, s[4:5]
	v_cmp_le_i32_e32 vcc, v6, v10
	s_and_b64 s[2:3], s[2:3], vcc
	s_and_saveexec_b64 s[4:5], s[2:3]
	s_cbranch_execz .LBB401_30
; %bb.27:
	v_mul_f64 v[0:1], s[14:15], v[12:13]
	v_mul_f64 v[2:3], s[12:13], v[12:13]
	v_fma_f64 v[0:1], s[12:13], v[14:15], -v[0:1]
	v_fmac_f64_e32 v[2:3], s[14:15], v[14:15]
	s_and_b64 vcc, exec, s[0:1]
	v_lshl_add_u64 v[4:5], v[6:7], 4, v[8:9]
	s_cbranch_vccnz .LBB401_29
; %bb.28:
	flat_load_dwordx4 v[6:9], v[4:5]
	s_waitcnt vmcnt(0) lgkmcnt(0)
	v_mul_f64 v[10:11], s[10:11], v[8:9]
	v_mul_f64 v[8:9], s[8:9], v[8:9]
	v_fma_f64 v[10:11], s[8:9], v[6:7], -v[10:11]
	v_fmac_f64_e32 v[8:9], s[10:11], v[6:7]
	v_add_f64 v[0:1], v[0:1], v[10:11]
	v_add_f64 v[2:3], v[2:3], v[8:9]
.LBB401_29:
	flat_store_dwordx4 v[4:5], v[0:3]
.LBB401_30:
	s_endpgm
	.section	.rodata,"a",@progbits
	.p2align	6, 0x0
	.amdhsa_kernel _ZL29rocblas_internal_gemmt_kernelIiLi16ELi32ELi8ELc84ELc67ELc85ELb0ELb1E19rocblas_complex_numIdEPKS1_PKS3_PKPS1_EviT_T9_T10_S9_lSB_S9_lSA_T11_S9_li
		.amdhsa_group_segment_fixed_size 8192
		.amdhsa_private_segment_fixed_size 0
		.amdhsa_kernarg_size 100
		.amdhsa_user_sgpr_count 2
		.amdhsa_user_sgpr_dispatch_ptr 0
		.amdhsa_user_sgpr_queue_ptr 0
		.amdhsa_user_sgpr_kernarg_segment_ptr 1
		.amdhsa_user_sgpr_dispatch_id 0
		.amdhsa_user_sgpr_kernarg_preload_length 0
		.amdhsa_user_sgpr_kernarg_preload_offset 0
		.amdhsa_user_sgpr_private_segment_size 0
		.amdhsa_uses_dynamic_stack 0
		.amdhsa_enable_private_segment 0
		.amdhsa_system_sgpr_workgroup_id_x 1
		.amdhsa_system_sgpr_workgroup_id_y 1
		.amdhsa_system_sgpr_workgroup_id_z 1
		.amdhsa_system_sgpr_workgroup_info 0
		.amdhsa_system_vgpr_workitem_id 1
		.amdhsa_next_free_vgpr 62
		.amdhsa_next_free_sgpr 36
		.amdhsa_accum_offset 64
		.amdhsa_reserve_vcc 1
		.amdhsa_float_round_mode_32 0
		.amdhsa_float_round_mode_16_64 0
		.amdhsa_float_denorm_mode_32 3
		.amdhsa_float_denorm_mode_16_64 3
		.amdhsa_dx10_clamp 1
		.amdhsa_ieee_mode 1
		.amdhsa_fp16_overflow 0
		.amdhsa_tg_split 0
		.amdhsa_exception_fp_ieee_invalid_op 0
		.amdhsa_exception_fp_denorm_src 0
		.amdhsa_exception_fp_ieee_div_zero 0
		.amdhsa_exception_fp_ieee_overflow 0
		.amdhsa_exception_fp_ieee_underflow 0
		.amdhsa_exception_fp_ieee_inexact 0
		.amdhsa_exception_int_div_zero 0
	.end_amdhsa_kernel
	.section	.text._ZL29rocblas_internal_gemmt_kernelIiLi16ELi32ELi8ELc84ELc67ELc85ELb0ELb1E19rocblas_complex_numIdEPKS1_PKS3_PKPS1_EviT_T9_T10_S9_lSB_S9_lSA_T11_S9_li,"axG",@progbits,_ZL29rocblas_internal_gemmt_kernelIiLi16ELi32ELi8ELc84ELc67ELc85ELb0ELb1E19rocblas_complex_numIdEPKS1_PKS3_PKPS1_EviT_T9_T10_S9_lSB_S9_lSA_T11_S9_li,comdat
.Lfunc_end401:
	.size	_ZL29rocblas_internal_gemmt_kernelIiLi16ELi32ELi8ELc84ELc67ELc85ELb0ELb1E19rocblas_complex_numIdEPKS1_PKS3_PKPS1_EviT_T9_T10_S9_lSB_S9_lSA_T11_S9_li, .Lfunc_end401-_ZL29rocblas_internal_gemmt_kernelIiLi16ELi32ELi8ELc84ELc67ELc85ELb0ELb1E19rocblas_complex_numIdEPKS1_PKS3_PKPS1_EviT_T9_T10_S9_lSB_S9_lSA_T11_S9_li
                                        ; -- End function
	.set _ZL29rocblas_internal_gemmt_kernelIiLi16ELi32ELi8ELc84ELc67ELc85ELb0ELb1E19rocblas_complex_numIdEPKS1_PKS3_PKPS1_EviT_T9_T10_S9_lSB_S9_lSA_T11_S9_li.num_vgpr, 62
	.set _ZL29rocblas_internal_gemmt_kernelIiLi16ELi32ELi8ELc84ELc67ELc85ELb0ELb1E19rocblas_complex_numIdEPKS1_PKS3_PKPS1_EviT_T9_T10_S9_lSB_S9_lSA_T11_S9_li.num_agpr, 0
	.set _ZL29rocblas_internal_gemmt_kernelIiLi16ELi32ELi8ELc84ELc67ELc85ELb0ELb1E19rocblas_complex_numIdEPKS1_PKS3_PKPS1_EviT_T9_T10_S9_lSB_S9_lSA_T11_S9_li.numbered_sgpr, 36
	.set _ZL29rocblas_internal_gemmt_kernelIiLi16ELi32ELi8ELc84ELc67ELc85ELb0ELb1E19rocblas_complex_numIdEPKS1_PKS3_PKPS1_EviT_T9_T10_S9_lSB_S9_lSA_T11_S9_li.num_named_barrier, 0
	.set _ZL29rocblas_internal_gemmt_kernelIiLi16ELi32ELi8ELc84ELc67ELc85ELb0ELb1E19rocblas_complex_numIdEPKS1_PKS3_PKPS1_EviT_T9_T10_S9_lSB_S9_lSA_T11_S9_li.private_seg_size, 0
	.set _ZL29rocblas_internal_gemmt_kernelIiLi16ELi32ELi8ELc84ELc67ELc85ELb0ELb1E19rocblas_complex_numIdEPKS1_PKS3_PKPS1_EviT_T9_T10_S9_lSB_S9_lSA_T11_S9_li.uses_vcc, 1
	.set _ZL29rocblas_internal_gemmt_kernelIiLi16ELi32ELi8ELc84ELc67ELc85ELb0ELb1E19rocblas_complex_numIdEPKS1_PKS3_PKPS1_EviT_T9_T10_S9_lSB_S9_lSA_T11_S9_li.uses_flat_scratch, 0
	.set _ZL29rocblas_internal_gemmt_kernelIiLi16ELi32ELi8ELc84ELc67ELc85ELb0ELb1E19rocblas_complex_numIdEPKS1_PKS3_PKPS1_EviT_T9_T10_S9_lSB_S9_lSA_T11_S9_li.has_dyn_sized_stack, 0
	.set _ZL29rocblas_internal_gemmt_kernelIiLi16ELi32ELi8ELc84ELc67ELc85ELb0ELb1E19rocblas_complex_numIdEPKS1_PKS3_PKPS1_EviT_T9_T10_S9_lSB_S9_lSA_T11_S9_li.has_recursion, 0
	.set _ZL29rocblas_internal_gemmt_kernelIiLi16ELi32ELi8ELc84ELc67ELc85ELb0ELb1E19rocblas_complex_numIdEPKS1_PKS3_PKPS1_EviT_T9_T10_S9_lSB_S9_lSA_T11_S9_li.has_indirect_call, 0
	.section	.AMDGPU.csdata,"",@progbits
; Kernel info:
; codeLenInByte = 3140
; TotalNumSgprs: 42
; NumVgprs: 62
; NumAgprs: 0
; TotalNumVgprs: 62
; ScratchSize: 0
; MemoryBound: 1
; FloatMode: 240
; IeeeMode: 1
; LDSByteSize: 8192 bytes/workgroup (compile time only)
; SGPRBlocks: 5
; VGPRBlocks: 7
; NumSGPRsForWavesPerEU: 42
; NumVGPRsForWavesPerEU: 62
; AccumOffset: 64
; Occupancy: 8
; WaveLimiterHint : 1
; COMPUTE_PGM_RSRC2:SCRATCH_EN: 0
; COMPUTE_PGM_RSRC2:USER_SGPR: 2
; COMPUTE_PGM_RSRC2:TRAP_HANDLER: 0
; COMPUTE_PGM_RSRC2:TGID_X_EN: 1
; COMPUTE_PGM_RSRC2:TGID_Y_EN: 1
; COMPUTE_PGM_RSRC2:TGID_Z_EN: 1
; COMPUTE_PGM_RSRC2:TIDIG_COMP_CNT: 1
; COMPUTE_PGM_RSRC3_GFX90A:ACCUM_OFFSET: 15
; COMPUTE_PGM_RSRC3_GFX90A:TG_SPLIT: 0
	.section	.text._ZL29rocblas_internal_gemmt_kernelIiLi16ELi32ELi8ELc67ELc78ELc85ELb1ELb0E19rocblas_complex_numIdEPKS1_PKS3_PKPS1_EviT_T9_T10_S9_lSB_S9_lSA_T11_S9_li,"axG",@progbits,_ZL29rocblas_internal_gemmt_kernelIiLi16ELi32ELi8ELc67ELc78ELc85ELb1ELb0E19rocblas_complex_numIdEPKS1_PKS3_PKPS1_EviT_T9_T10_S9_lSB_S9_lSA_T11_S9_li,comdat
	.globl	_ZL29rocblas_internal_gemmt_kernelIiLi16ELi32ELi8ELc67ELc78ELc85ELb1ELb0E19rocblas_complex_numIdEPKS1_PKS3_PKPS1_EviT_T9_T10_S9_lSB_S9_lSA_T11_S9_li ; -- Begin function _ZL29rocblas_internal_gemmt_kernelIiLi16ELi32ELi8ELc67ELc78ELc85ELb1ELb0E19rocblas_complex_numIdEPKS1_PKS3_PKPS1_EviT_T9_T10_S9_lSB_S9_lSA_T11_S9_li
	.p2align	8
	.type	_ZL29rocblas_internal_gemmt_kernelIiLi16ELi32ELi8ELc67ELc78ELc85ELb1ELb0E19rocblas_complex_numIdEPKS1_PKS3_PKPS1_EviT_T9_T10_S9_lSB_S9_lSA_T11_S9_li,@function
_ZL29rocblas_internal_gemmt_kernelIiLi16ELi32ELi8ELc67ELc78ELc85ELb1ELb0E19rocblas_complex_numIdEPKS1_PKS3_PKPS1_EviT_T9_T10_S9_lSB_S9_lSA_T11_S9_li: ; @_ZL29rocblas_internal_gemmt_kernelIiLi16ELi32ELi8ELc67ELc78ELc85ELb1ELb0E19rocblas_complex_numIdEPKS1_PKS3_PKPS1_EviT_T9_T10_S9_lSB_S9_lSA_T11_S9_li
; %bb.0:
	s_load_dwordx4 s[16:19], s[0:1], 0x38
	s_load_dwordx4 s[20:23], s[0:1], 0x8
	s_mov_b64 s[24:25], 0
	s_waitcnt lgkmcnt(0)
	s_load_dwordx4 s[8:11], s[18:19], 0x0
	s_load_dwordx2 s[6:7], s[0:1], 0x0
	s_load_dwordx4 s[12:15], s[20:21], 0x0
	s_waitcnt lgkmcnt(0)
	v_cmp_eq_f64_e64 s[20:21], s[8:9], 1.0
	v_cmp_eq_f64_e64 s[18:19], s[10:11], 0
	s_and_b64 s[20:21], s[20:21], s[18:19]
	s_andn2_b64 vcc, exec, s[20:21]
	s_mov_b64 s[20:21], -1
	s_cbranch_vccnz .LBB402_4
; %bb.1:
	s_cmp_lg_u32 s7, 0
	s_cbranch_scc0 .LBB402_3
; %bb.2:
	v_cmp_neq_f64_e64 s[20:21], s[12:13], 0
	v_cmp_neq_f64_e64 s[24:25], s[14:15], 0
	s_or_b64 s[24:25], s[20:21], s[24:25]
.LBB402_3:
	s_mov_b64 s[20:21], s[24:25]
.LBB402_4:
	s_and_b64 vcc, exec, s[20:21]
	s_cbranch_vccz .LBB402_30
; %bb.5:
	s_load_dwordx2 s[20:21], s[0:1], 0x48
	s_mov_b32 s5, 0
	s_lshl_b64 s[24:25], s[4:5], 3
	v_cmp_eq_f64_e64 s[28:29], s[14:15], 0
	v_and_b32_e32 v28, 0x3ff, v0
	s_waitcnt lgkmcnt(0)
	s_add_u32 s20, s20, s24
	s_addc_u32 s21, s21, s25
	s_lshl_b32 s4, s2, 5
	s_lshl_b32 s26, s3, 5
	v_cmp_eq_f64_e64 s[2:3], s[12:13], 0
	s_load_dwordx2 s[20:21], s[20:21], 0x0
	s_and_b64 s[2:3], s[2:3], s[28:29]
	s_cmp_lt_i32 s7, 1
	s_cselect_b64 s[28:29], -1, 0
	s_or_b64 s[2:3], s[2:3], s[28:29]
	v_bfe_u32 v29, v0, 10, 10
	v_mov_b64_e32 v[24:25], 0
	s_and_b64 vcc, exec, s[2:3]
	v_mov_b64_e32 v[26:27], 0
	v_mov_b64_e32 v[20:21], 0
	;; [unrolled: 1-line block ×7, first 2 shown]
	s_cbranch_vccnz .LBB402_14
; %bb.6:
	s_load_dword s27, s[0:1], 0x18
	s_load_dwordx4 s[28:31], s[0:1], 0x20
	s_load_dword s33, s[0:1], 0x30
	v_lshl_add_u32 v0, v29, 4, v28
	v_lshrrev_b32_e32 v31, 5, v0
	v_lshrrev_b32_e32 v1, 3, v0
	v_and_b32_e32 v0, 31, v0
	v_or_b32_e32 v2, s4, v0
	s_waitcnt lgkmcnt(0)
	s_add_u32 s2, s30, s24
	v_and_b32_e32 v30, 7, v28
	s_addc_u32 s3, s31, s25
	v_cmp_gt_i32_e32 vcc, s6, v2
	v_lshlrev_b32_e32 v2, 4, v0
	s_load_dwordx2 s[30:31], s[2:3], 0x0
	s_add_u32 s2, s22, s24
	v_lshl_or_b32 v32, v31, 9, v2
	v_lshlrev_b32_e32 v2, 4, v30
	v_add_u32_e32 v3, s26, v1
	s_addc_u32 s3, s23, s25
	v_lshl_or_b32 v1, v1, 7, v2
	s_load_dwordx2 s[22:23], s[2:3], 0x0
	v_add_u32_e32 v33, 0x1000, v1
	v_mov_b32_e32 v1, 0x1000
	v_add_u32_e32 v0, s4, v0
	v_lshl_add_u32 v35, v29, 7, v1
	v_mad_i64_i32 v[0:1], s[24:25], s27, v0, 0
	s_lshl_b64 s[24:25], s[28:29], 4
	s_nop 0
	v_lshl_add_u64 v[4:5], v[0:1], 4, s[24:25]
	v_lshlrev_b32_e32 v0, 4, v31
	v_mov_b32_e32 v1, 0
	v_lshl_add_u64 v[4:5], v[4:5], 0, v[0:1]
	s_waitcnt lgkmcnt(0)
	v_lshl_add_u64 v[8:9], s[22:23], 0, v[4:5]
	v_mad_i64_i32 v[4:5], s[22:23], s33, v3, 0
	s_lshl_b64 s[16:17], s[16:17], 4
	v_cmp_gt_i32_e64 s[2:3], s6, v3
	v_lshl_add_u64 v[4:5], v[4:5], 4, s[16:17]
	v_mov_b32_e32 v3, v1
	v_lshl_add_u64 v[2:3], v[4:5], 0, v[2:3]
	v_lshlrev_b32_e32 v34, 4, v28
	v_lshl_add_u64 v[10:11], s[30:31], 0, v[2:3]
	v_mov_b64_e32 v[12:13], 0
	s_xor_b64 s[16:17], s[2:3], -1
	s_mov_b64 s[22:23], 0x80
	v_mov_b32_e32 v0, v1
	v_mov_b32_e32 v2, v1
	;; [unrolled: 1-line block ×3, first 2 shown]
	v_mov_b64_e32 v[14:15], 0
	v_mov_b64_e32 v[18:19], 0
	;; [unrolled: 1-line block ×7, first 2 shown]
	s_branch .LBB402_8
.LBB402_7:                              ;   in Loop: Header=BB402_8 Depth=1
	s_or_b64 exec, exec, s[2:3]
	s_waitcnt lgkmcnt(0)
	s_barrier
	ds_read_b128 v[4:7], v34
	ds_read_b128 v[36:39], v35
	ds_read_b128 v[40:43], v35 offset:16
	ds_read_b128 v[44:47], v35 offset:32
	;; [unrolled: 1-line block ×4, first 2 shown]
	s_waitcnt lgkmcnt(4)
	v_mul_f64 v[56:57], v[38:39], v[6:7]
	v_fma_f64 v[56:57], v[36:37], v[4:5], -v[56:57]
	v_mul_f64 v[58:59], v[36:37], v[6:7]
	v_fmac_f64_e32 v[58:59], v[38:39], v[4:5]
	v_add_f64 v[56:57], v[24:25], v[56:57]
	s_waitcnt lgkmcnt(0)
	v_mul_f64 v[24:25], v[38:39], v[54:55]
	v_add_f64 v[58:59], v[58:59], v[26:27]
	v_fma_f64 v[60:61], v[36:37], v[52:53], -v[24:25]
	ds_read_b128 v[24:27], v35 offset:2048
	v_mul_f64 v[36:37], v[36:37], v[54:55]
	v_fmac_f64_e32 v[36:37], v[38:39], v[52:53]
	v_add_f64 v[38:39], v[20:21], v[60:61]
	v_add_f64 v[36:37], v[36:37], v[22:23]
	ds_read_b128 v[20:23], v35 offset:2064
	s_waitcnt lgkmcnt(1)
	v_mul_f64 v[60:61], v[26:27], v[6:7]
	v_mul_f64 v[6:7], v[24:25], v[6:7]
	v_fma_f64 v[60:61], v[24:25], v[4:5], -v[60:61]
	v_fmac_f64_e32 v[6:7], v[26:27], v[4:5]
	v_mul_f64 v[4:5], v[26:27], v[54:55]
	v_add_f64 v[16:17], v[16:17], v[60:61]
	v_add_f64 v[18:19], v[6:7], v[18:19]
	v_fma_f64 v[60:61], v[24:25], v[52:53], -v[4:5]
	v_mul_f64 v[24:25], v[24:25], v[54:55]
	ds_read_b128 v[4:7], v34 offset:512
	v_fmac_f64_e32 v[24:25], v[26:27], v[52:53]
	v_add_f64 v[26:27], v[14:15], v[60:61]
	v_add_f64 v[24:25], v[24:25], v[12:13]
	ds_read_b128 v[12:15], v34 offset:768
	s_waitcnt lgkmcnt(1)
	v_mul_f64 v[52:53], v[42:43], v[6:7]
	v_fma_f64 v[52:53], v[40:41], v[4:5], -v[52:53]
	v_add_f64 v[52:53], v[56:57], v[52:53]
	v_mul_f64 v[54:55], v[40:41], v[6:7]
	s_waitcnt lgkmcnt(0)
	v_mul_f64 v[56:57], v[42:43], v[14:15]
	v_fma_f64 v[56:57], v[40:41], v[12:13], -v[56:57]
	v_mul_f64 v[40:41], v[40:41], v[14:15]
	v_fmac_f64_e32 v[40:41], v[42:43], v[12:13]
	v_add_f64 v[36:37], v[40:41], v[36:37]
	v_mul_f64 v[40:41], v[22:23], v[6:7]
	v_mul_f64 v[6:7], v[20:21], v[6:7]
	v_fmac_f64_e32 v[54:55], v[42:43], v[4:5]
	v_fma_f64 v[40:41], v[20:21], v[4:5], -v[40:41]
	v_fmac_f64_e32 v[6:7], v[22:23], v[4:5]
	v_mul_f64 v[4:5], v[22:23], v[14:15]
	v_add_f64 v[40:41], v[16:17], v[40:41]
	v_add_f64 v[42:43], v[6:7], v[18:19]
	v_fma_f64 v[16:17], v[20:21], v[12:13], -v[4:5]
	v_mul_f64 v[14:15], v[20:21], v[14:15]
	ds_read_b128 v[4:7], v34 offset:1024
	v_fmac_f64_e32 v[14:15], v[22:23], v[12:13]
	v_add_f64 v[24:25], v[14:15], v[24:25]
	ds_read_b128 v[12:15], v34 offset:1280
	v_add_f64 v[26:27], v[26:27], v[16:17]
	s_waitcnt lgkmcnt(1)
	v_mul_f64 v[16:17], v[46:47], v[6:7]
	v_fma_f64 v[16:17], v[44:45], v[4:5], -v[16:17]
	v_mul_f64 v[18:19], v[44:45], v[6:7]
	v_add_f64 v[54:55], v[54:55], v[58:59]
	v_fmac_f64_e32 v[18:19], v[46:47], v[4:5]
	v_add_f64 v[52:53], v[52:53], v[16:17]
	s_waitcnt lgkmcnt(0)
	v_mul_f64 v[16:17], v[46:47], v[14:15]
	v_add_f64 v[54:55], v[18:19], v[54:55]
	v_fma_f64 v[20:21], v[44:45], v[12:13], -v[16:17]
	ds_read_b128 v[16:19], v35 offset:2080
	v_mul_f64 v[22:23], v[44:45], v[14:15]
	v_add_f64 v[38:39], v[38:39], v[56:57]
	v_fmac_f64_e32 v[22:23], v[46:47], v[12:13]
	v_add_f64 v[38:39], v[38:39], v[20:21]
	v_add_f64 v[36:37], v[22:23], v[36:37]
	ds_read_b128 v[20:23], v35 offset:2096
	s_waitcnt lgkmcnt(1)
	v_mul_f64 v[44:45], v[18:19], v[6:7]
	v_mul_f64 v[6:7], v[16:17], v[6:7]
	v_fma_f64 v[44:45], v[16:17], v[4:5], -v[44:45]
	v_fmac_f64_e32 v[6:7], v[18:19], v[4:5]
	v_mul_f64 v[4:5], v[18:19], v[14:15]
	v_mul_f64 v[14:15], v[16:17], v[14:15]
	v_fmac_f64_e32 v[14:15], v[18:19], v[12:13]
	v_add_f64 v[40:41], v[40:41], v[44:45]
	v_add_f64 v[42:43], v[6:7], v[42:43]
	v_fma_f64 v[44:45], v[16:17], v[12:13], -v[4:5]
	ds_read_b128 v[4:7], v34 offset:1536
	v_add_f64 v[18:19], v[14:15], v[24:25]
	ds_read_b128 v[12:15], v34 offset:1792
	v_add_f64 v[16:17], v[26:27], v[44:45]
	s_add_i32 s5, s5, 8
	s_waitcnt lgkmcnt(1)
	v_mul_f64 v[24:25], v[50:51], v[6:7]
	v_mul_f64 v[26:27], v[48:49], v[6:7]
	s_waitcnt lgkmcnt(0)
	v_mul_f64 v[44:45], v[50:51], v[14:15]
	v_fma_f64 v[44:45], v[48:49], v[12:13], -v[44:45]
	v_add_f64 v[38:39], v[38:39], v[44:45]
	v_mul_f64 v[44:45], v[22:23], v[6:7]
	v_mul_f64 v[6:7], v[20:21], v[6:7]
	v_fma_f64 v[24:25], v[48:49], v[4:5], -v[24:25]
	v_fmac_f64_e32 v[26:27], v[50:51], v[4:5]
	v_fma_f64 v[44:45], v[20:21], v[4:5], -v[44:45]
	v_fmac_f64_e32 v[6:7], v[22:23], v[4:5]
	v_mul_f64 v[4:5], v[22:23], v[14:15]
	v_mul_f64 v[46:47], v[48:49], v[14:15]
	v_add_f64 v[40:41], v[40:41], v[44:45]
	v_fma_f64 v[44:45], v[20:21], v[12:13], -v[4:5]
	v_mul_f64 v[20:21], v[20:21], v[14:15]
	v_fmac_f64_e32 v[46:47], v[50:51], v[12:13]
	v_add_f64 v[42:43], v[6:7], v[42:43]
	v_fmac_f64_e32 v[20:21], v[22:23], v[12:13]
	ds_read_b128 v[4:7], v35 offset:64
	ds_read_b128 v[12:15], v34 offset:2048
	v_add_f64 v[36:37], v[46:47], v[36:37]
	v_add_f64 v[44:45], v[16:17], v[44:45]
	;; [unrolled: 1-line block ×3, first 2 shown]
	ds_read_b128 v[16:19], v34 offset:2304
	ds_read_b128 v[20:23], v35 offset:80
	s_waitcnt lgkmcnt(2)
	v_mul_f64 v[48:49], v[6:7], v[14:15]
	v_add_f64 v[24:25], v[52:53], v[24:25]
	v_fma_f64 v[48:49], v[4:5], v[12:13], -v[48:49]
	v_mul_f64 v[50:51], v[4:5], v[14:15]
	v_add_f64 v[26:27], v[26:27], v[54:55]
	v_fmac_f64_e32 v[50:51], v[6:7], v[12:13]
	v_add_f64 v[48:49], v[24:25], v[48:49]
	s_waitcnt lgkmcnt(1)
	v_mul_f64 v[24:25], v[6:7], v[18:19]
	v_add_f64 v[50:51], v[50:51], v[26:27]
	v_fma_f64 v[52:53], v[4:5], v[16:17], -v[24:25]
	ds_read_b128 v[24:27], v35 offset:2112
	v_mul_f64 v[4:5], v[4:5], v[18:19]
	v_fmac_f64_e32 v[4:5], v[6:7], v[16:17]
	v_add_f64 v[38:39], v[38:39], v[52:53]
	v_add_f64 v[36:37], v[4:5], v[36:37]
	ds_read_b128 v[4:7], v35 offset:2128
	s_waitcnt lgkmcnt(1)
	v_mul_f64 v[52:53], v[26:27], v[14:15]
	v_mul_f64 v[14:15], v[24:25], v[14:15]
	v_fma_f64 v[52:53], v[24:25], v[12:13], -v[52:53]
	v_fmac_f64_e32 v[14:15], v[26:27], v[12:13]
	v_mul_f64 v[12:13], v[26:27], v[18:19]
	v_add_f64 v[40:41], v[40:41], v[52:53]
	v_add_f64 v[42:43], v[14:15], v[42:43]
	v_fma_f64 v[52:53], v[24:25], v[16:17], -v[12:13]
	v_mul_f64 v[18:19], v[24:25], v[18:19]
	ds_read_b128 v[12:15], v34 offset:2560
	v_fmac_f64_e32 v[18:19], v[26:27], v[16:17]
	v_add_f64 v[26:27], v[18:19], v[46:47]
	ds_read_b128 v[16:19], v34 offset:2816
	v_add_f64 v[24:25], v[44:45], v[52:53]
	s_waitcnt lgkmcnt(1)
	v_mul_f64 v[44:45], v[22:23], v[14:15]
	v_fma_f64 v[44:45], v[20:21], v[12:13], -v[44:45]
	v_add_f64 v[44:45], v[48:49], v[44:45]
	s_waitcnt lgkmcnt(0)
	v_mul_f64 v[48:49], v[22:23], v[18:19]
	v_mul_f64 v[46:47], v[20:21], v[14:15]
	v_fma_f64 v[48:49], v[20:21], v[16:17], -v[48:49]
	v_mul_f64 v[20:21], v[20:21], v[18:19]
	v_fmac_f64_e32 v[20:21], v[22:23], v[16:17]
	v_add_f64 v[36:37], v[20:21], v[36:37]
	v_mul_f64 v[20:21], v[6:7], v[14:15]
	v_mul_f64 v[14:15], v[4:5], v[14:15]
	v_fmac_f64_e32 v[46:47], v[22:23], v[12:13]
	v_fma_f64 v[20:21], v[4:5], v[12:13], -v[20:21]
	v_fmac_f64_e32 v[14:15], v[6:7], v[12:13]
	v_mul_f64 v[12:13], v[6:7], v[18:19]
	v_mul_f64 v[18:19], v[4:5], v[18:19]
	v_add_f64 v[40:41], v[40:41], v[20:21]
	v_add_f64 v[42:43], v[14:15], v[42:43]
	v_fma_f64 v[20:21], v[4:5], v[16:17], -v[12:13]
	v_fmac_f64_e32 v[18:19], v[6:7], v[16:17]
	ds_read_b128 v[4:7], v35 offset:96
	ds_read_b128 v[12:15], v34 offset:3072
	v_add_f64 v[46:47], v[46:47], v[50:51]
	v_add_f64 v[38:39], v[38:39], v[48:49]
	v_add_f64 v[48:49], v[24:25], v[20:21]
	v_add_f64 v[50:51], v[18:19], v[26:27]
	ds_read_b128 v[16:19], v34 offset:3328
	ds_read_b128 v[20:23], v35 offset:112
	s_waitcnt lgkmcnt(2)
	v_mul_f64 v[24:25], v[6:7], v[14:15]
	v_fma_f64 v[24:25], v[4:5], v[12:13], -v[24:25]
	v_mul_f64 v[26:27], v[4:5], v[14:15]
	v_fmac_f64_e32 v[26:27], v[6:7], v[12:13]
	v_add_f64 v[44:45], v[44:45], v[24:25]
	s_waitcnt lgkmcnt(1)
	v_mul_f64 v[24:25], v[6:7], v[18:19]
	v_add_f64 v[46:47], v[26:27], v[46:47]
	v_fma_f64 v[52:53], v[4:5], v[16:17], -v[24:25]
	ds_read_b128 v[24:27], v35 offset:2144
	v_mul_f64 v[4:5], v[4:5], v[18:19]
	v_fmac_f64_e32 v[4:5], v[6:7], v[16:17]
	v_add_f64 v[54:55], v[4:5], v[36:37]
	ds_read_b128 v[4:7], v35 offset:2160
	s_waitcnt lgkmcnt(1)
	v_mul_f64 v[36:37], v[26:27], v[14:15]
	v_mul_f64 v[14:15], v[24:25], v[14:15]
	v_fma_f64 v[36:37], v[24:25], v[12:13], -v[36:37]
	v_fmac_f64_e32 v[14:15], v[26:27], v[12:13]
	v_mul_f64 v[12:13], v[26:27], v[18:19]
	v_add_f64 v[40:41], v[40:41], v[36:37]
	v_add_f64 v[42:43], v[14:15], v[42:43]
	v_fma_f64 v[36:37], v[24:25], v[16:17], -v[12:13]
	ds_read_b128 v[12:15], v34 offset:3584
	v_add_f64 v[52:53], v[38:39], v[52:53]
	v_add_f64 v[48:49], v[48:49], v[36:37]
	ds_read_b128 v[36:39], v34 offset:3840
	v_mul_f64 v[18:19], v[24:25], v[18:19]
	v_fmac_f64_e32 v[18:19], v[26:27], v[16:17]
	s_waitcnt lgkmcnt(1)
	v_mul_f64 v[16:17], v[22:23], v[14:15]
	v_fma_f64 v[16:17], v[20:21], v[12:13], -v[16:17]
	v_add_f64 v[50:51], v[18:19], v[50:51]
	v_mul_f64 v[18:19], v[20:21], v[14:15]
	v_add_f64 v[24:25], v[44:45], v[16:17]
	s_waitcnt lgkmcnt(0)
	v_mul_f64 v[16:17], v[22:23], v[38:39]
	v_fmac_f64_e32 v[18:19], v[22:23], v[12:13]
	v_fma_f64 v[16:17], v[20:21], v[36:37], -v[16:17]
	v_add_f64 v[26:27], v[18:19], v[46:47]
	v_mul_f64 v[18:19], v[20:21], v[38:39]
	v_add_f64 v[20:21], v[52:53], v[16:17]
	v_mul_f64 v[16:17], v[6:7], v[14:15]
	v_mul_f64 v[14:15], v[4:5], v[14:15]
	v_fma_f64 v[16:17], v[4:5], v[12:13], -v[16:17]
	v_fmac_f64_e32 v[14:15], v[6:7], v[12:13]
	v_mul_f64 v[12:13], v[6:7], v[38:39]
	v_fma_f64 v[12:13], v[4:5], v[36:37], -v[12:13]
	v_mul_f64 v[4:5], v[4:5], v[38:39]
	v_fmac_f64_e32 v[18:19], v[22:23], v[36:37]
	v_fmac_f64_e32 v[4:5], v[6:7], v[36:37]
	v_add_f64 v[22:23], v[18:19], v[54:55]
	v_add_f64 v[16:17], v[40:41], v[16:17]
	v_add_f64 v[18:19], v[14:15], v[42:43]
	v_add_f64 v[14:15], v[48:49], v[12:13]
	v_add_f64 v[12:13], v[4:5], v[50:51]
	v_lshl_add_u64 v[8:9], v[8:9], 0, s[22:23]
	s_cmp_lt_i32 s5, s7
	v_lshl_add_u64 v[10:11], v[10:11], 0, s[22:23]
	s_barrier
	s_cbranch_scc0 .LBB402_14
.LBB402_8:                              ; =>This Inner Loop Header: Depth=1
	v_add_u32_e32 v4, s5, v31
	v_cmp_gt_i32_e64 s[2:3], s7, v4
	s_and_b64 s[24:25], vcc, s[2:3]
	v_mov_b64_e32 v[4:5], 0
	v_mov_b64_e32 v[6:7], 0
	s_and_saveexec_b64 s[2:3], s[24:25]
	s_cbranch_execz .LBB402_10
; %bb.9:                                ;   in Loop: Header=BB402_8 Depth=1
	flat_load_dwordx4 v[4:7], v[8:9]
	s_waitcnt vmcnt(0) lgkmcnt(0)
	v_xor_b32_e32 v7, 0x80000000, v7
.LBB402_10:                             ;   in Loop: Header=BB402_8 Depth=1
	s_or_b64 exec, exec, s[2:3]
	ds_write_b128 v32, v[4:7]
	v_add_u32_e32 v4, s5, v30
	v_cmp_le_i32_e64 s[2:3], s7, v4
	s_or_b64 s[2:3], s[2:3], s[16:17]
	s_and_saveexec_b64 s[24:25], s[2:3]
	s_xor_b64 s[2:3], exec, s[24:25]
; %bb.11:                               ;   in Loop: Header=BB402_8 Depth=1
	ds_write_b128 v33, v[0:3]
; %bb.12:                               ;   in Loop: Header=BB402_8 Depth=1
	s_andn2_saveexec_b64 s[2:3], s[2:3]
	s_cbranch_execz .LBB402_7
; %bb.13:                               ;   in Loop: Header=BB402_8 Depth=1
	flat_load_dwordx4 v[4:7], v[10:11]
	s_waitcnt vmcnt(0) lgkmcnt(0)
	ds_write2_b64 v33, v[4:5], v[6:7] offset1:1
	s_branch .LBB402_7
.LBB402_14:
	s_load_dwordx2 s[2:3], s[0:1], 0x58
	s_load_dword s7, s[0:1], 0x50
	v_add_u32_e32 v4, s4, v28
	v_add_u32_e32 v10, s26, v29
	v_cmp_neq_f64_e64 s[0:1], s[8:9], 0
	s_waitcnt lgkmcnt(0)
	s_lshl_b64 s[2:3], s[2:3], 4
	s_add_u32 s4, s20, s2
	s_addc_u32 s5, s21, s3
	s_xor_b64 s[16:17], s[18:19], -1
	v_mad_i64_i32 v[0:1], s[18:19], v10, s7, 0
	s_or_b64 s[0:1], s[0:1], s[16:17]
	v_cmp_gt_i32_e64 s[2:3], s6, v10
	v_lshl_add_u64 v[8:9], v[0:1], 4, s[4:5]
	v_cmp_le_i32_e32 vcc, v4, v10
	v_cndmask_b32_e64 v0, 0, 1, s[0:1]
	s_and_b64 s[18:19], s[2:3], vcc
	v_ashrrev_i32_e32 v5, 31, v4
	v_cmp_ne_u32_e64 s[0:1], 1, v0
	s_and_saveexec_b64 s[16:17], s[18:19]
	s_cbranch_execz .LBB402_18
; %bb.15:
	v_mul_f64 v[0:1], s[14:15], v[26:27]
	v_mul_f64 v[2:3], s[12:13], v[26:27]
	v_fma_f64 v[0:1], s[12:13], v[24:25], -v[0:1]
	v_fmac_f64_e32 v[2:3], s[14:15], v[24:25]
	s_and_b64 vcc, exec, s[0:1]
	v_lshl_add_u64 v[6:7], v[4:5], 4, v[8:9]
	s_cbranch_vccnz .LBB402_17
; %bb.16:
	flat_load_dwordx4 v[24:27], v[6:7]
	s_waitcnt vmcnt(0) lgkmcnt(0)
	v_mul_f64 v[28:29], s[10:11], v[26:27]
	v_mul_f64 v[26:27], s[8:9], v[26:27]
	v_fma_f64 v[28:29], s[8:9], v[24:25], -v[28:29]
	v_fmac_f64_e32 v[26:27], s[10:11], v[24:25]
	v_add_f64 v[0:1], v[0:1], v[28:29]
	v_add_f64 v[2:3], v[2:3], v[26:27]
.LBB402_17:
	flat_store_dwordx4 v[6:7], v[0:3]
.LBB402_18:
	s_or_b64 exec, exec, s[16:17]
	v_add_u32_e32 v6, 16, v4
	v_cmp_le_i32_e32 vcc, v6, v10
	s_and_b64 s[16:17], s[2:3], vcc
	v_ashrrev_i32_e32 v7, 31, v6
	s_and_saveexec_b64 s[2:3], s[16:17]
	s_cbranch_execz .LBB402_22
; %bb.19:
	v_mul_f64 v[0:1], s[14:15], v[22:23]
	v_mul_f64 v[2:3], s[12:13], v[22:23]
	v_fma_f64 v[0:1], s[12:13], v[20:21], -v[0:1]
	v_fmac_f64_e32 v[2:3], s[14:15], v[20:21]
	s_and_b64 vcc, exec, s[0:1]
	v_lshl_add_u64 v[8:9], v[6:7], 4, v[8:9]
	s_cbranch_vccnz .LBB402_21
; %bb.20:
	flat_load_dwordx4 v[20:23], v[8:9]
	s_waitcnt vmcnt(0) lgkmcnt(0)
	v_mul_f64 v[24:25], s[10:11], v[22:23]
	v_mul_f64 v[22:23], s[8:9], v[22:23]
	v_fma_f64 v[24:25], s[8:9], v[20:21], -v[24:25]
	v_fmac_f64_e32 v[22:23], s[10:11], v[20:21]
	v_add_f64 v[0:1], v[0:1], v[24:25]
	v_add_f64 v[2:3], v[2:3], v[22:23]
.LBB402_21:
	flat_store_dwordx4 v[8:9], v[0:3]
.LBB402_22:
	s_or_b64 exec, exec, s[2:3]
	v_add_u32_e32 v10, 16, v10
	v_cmp_gt_i32_e64 s[2:3], s6, v10
	v_mad_i64_i32 v[0:1], s[6:7], v10, s7, 0
	v_cmp_le_i32_e32 vcc, v4, v10
	v_lshl_add_u64 v[8:9], v[0:1], 4, s[4:5]
	s_and_b64 s[6:7], s[2:3], vcc
	s_and_saveexec_b64 s[4:5], s[6:7]
	s_cbranch_execz .LBB402_26
; %bb.23:
	v_mul_f64 v[0:1], s[14:15], v[18:19]
	v_mul_f64 v[2:3], s[12:13], v[18:19]
	v_fma_f64 v[0:1], s[12:13], v[16:17], -v[0:1]
	v_fmac_f64_e32 v[2:3], s[14:15], v[16:17]
	s_and_b64 vcc, exec, s[0:1]
	v_lshl_add_u64 v[4:5], v[4:5], 4, v[8:9]
	s_cbranch_vccnz .LBB402_25
; %bb.24:
	flat_load_dwordx4 v[16:19], v[4:5]
	s_waitcnt vmcnt(0) lgkmcnt(0)
	v_mul_f64 v[20:21], s[10:11], v[18:19]
	v_mul_f64 v[18:19], s[8:9], v[18:19]
	v_fma_f64 v[20:21], s[8:9], v[16:17], -v[20:21]
	v_fmac_f64_e32 v[18:19], s[10:11], v[16:17]
	v_add_f64 v[0:1], v[0:1], v[20:21]
	v_add_f64 v[2:3], v[2:3], v[18:19]
.LBB402_25:
	flat_store_dwordx4 v[4:5], v[0:3]
.LBB402_26:
	s_or_b64 exec, exec, s[4:5]
	v_cmp_le_i32_e32 vcc, v6, v10
	s_and_b64 s[2:3], s[2:3], vcc
	s_and_saveexec_b64 s[4:5], s[2:3]
	s_cbranch_execz .LBB402_30
; %bb.27:
	v_mul_f64 v[0:1], s[14:15], v[12:13]
	v_mul_f64 v[2:3], s[12:13], v[12:13]
	v_fma_f64 v[0:1], s[12:13], v[14:15], -v[0:1]
	v_fmac_f64_e32 v[2:3], s[14:15], v[14:15]
	s_and_b64 vcc, exec, s[0:1]
	v_lshl_add_u64 v[4:5], v[6:7], 4, v[8:9]
	s_cbranch_vccnz .LBB402_29
; %bb.28:
	flat_load_dwordx4 v[6:9], v[4:5]
	s_waitcnt vmcnt(0) lgkmcnt(0)
	v_mul_f64 v[10:11], s[10:11], v[8:9]
	v_mul_f64 v[8:9], s[8:9], v[8:9]
	v_fma_f64 v[10:11], s[8:9], v[6:7], -v[10:11]
	v_fmac_f64_e32 v[8:9], s[10:11], v[6:7]
	v_add_f64 v[0:1], v[0:1], v[10:11]
	v_add_f64 v[2:3], v[2:3], v[8:9]
.LBB402_29:
	flat_store_dwordx4 v[4:5], v[0:3]
.LBB402_30:
	s_endpgm
	.section	.rodata,"a",@progbits
	.p2align	6, 0x0
	.amdhsa_kernel _ZL29rocblas_internal_gemmt_kernelIiLi16ELi32ELi8ELc67ELc78ELc85ELb1ELb0E19rocblas_complex_numIdEPKS1_PKS3_PKPS1_EviT_T9_T10_S9_lSB_S9_lSA_T11_S9_li
		.amdhsa_group_segment_fixed_size 8192
		.amdhsa_private_segment_fixed_size 0
		.amdhsa_kernarg_size 100
		.amdhsa_user_sgpr_count 2
		.amdhsa_user_sgpr_dispatch_ptr 0
		.amdhsa_user_sgpr_queue_ptr 0
		.amdhsa_user_sgpr_kernarg_segment_ptr 1
		.amdhsa_user_sgpr_dispatch_id 0
		.amdhsa_user_sgpr_kernarg_preload_length 0
		.amdhsa_user_sgpr_kernarg_preload_offset 0
		.amdhsa_user_sgpr_private_segment_size 0
		.amdhsa_uses_dynamic_stack 0
		.amdhsa_enable_private_segment 0
		.amdhsa_system_sgpr_workgroup_id_x 1
		.amdhsa_system_sgpr_workgroup_id_y 1
		.amdhsa_system_sgpr_workgroup_id_z 1
		.amdhsa_system_sgpr_workgroup_info 0
		.amdhsa_system_vgpr_workitem_id 1
		.amdhsa_next_free_vgpr 62
		.amdhsa_next_free_sgpr 34
		.amdhsa_accum_offset 64
		.amdhsa_reserve_vcc 1
		.amdhsa_float_round_mode_32 0
		.amdhsa_float_round_mode_16_64 0
		.amdhsa_float_denorm_mode_32 3
		.amdhsa_float_denorm_mode_16_64 3
		.amdhsa_dx10_clamp 1
		.amdhsa_ieee_mode 1
		.amdhsa_fp16_overflow 0
		.amdhsa_tg_split 0
		.amdhsa_exception_fp_ieee_invalid_op 0
		.amdhsa_exception_fp_denorm_src 0
		.amdhsa_exception_fp_ieee_div_zero 0
		.amdhsa_exception_fp_ieee_overflow 0
		.amdhsa_exception_fp_ieee_underflow 0
		.amdhsa_exception_fp_ieee_inexact 0
		.amdhsa_exception_int_div_zero 0
	.end_amdhsa_kernel
	.section	.text._ZL29rocblas_internal_gemmt_kernelIiLi16ELi32ELi8ELc67ELc78ELc85ELb1ELb0E19rocblas_complex_numIdEPKS1_PKS3_PKPS1_EviT_T9_T10_S9_lSB_S9_lSA_T11_S9_li,"axG",@progbits,_ZL29rocblas_internal_gemmt_kernelIiLi16ELi32ELi8ELc67ELc78ELc85ELb1ELb0E19rocblas_complex_numIdEPKS1_PKS3_PKPS1_EviT_T9_T10_S9_lSB_S9_lSA_T11_S9_li,comdat
.Lfunc_end402:
	.size	_ZL29rocblas_internal_gemmt_kernelIiLi16ELi32ELi8ELc67ELc78ELc85ELb1ELb0E19rocblas_complex_numIdEPKS1_PKS3_PKPS1_EviT_T9_T10_S9_lSB_S9_lSA_T11_S9_li, .Lfunc_end402-_ZL29rocblas_internal_gemmt_kernelIiLi16ELi32ELi8ELc67ELc78ELc85ELb1ELb0E19rocblas_complex_numIdEPKS1_PKS3_PKPS1_EviT_T9_T10_S9_lSB_S9_lSA_T11_S9_li
                                        ; -- End function
	.set _ZL29rocblas_internal_gemmt_kernelIiLi16ELi32ELi8ELc67ELc78ELc85ELb1ELb0E19rocblas_complex_numIdEPKS1_PKS3_PKPS1_EviT_T9_T10_S9_lSB_S9_lSA_T11_S9_li.num_vgpr, 62
	.set _ZL29rocblas_internal_gemmt_kernelIiLi16ELi32ELi8ELc67ELc78ELc85ELb1ELb0E19rocblas_complex_numIdEPKS1_PKS3_PKPS1_EviT_T9_T10_S9_lSB_S9_lSA_T11_S9_li.num_agpr, 0
	.set _ZL29rocblas_internal_gemmt_kernelIiLi16ELi32ELi8ELc67ELc78ELc85ELb1ELb0E19rocblas_complex_numIdEPKS1_PKS3_PKPS1_EviT_T9_T10_S9_lSB_S9_lSA_T11_S9_li.numbered_sgpr, 34
	.set _ZL29rocblas_internal_gemmt_kernelIiLi16ELi32ELi8ELc67ELc78ELc85ELb1ELb0E19rocblas_complex_numIdEPKS1_PKS3_PKPS1_EviT_T9_T10_S9_lSB_S9_lSA_T11_S9_li.num_named_barrier, 0
	.set _ZL29rocblas_internal_gemmt_kernelIiLi16ELi32ELi8ELc67ELc78ELc85ELb1ELb0E19rocblas_complex_numIdEPKS1_PKS3_PKPS1_EviT_T9_T10_S9_lSB_S9_lSA_T11_S9_li.private_seg_size, 0
	.set _ZL29rocblas_internal_gemmt_kernelIiLi16ELi32ELi8ELc67ELc78ELc85ELb1ELb0E19rocblas_complex_numIdEPKS1_PKS3_PKPS1_EviT_T9_T10_S9_lSB_S9_lSA_T11_S9_li.uses_vcc, 1
	.set _ZL29rocblas_internal_gemmt_kernelIiLi16ELi32ELi8ELc67ELc78ELc85ELb1ELb0E19rocblas_complex_numIdEPKS1_PKS3_PKPS1_EviT_T9_T10_S9_lSB_S9_lSA_T11_S9_li.uses_flat_scratch, 0
	.set _ZL29rocblas_internal_gemmt_kernelIiLi16ELi32ELi8ELc67ELc78ELc85ELb1ELb0E19rocblas_complex_numIdEPKS1_PKS3_PKPS1_EviT_T9_T10_S9_lSB_S9_lSA_T11_S9_li.has_dyn_sized_stack, 0
	.set _ZL29rocblas_internal_gemmt_kernelIiLi16ELi32ELi8ELc67ELc78ELc85ELb1ELb0E19rocblas_complex_numIdEPKS1_PKS3_PKPS1_EviT_T9_T10_S9_lSB_S9_lSA_T11_S9_li.has_recursion, 0
	.set _ZL29rocblas_internal_gemmt_kernelIiLi16ELi32ELi8ELc67ELc78ELc85ELb1ELb0E19rocblas_complex_numIdEPKS1_PKS3_PKPS1_EviT_T9_T10_S9_lSB_S9_lSA_T11_S9_li.has_indirect_call, 0
	.section	.AMDGPU.csdata,"",@progbits
; Kernel info:
; codeLenInByte = 3132
; TotalNumSgprs: 40
; NumVgprs: 62
; NumAgprs: 0
; TotalNumVgprs: 62
; ScratchSize: 0
; MemoryBound: 1
; FloatMode: 240
; IeeeMode: 1
; LDSByteSize: 8192 bytes/workgroup (compile time only)
; SGPRBlocks: 4
; VGPRBlocks: 7
; NumSGPRsForWavesPerEU: 40
; NumVGPRsForWavesPerEU: 62
; AccumOffset: 64
; Occupancy: 8
; WaveLimiterHint : 1
; COMPUTE_PGM_RSRC2:SCRATCH_EN: 0
; COMPUTE_PGM_RSRC2:USER_SGPR: 2
; COMPUTE_PGM_RSRC2:TRAP_HANDLER: 0
; COMPUTE_PGM_RSRC2:TGID_X_EN: 1
; COMPUTE_PGM_RSRC2:TGID_Y_EN: 1
; COMPUTE_PGM_RSRC2:TGID_Z_EN: 1
; COMPUTE_PGM_RSRC2:TIDIG_COMP_CNT: 1
; COMPUTE_PGM_RSRC3_GFX90A:ACCUM_OFFSET: 15
; COMPUTE_PGM_RSRC3_GFX90A:TG_SPLIT: 0
	.section	.text._ZL29rocblas_internal_gemmt_kernelIiLi16ELi32ELi8ELc67ELc84ELc85ELb1ELb0E19rocblas_complex_numIdEPKS1_PKS3_PKPS1_EviT_T9_T10_S9_lSB_S9_lSA_T11_S9_li,"axG",@progbits,_ZL29rocblas_internal_gemmt_kernelIiLi16ELi32ELi8ELc67ELc84ELc85ELb1ELb0E19rocblas_complex_numIdEPKS1_PKS3_PKPS1_EviT_T9_T10_S9_lSB_S9_lSA_T11_S9_li,comdat
	.globl	_ZL29rocblas_internal_gemmt_kernelIiLi16ELi32ELi8ELc67ELc84ELc85ELb1ELb0E19rocblas_complex_numIdEPKS1_PKS3_PKPS1_EviT_T9_T10_S9_lSB_S9_lSA_T11_S9_li ; -- Begin function _ZL29rocblas_internal_gemmt_kernelIiLi16ELi32ELi8ELc67ELc84ELc85ELb1ELb0E19rocblas_complex_numIdEPKS1_PKS3_PKPS1_EviT_T9_T10_S9_lSB_S9_lSA_T11_S9_li
	.p2align	8
	.type	_ZL29rocblas_internal_gemmt_kernelIiLi16ELi32ELi8ELc67ELc84ELc85ELb1ELb0E19rocblas_complex_numIdEPKS1_PKS3_PKPS1_EviT_T9_T10_S9_lSB_S9_lSA_T11_S9_li,@function
_ZL29rocblas_internal_gemmt_kernelIiLi16ELi32ELi8ELc67ELc84ELc85ELb1ELb0E19rocblas_complex_numIdEPKS1_PKS3_PKPS1_EviT_T9_T10_S9_lSB_S9_lSA_T11_S9_li: ; @_ZL29rocblas_internal_gemmt_kernelIiLi16ELi32ELi8ELc67ELc84ELc85ELb1ELb0E19rocblas_complex_numIdEPKS1_PKS3_PKPS1_EviT_T9_T10_S9_lSB_S9_lSA_T11_S9_li
; %bb.0:
	s_load_dwordx4 s[16:19], s[0:1], 0x38
	s_load_dwordx4 s[20:23], s[0:1], 0x8
	s_mov_b64 s[24:25], 0
	s_waitcnt lgkmcnt(0)
	s_load_dwordx4 s[8:11], s[18:19], 0x0
	s_load_dwordx2 s[6:7], s[0:1], 0x0
	s_load_dwordx4 s[12:15], s[20:21], 0x0
	s_waitcnt lgkmcnt(0)
	v_cmp_eq_f64_e64 s[20:21], s[8:9], 1.0
	v_cmp_eq_f64_e64 s[18:19], s[10:11], 0
	s_and_b64 s[20:21], s[20:21], s[18:19]
	s_andn2_b64 vcc, exec, s[20:21]
	s_mov_b64 s[20:21], -1
	s_cbranch_vccnz .LBB403_4
; %bb.1:
	s_cmp_lg_u32 s7, 0
	s_cbranch_scc0 .LBB403_3
; %bb.2:
	v_cmp_neq_f64_e64 s[20:21], s[12:13], 0
	v_cmp_neq_f64_e64 s[24:25], s[14:15], 0
	s_or_b64 s[24:25], s[20:21], s[24:25]
.LBB403_3:
	s_mov_b64 s[20:21], s[24:25]
.LBB403_4:
	s_and_b64 vcc, exec, s[20:21]
	s_cbranch_vccz .LBB403_30
; %bb.5:
	s_load_dwordx2 s[20:21], s[0:1], 0x48
	s_mov_b32 s5, 0
	s_lshl_b64 s[24:25], s[4:5], 3
	v_cmp_eq_f64_e64 s[28:29], s[14:15], 0
	v_and_b32_e32 v28, 0x3ff, v0
	s_waitcnt lgkmcnt(0)
	s_add_u32 s20, s20, s24
	s_addc_u32 s21, s21, s25
	s_lshl_b32 s4, s2, 5
	s_lshl_b32 s26, s3, 5
	v_cmp_eq_f64_e64 s[2:3], s[12:13], 0
	s_load_dwordx2 s[20:21], s[20:21], 0x0
	s_and_b64 s[2:3], s[2:3], s[28:29]
	s_cmp_lt_i32 s7, 1
	s_cselect_b64 s[28:29], -1, 0
	s_or_b64 s[2:3], s[2:3], s[28:29]
	v_bfe_u32 v29, v0, 10, 10
	v_mov_b64_e32 v[24:25], 0
	s_and_b64 vcc, exec, s[2:3]
	v_mov_b64_e32 v[26:27], 0
	v_mov_b64_e32 v[20:21], 0
	;; [unrolled: 1-line block ×7, first 2 shown]
	s_cbranch_vccnz .LBB403_14
; %bb.6:
	s_load_dword s27, s[0:1], 0x18
	s_load_dword s34, s[0:1], 0x30
	s_load_dwordx4 s[28:31], s[0:1], 0x20
	v_lshl_add_u32 v0, v29, 4, v28
	v_lshrrev_b32_e32 v31, 5, v0
	v_lshrrev_b32_e32 v1, 3, v0
	s_waitcnt lgkmcnt(0)
	s_ashr_i32 s35, s34, 31
	v_and_b32_e32 v0, 31, v0
	v_or_b32_e32 v3, s4, v0
	s_add_u32 s2, s30, s24
	v_and_b32_e32 v30, 7, v28
	s_addc_u32 s3, s31, s25
	v_cmp_gt_i32_e32 vcc, s6, v3
	v_lshlrev_b32_e32 v3, 4, v0
	s_load_dwordx2 s[30:31], s[2:3], 0x0
	s_add_u32 s2, s22, s24
	v_lshl_or_b32 v32, v31, 9, v3
	v_lshlrev_b32_e32 v3, 4, v30
	v_add_u32_e32 v2, s26, v1
	s_addc_u32 s3, s23, s25
	v_lshl_or_b32 v1, v1, 7, v3
	s_load_dwordx2 s[22:23], s[2:3], 0x0
	v_add_u32_e32 v33, 0x1000, v1
	v_mov_b32_e32 v1, 0x1000
	v_add_u32_e32 v0, s4, v0
	v_lshl_add_u32 v35, v29, 7, v1
	v_mad_i64_i32 v[0:1], s[24:25], s27, v0, 0
	s_lshl_b64 s[24:25], s[28:29], 4
	s_nop 0
	v_lshl_add_u64 v[4:5], v[0:1], 4, s[24:25]
	v_lshlrev_b32_e32 v0, 4, v31
	v_mov_b32_e32 v1, 0
	v_lshl_add_u64 v[4:5], v[4:5], 0, v[0:1]
	s_waitcnt lgkmcnt(0)
	v_lshl_add_u64 v[8:9], s[22:23], 0, v[4:5]
	v_mad_i64_i32 v[4:5], s[22:23], s34, v30, 0
	s_lshl_b64 s[16:17], s[16:17], 4
	v_ashrrev_i32_e32 v3, 31, v2
	v_lshl_add_u64 v[4:5], v[4:5], 4, s[16:17]
	v_cmp_gt_i32_e64 s[2:3], s6, v2
	v_lshl_add_u64 v[2:3], v[2:3], 4, v[4:5]
	v_lshlrev_b32_e32 v34, 4, v28
	v_lshl_add_u64 v[10:11], s[30:31], 0, v[2:3]
	s_lshl_b64 s[16:17], s[34:35], 7
	v_mov_b64_e32 v[12:13], 0
	s_xor_b64 s[22:23], s[2:3], -1
	s_mov_b64 s[24:25], 0x80
	v_mov_b32_e32 v0, v1
	v_mov_b32_e32 v2, v1
	v_mov_b32_e32 v3, v1
	v_mov_b64_e32 v[14:15], 0
	v_mov_b64_e32 v[18:19], 0
	;; [unrolled: 1-line block ×7, first 2 shown]
	s_branch .LBB403_8
.LBB403_7:                              ;   in Loop: Header=BB403_8 Depth=1
	s_or_b64 exec, exec, s[2:3]
	s_waitcnt lgkmcnt(0)
	s_barrier
	ds_read_b128 v[4:7], v34
	ds_read_b128 v[36:39], v35
	ds_read_b128 v[40:43], v35 offset:16
	ds_read_b128 v[44:47], v35 offset:32
	;; [unrolled: 1-line block ×4, first 2 shown]
	s_waitcnt lgkmcnt(4)
	v_mul_f64 v[56:57], v[38:39], v[6:7]
	v_fma_f64 v[56:57], v[36:37], v[4:5], -v[56:57]
	v_mul_f64 v[58:59], v[36:37], v[6:7]
	v_fmac_f64_e32 v[58:59], v[38:39], v[4:5]
	v_add_f64 v[56:57], v[24:25], v[56:57]
	s_waitcnt lgkmcnt(0)
	v_mul_f64 v[24:25], v[38:39], v[54:55]
	v_add_f64 v[58:59], v[58:59], v[26:27]
	v_fma_f64 v[60:61], v[36:37], v[52:53], -v[24:25]
	ds_read_b128 v[24:27], v35 offset:2048
	v_mul_f64 v[36:37], v[36:37], v[54:55]
	v_fmac_f64_e32 v[36:37], v[38:39], v[52:53]
	v_add_f64 v[38:39], v[20:21], v[60:61]
	v_add_f64 v[36:37], v[36:37], v[22:23]
	ds_read_b128 v[20:23], v35 offset:2064
	s_waitcnt lgkmcnt(1)
	v_mul_f64 v[60:61], v[26:27], v[6:7]
	v_mul_f64 v[6:7], v[24:25], v[6:7]
	v_fma_f64 v[60:61], v[24:25], v[4:5], -v[60:61]
	v_fmac_f64_e32 v[6:7], v[26:27], v[4:5]
	v_mul_f64 v[4:5], v[26:27], v[54:55]
	v_add_f64 v[16:17], v[16:17], v[60:61]
	v_add_f64 v[18:19], v[6:7], v[18:19]
	v_fma_f64 v[60:61], v[24:25], v[52:53], -v[4:5]
	v_mul_f64 v[24:25], v[24:25], v[54:55]
	ds_read_b128 v[4:7], v34 offset:512
	v_fmac_f64_e32 v[24:25], v[26:27], v[52:53]
	v_add_f64 v[26:27], v[14:15], v[60:61]
	v_add_f64 v[24:25], v[24:25], v[12:13]
	ds_read_b128 v[12:15], v34 offset:768
	s_waitcnt lgkmcnt(1)
	v_mul_f64 v[52:53], v[42:43], v[6:7]
	v_fma_f64 v[52:53], v[40:41], v[4:5], -v[52:53]
	v_add_f64 v[52:53], v[56:57], v[52:53]
	v_mul_f64 v[54:55], v[40:41], v[6:7]
	s_waitcnt lgkmcnt(0)
	v_mul_f64 v[56:57], v[42:43], v[14:15]
	v_fma_f64 v[56:57], v[40:41], v[12:13], -v[56:57]
	v_mul_f64 v[40:41], v[40:41], v[14:15]
	v_fmac_f64_e32 v[40:41], v[42:43], v[12:13]
	v_add_f64 v[36:37], v[40:41], v[36:37]
	v_mul_f64 v[40:41], v[22:23], v[6:7]
	v_mul_f64 v[6:7], v[20:21], v[6:7]
	v_fmac_f64_e32 v[54:55], v[42:43], v[4:5]
	v_fma_f64 v[40:41], v[20:21], v[4:5], -v[40:41]
	v_fmac_f64_e32 v[6:7], v[22:23], v[4:5]
	v_mul_f64 v[4:5], v[22:23], v[14:15]
	v_add_f64 v[40:41], v[16:17], v[40:41]
	v_add_f64 v[42:43], v[6:7], v[18:19]
	v_fma_f64 v[16:17], v[20:21], v[12:13], -v[4:5]
	v_mul_f64 v[14:15], v[20:21], v[14:15]
	ds_read_b128 v[4:7], v34 offset:1024
	v_fmac_f64_e32 v[14:15], v[22:23], v[12:13]
	v_add_f64 v[24:25], v[14:15], v[24:25]
	ds_read_b128 v[12:15], v34 offset:1280
	v_add_f64 v[26:27], v[26:27], v[16:17]
	s_waitcnt lgkmcnt(1)
	v_mul_f64 v[16:17], v[46:47], v[6:7]
	v_fma_f64 v[16:17], v[44:45], v[4:5], -v[16:17]
	v_mul_f64 v[18:19], v[44:45], v[6:7]
	v_add_f64 v[54:55], v[54:55], v[58:59]
	v_fmac_f64_e32 v[18:19], v[46:47], v[4:5]
	v_add_f64 v[52:53], v[52:53], v[16:17]
	s_waitcnt lgkmcnt(0)
	v_mul_f64 v[16:17], v[46:47], v[14:15]
	v_add_f64 v[54:55], v[18:19], v[54:55]
	v_fma_f64 v[20:21], v[44:45], v[12:13], -v[16:17]
	ds_read_b128 v[16:19], v35 offset:2080
	v_mul_f64 v[22:23], v[44:45], v[14:15]
	v_add_f64 v[38:39], v[38:39], v[56:57]
	v_fmac_f64_e32 v[22:23], v[46:47], v[12:13]
	v_add_f64 v[38:39], v[38:39], v[20:21]
	v_add_f64 v[36:37], v[22:23], v[36:37]
	ds_read_b128 v[20:23], v35 offset:2096
	s_waitcnt lgkmcnt(1)
	v_mul_f64 v[44:45], v[18:19], v[6:7]
	v_mul_f64 v[6:7], v[16:17], v[6:7]
	v_fma_f64 v[44:45], v[16:17], v[4:5], -v[44:45]
	v_fmac_f64_e32 v[6:7], v[18:19], v[4:5]
	v_mul_f64 v[4:5], v[18:19], v[14:15]
	v_mul_f64 v[14:15], v[16:17], v[14:15]
	v_fmac_f64_e32 v[14:15], v[18:19], v[12:13]
	v_add_f64 v[40:41], v[40:41], v[44:45]
	v_add_f64 v[42:43], v[6:7], v[42:43]
	v_fma_f64 v[44:45], v[16:17], v[12:13], -v[4:5]
	ds_read_b128 v[4:7], v34 offset:1536
	v_add_f64 v[18:19], v[14:15], v[24:25]
	ds_read_b128 v[12:15], v34 offset:1792
	v_add_f64 v[16:17], v[26:27], v[44:45]
	s_add_i32 s5, s5, 8
	s_waitcnt lgkmcnt(1)
	v_mul_f64 v[24:25], v[50:51], v[6:7]
	v_mul_f64 v[26:27], v[48:49], v[6:7]
	s_waitcnt lgkmcnt(0)
	v_mul_f64 v[44:45], v[50:51], v[14:15]
	v_fma_f64 v[44:45], v[48:49], v[12:13], -v[44:45]
	v_add_f64 v[38:39], v[38:39], v[44:45]
	v_mul_f64 v[44:45], v[22:23], v[6:7]
	v_mul_f64 v[6:7], v[20:21], v[6:7]
	v_fma_f64 v[24:25], v[48:49], v[4:5], -v[24:25]
	v_fmac_f64_e32 v[26:27], v[50:51], v[4:5]
	v_fma_f64 v[44:45], v[20:21], v[4:5], -v[44:45]
	v_fmac_f64_e32 v[6:7], v[22:23], v[4:5]
	v_mul_f64 v[4:5], v[22:23], v[14:15]
	v_mul_f64 v[46:47], v[48:49], v[14:15]
	v_add_f64 v[40:41], v[40:41], v[44:45]
	v_fma_f64 v[44:45], v[20:21], v[12:13], -v[4:5]
	v_mul_f64 v[20:21], v[20:21], v[14:15]
	v_fmac_f64_e32 v[46:47], v[50:51], v[12:13]
	v_add_f64 v[42:43], v[6:7], v[42:43]
	v_fmac_f64_e32 v[20:21], v[22:23], v[12:13]
	ds_read_b128 v[4:7], v35 offset:64
	ds_read_b128 v[12:15], v34 offset:2048
	v_add_f64 v[36:37], v[46:47], v[36:37]
	v_add_f64 v[44:45], v[16:17], v[44:45]
	;; [unrolled: 1-line block ×3, first 2 shown]
	ds_read_b128 v[16:19], v34 offset:2304
	ds_read_b128 v[20:23], v35 offset:80
	s_waitcnt lgkmcnt(2)
	v_mul_f64 v[48:49], v[6:7], v[14:15]
	v_add_f64 v[24:25], v[52:53], v[24:25]
	v_fma_f64 v[48:49], v[4:5], v[12:13], -v[48:49]
	v_mul_f64 v[50:51], v[4:5], v[14:15]
	v_add_f64 v[26:27], v[26:27], v[54:55]
	v_fmac_f64_e32 v[50:51], v[6:7], v[12:13]
	v_add_f64 v[48:49], v[24:25], v[48:49]
	s_waitcnt lgkmcnt(1)
	v_mul_f64 v[24:25], v[6:7], v[18:19]
	v_add_f64 v[50:51], v[50:51], v[26:27]
	v_fma_f64 v[52:53], v[4:5], v[16:17], -v[24:25]
	ds_read_b128 v[24:27], v35 offset:2112
	v_mul_f64 v[4:5], v[4:5], v[18:19]
	v_fmac_f64_e32 v[4:5], v[6:7], v[16:17]
	v_add_f64 v[38:39], v[38:39], v[52:53]
	v_add_f64 v[36:37], v[4:5], v[36:37]
	ds_read_b128 v[4:7], v35 offset:2128
	s_waitcnt lgkmcnt(1)
	v_mul_f64 v[52:53], v[26:27], v[14:15]
	v_mul_f64 v[14:15], v[24:25], v[14:15]
	v_fma_f64 v[52:53], v[24:25], v[12:13], -v[52:53]
	v_fmac_f64_e32 v[14:15], v[26:27], v[12:13]
	v_mul_f64 v[12:13], v[26:27], v[18:19]
	v_add_f64 v[40:41], v[40:41], v[52:53]
	v_add_f64 v[42:43], v[14:15], v[42:43]
	v_fma_f64 v[52:53], v[24:25], v[16:17], -v[12:13]
	v_mul_f64 v[18:19], v[24:25], v[18:19]
	ds_read_b128 v[12:15], v34 offset:2560
	v_fmac_f64_e32 v[18:19], v[26:27], v[16:17]
	v_add_f64 v[26:27], v[18:19], v[46:47]
	ds_read_b128 v[16:19], v34 offset:2816
	v_add_f64 v[24:25], v[44:45], v[52:53]
	s_waitcnt lgkmcnt(1)
	v_mul_f64 v[44:45], v[22:23], v[14:15]
	v_fma_f64 v[44:45], v[20:21], v[12:13], -v[44:45]
	v_add_f64 v[44:45], v[48:49], v[44:45]
	s_waitcnt lgkmcnt(0)
	v_mul_f64 v[48:49], v[22:23], v[18:19]
	v_mul_f64 v[46:47], v[20:21], v[14:15]
	v_fma_f64 v[48:49], v[20:21], v[16:17], -v[48:49]
	v_mul_f64 v[20:21], v[20:21], v[18:19]
	v_fmac_f64_e32 v[20:21], v[22:23], v[16:17]
	v_add_f64 v[36:37], v[20:21], v[36:37]
	v_mul_f64 v[20:21], v[6:7], v[14:15]
	v_mul_f64 v[14:15], v[4:5], v[14:15]
	v_fmac_f64_e32 v[46:47], v[22:23], v[12:13]
	v_fma_f64 v[20:21], v[4:5], v[12:13], -v[20:21]
	v_fmac_f64_e32 v[14:15], v[6:7], v[12:13]
	v_mul_f64 v[12:13], v[6:7], v[18:19]
	v_mul_f64 v[18:19], v[4:5], v[18:19]
	v_add_f64 v[40:41], v[40:41], v[20:21]
	v_add_f64 v[42:43], v[14:15], v[42:43]
	v_fma_f64 v[20:21], v[4:5], v[16:17], -v[12:13]
	v_fmac_f64_e32 v[18:19], v[6:7], v[16:17]
	ds_read_b128 v[4:7], v35 offset:96
	ds_read_b128 v[12:15], v34 offset:3072
	v_add_f64 v[46:47], v[46:47], v[50:51]
	v_add_f64 v[38:39], v[38:39], v[48:49]
	;; [unrolled: 1-line block ×4, first 2 shown]
	ds_read_b128 v[16:19], v34 offset:3328
	ds_read_b128 v[20:23], v35 offset:112
	s_waitcnt lgkmcnt(2)
	v_mul_f64 v[24:25], v[6:7], v[14:15]
	v_fma_f64 v[24:25], v[4:5], v[12:13], -v[24:25]
	v_mul_f64 v[26:27], v[4:5], v[14:15]
	v_fmac_f64_e32 v[26:27], v[6:7], v[12:13]
	v_add_f64 v[44:45], v[44:45], v[24:25]
	s_waitcnt lgkmcnt(1)
	v_mul_f64 v[24:25], v[6:7], v[18:19]
	v_add_f64 v[46:47], v[26:27], v[46:47]
	v_fma_f64 v[52:53], v[4:5], v[16:17], -v[24:25]
	ds_read_b128 v[24:27], v35 offset:2144
	v_mul_f64 v[4:5], v[4:5], v[18:19]
	v_fmac_f64_e32 v[4:5], v[6:7], v[16:17]
	v_add_f64 v[54:55], v[4:5], v[36:37]
	ds_read_b128 v[4:7], v35 offset:2160
	s_waitcnt lgkmcnt(1)
	v_mul_f64 v[36:37], v[26:27], v[14:15]
	v_mul_f64 v[14:15], v[24:25], v[14:15]
	v_fma_f64 v[36:37], v[24:25], v[12:13], -v[36:37]
	v_fmac_f64_e32 v[14:15], v[26:27], v[12:13]
	v_mul_f64 v[12:13], v[26:27], v[18:19]
	v_add_f64 v[40:41], v[40:41], v[36:37]
	v_add_f64 v[42:43], v[14:15], v[42:43]
	v_fma_f64 v[36:37], v[24:25], v[16:17], -v[12:13]
	ds_read_b128 v[12:15], v34 offset:3584
	v_add_f64 v[52:53], v[38:39], v[52:53]
	v_add_f64 v[48:49], v[48:49], v[36:37]
	ds_read_b128 v[36:39], v34 offset:3840
	v_mul_f64 v[18:19], v[24:25], v[18:19]
	v_fmac_f64_e32 v[18:19], v[26:27], v[16:17]
	s_waitcnt lgkmcnt(1)
	v_mul_f64 v[16:17], v[22:23], v[14:15]
	v_fma_f64 v[16:17], v[20:21], v[12:13], -v[16:17]
	v_add_f64 v[50:51], v[18:19], v[50:51]
	v_mul_f64 v[18:19], v[20:21], v[14:15]
	v_add_f64 v[24:25], v[44:45], v[16:17]
	s_waitcnt lgkmcnt(0)
	v_mul_f64 v[16:17], v[22:23], v[38:39]
	v_fmac_f64_e32 v[18:19], v[22:23], v[12:13]
	v_fma_f64 v[16:17], v[20:21], v[36:37], -v[16:17]
	v_add_f64 v[26:27], v[18:19], v[46:47]
	v_mul_f64 v[18:19], v[20:21], v[38:39]
	v_add_f64 v[20:21], v[52:53], v[16:17]
	v_mul_f64 v[16:17], v[6:7], v[14:15]
	v_mul_f64 v[14:15], v[4:5], v[14:15]
	v_fma_f64 v[16:17], v[4:5], v[12:13], -v[16:17]
	v_fmac_f64_e32 v[14:15], v[6:7], v[12:13]
	v_mul_f64 v[12:13], v[6:7], v[38:39]
	v_fma_f64 v[12:13], v[4:5], v[36:37], -v[12:13]
	v_mul_f64 v[4:5], v[4:5], v[38:39]
	v_fmac_f64_e32 v[18:19], v[22:23], v[36:37]
	v_fmac_f64_e32 v[4:5], v[6:7], v[36:37]
	v_add_f64 v[22:23], v[18:19], v[54:55]
	v_add_f64 v[16:17], v[40:41], v[16:17]
	;; [unrolled: 1-line block ×5, first 2 shown]
	v_lshl_add_u64 v[8:9], v[8:9], 0, s[24:25]
	s_cmp_lt_i32 s5, s7
	v_lshl_add_u64 v[10:11], v[10:11], 0, s[16:17]
	s_barrier
	s_cbranch_scc0 .LBB403_14
.LBB403_8:                              ; =>This Inner Loop Header: Depth=1
	v_add_u32_e32 v4, s5, v31
	v_cmp_gt_i32_e64 s[2:3], s7, v4
	s_and_b64 s[28:29], vcc, s[2:3]
	v_mov_b64_e32 v[4:5], 0
	v_mov_b64_e32 v[6:7], 0
	s_and_saveexec_b64 s[2:3], s[28:29]
	s_cbranch_execz .LBB403_10
; %bb.9:                                ;   in Loop: Header=BB403_8 Depth=1
	flat_load_dwordx4 v[4:7], v[8:9]
	s_waitcnt vmcnt(0) lgkmcnt(0)
	v_xor_b32_e32 v7, 0x80000000, v7
.LBB403_10:                             ;   in Loop: Header=BB403_8 Depth=1
	s_or_b64 exec, exec, s[2:3]
	ds_write_b128 v32, v[4:7]
	v_add_u32_e32 v4, s5, v30
	v_cmp_le_i32_e64 s[2:3], s7, v4
	s_or_b64 s[2:3], s[2:3], s[22:23]
	s_and_saveexec_b64 s[28:29], s[2:3]
	s_xor_b64 s[2:3], exec, s[28:29]
; %bb.11:                               ;   in Loop: Header=BB403_8 Depth=1
	ds_write_b128 v33, v[0:3]
; %bb.12:                               ;   in Loop: Header=BB403_8 Depth=1
	s_andn2_saveexec_b64 s[2:3], s[2:3]
	s_cbranch_execz .LBB403_7
; %bb.13:                               ;   in Loop: Header=BB403_8 Depth=1
	flat_load_dwordx4 v[4:7], v[10:11]
	s_waitcnt vmcnt(0) lgkmcnt(0)
	ds_write2_b64 v33, v[4:5], v[6:7] offset1:1
	s_branch .LBB403_7
.LBB403_14:
	s_load_dwordx2 s[2:3], s[0:1], 0x58
	s_load_dword s7, s[0:1], 0x50
	v_add_u32_e32 v4, s4, v28
	v_add_u32_e32 v10, s26, v29
	v_cmp_neq_f64_e64 s[0:1], s[8:9], 0
	s_waitcnt lgkmcnt(0)
	s_lshl_b64 s[2:3], s[2:3], 4
	s_add_u32 s4, s20, s2
	s_addc_u32 s5, s21, s3
	s_xor_b64 s[16:17], s[18:19], -1
	v_mad_i64_i32 v[0:1], s[18:19], v10, s7, 0
	s_or_b64 s[0:1], s[0:1], s[16:17]
	v_cmp_gt_i32_e64 s[2:3], s6, v10
	v_lshl_add_u64 v[8:9], v[0:1], 4, s[4:5]
	v_cmp_le_i32_e32 vcc, v4, v10
	v_cndmask_b32_e64 v0, 0, 1, s[0:1]
	s_and_b64 s[18:19], s[2:3], vcc
	v_ashrrev_i32_e32 v5, 31, v4
	v_cmp_ne_u32_e64 s[0:1], 1, v0
	s_and_saveexec_b64 s[16:17], s[18:19]
	s_cbranch_execz .LBB403_18
; %bb.15:
	v_mul_f64 v[0:1], s[14:15], v[26:27]
	v_mul_f64 v[2:3], s[12:13], v[26:27]
	v_fma_f64 v[0:1], s[12:13], v[24:25], -v[0:1]
	v_fmac_f64_e32 v[2:3], s[14:15], v[24:25]
	s_and_b64 vcc, exec, s[0:1]
	v_lshl_add_u64 v[6:7], v[4:5], 4, v[8:9]
	s_cbranch_vccnz .LBB403_17
; %bb.16:
	flat_load_dwordx4 v[24:27], v[6:7]
	s_waitcnt vmcnt(0) lgkmcnt(0)
	v_mul_f64 v[28:29], s[10:11], v[26:27]
	v_mul_f64 v[26:27], s[8:9], v[26:27]
	v_fma_f64 v[28:29], s[8:9], v[24:25], -v[28:29]
	v_fmac_f64_e32 v[26:27], s[10:11], v[24:25]
	v_add_f64 v[0:1], v[0:1], v[28:29]
	v_add_f64 v[2:3], v[2:3], v[26:27]
.LBB403_17:
	flat_store_dwordx4 v[6:7], v[0:3]
.LBB403_18:
	s_or_b64 exec, exec, s[16:17]
	v_add_u32_e32 v6, 16, v4
	v_cmp_le_i32_e32 vcc, v6, v10
	s_and_b64 s[16:17], s[2:3], vcc
	v_ashrrev_i32_e32 v7, 31, v6
	s_and_saveexec_b64 s[2:3], s[16:17]
	s_cbranch_execz .LBB403_22
; %bb.19:
	v_mul_f64 v[0:1], s[14:15], v[22:23]
	v_mul_f64 v[2:3], s[12:13], v[22:23]
	v_fma_f64 v[0:1], s[12:13], v[20:21], -v[0:1]
	v_fmac_f64_e32 v[2:3], s[14:15], v[20:21]
	s_and_b64 vcc, exec, s[0:1]
	v_lshl_add_u64 v[8:9], v[6:7], 4, v[8:9]
	s_cbranch_vccnz .LBB403_21
; %bb.20:
	flat_load_dwordx4 v[20:23], v[8:9]
	s_waitcnt vmcnt(0) lgkmcnt(0)
	v_mul_f64 v[24:25], s[10:11], v[22:23]
	v_mul_f64 v[22:23], s[8:9], v[22:23]
	v_fma_f64 v[24:25], s[8:9], v[20:21], -v[24:25]
	v_fmac_f64_e32 v[22:23], s[10:11], v[20:21]
	v_add_f64 v[0:1], v[0:1], v[24:25]
	v_add_f64 v[2:3], v[2:3], v[22:23]
.LBB403_21:
	flat_store_dwordx4 v[8:9], v[0:3]
.LBB403_22:
	s_or_b64 exec, exec, s[2:3]
	v_add_u32_e32 v10, 16, v10
	v_cmp_gt_i32_e64 s[2:3], s6, v10
	v_mad_i64_i32 v[0:1], s[6:7], v10, s7, 0
	v_cmp_le_i32_e32 vcc, v4, v10
	v_lshl_add_u64 v[8:9], v[0:1], 4, s[4:5]
	s_and_b64 s[6:7], s[2:3], vcc
	s_and_saveexec_b64 s[4:5], s[6:7]
	s_cbranch_execz .LBB403_26
; %bb.23:
	v_mul_f64 v[0:1], s[14:15], v[18:19]
	v_mul_f64 v[2:3], s[12:13], v[18:19]
	v_fma_f64 v[0:1], s[12:13], v[16:17], -v[0:1]
	v_fmac_f64_e32 v[2:3], s[14:15], v[16:17]
	s_and_b64 vcc, exec, s[0:1]
	v_lshl_add_u64 v[4:5], v[4:5], 4, v[8:9]
	s_cbranch_vccnz .LBB403_25
; %bb.24:
	flat_load_dwordx4 v[16:19], v[4:5]
	s_waitcnt vmcnt(0) lgkmcnt(0)
	v_mul_f64 v[20:21], s[10:11], v[18:19]
	v_mul_f64 v[18:19], s[8:9], v[18:19]
	v_fma_f64 v[20:21], s[8:9], v[16:17], -v[20:21]
	v_fmac_f64_e32 v[18:19], s[10:11], v[16:17]
	v_add_f64 v[0:1], v[0:1], v[20:21]
	v_add_f64 v[2:3], v[2:3], v[18:19]
.LBB403_25:
	flat_store_dwordx4 v[4:5], v[0:3]
.LBB403_26:
	s_or_b64 exec, exec, s[4:5]
	v_cmp_le_i32_e32 vcc, v6, v10
	s_and_b64 s[2:3], s[2:3], vcc
	s_and_saveexec_b64 s[4:5], s[2:3]
	s_cbranch_execz .LBB403_30
; %bb.27:
	v_mul_f64 v[0:1], s[14:15], v[12:13]
	v_mul_f64 v[2:3], s[12:13], v[12:13]
	v_fma_f64 v[0:1], s[12:13], v[14:15], -v[0:1]
	v_fmac_f64_e32 v[2:3], s[14:15], v[14:15]
	s_and_b64 vcc, exec, s[0:1]
	v_lshl_add_u64 v[4:5], v[6:7], 4, v[8:9]
	s_cbranch_vccnz .LBB403_29
; %bb.28:
	flat_load_dwordx4 v[6:9], v[4:5]
	s_waitcnt vmcnt(0) lgkmcnt(0)
	v_mul_f64 v[10:11], s[10:11], v[8:9]
	v_mul_f64 v[8:9], s[8:9], v[8:9]
	v_fma_f64 v[10:11], s[8:9], v[6:7], -v[10:11]
	v_fmac_f64_e32 v[8:9], s[10:11], v[6:7]
	v_add_f64 v[0:1], v[0:1], v[10:11]
	v_add_f64 v[2:3], v[2:3], v[8:9]
.LBB403_29:
	flat_store_dwordx4 v[4:5], v[0:3]
.LBB403_30:
	s_endpgm
	.section	.rodata,"a",@progbits
	.p2align	6, 0x0
	.amdhsa_kernel _ZL29rocblas_internal_gemmt_kernelIiLi16ELi32ELi8ELc67ELc84ELc85ELb1ELb0E19rocblas_complex_numIdEPKS1_PKS3_PKPS1_EviT_T9_T10_S9_lSB_S9_lSA_T11_S9_li
		.amdhsa_group_segment_fixed_size 8192
		.amdhsa_private_segment_fixed_size 0
		.amdhsa_kernarg_size 100
		.amdhsa_user_sgpr_count 2
		.amdhsa_user_sgpr_dispatch_ptr 0
		.amdhsa_user_sgpr_queue_ptr 0
		.amdhsa_user_sgpr_kernarg_segment_ptr 1
		.amdhsa_user_sgpr_dispatch_id 0
		.amdhsa_user_sgpr_kernarg_preload_length 0
		.amdhsa_user_sgpr_kernarg_preload_offset 0
		.amdhsa_user_sgpr_private_segment_size 0
		.amdhsa_uses_dynamic_stack 0
		.amdhsa_enable_private_segment 0
		.amdhsa_system_sgpr_workgroup_id_x 1
		.amdhsa_system_sgpr_workgroup_id_y 1
		.amdhsa_system_sgpr_workgroup_id_z 1
		.amdhsa_system_sgpr_workgroup_info 0
		.amdhsa_system_vgpr_workitem_id 1
		.amdhsa_next_free_vgpr 62
		.amdhsa_next_free_sgpr 36
		.amdhsa_accum_offset 64
		.amdhsa_reserve_vcc 1
		.amdhsa_float_round_mode_32 0
		.amdhsa_float_round_mode_16_64 0
		.amdhsa_float_denorm_mode_32 3
		.amdhsa_float_denorm_mode_16_64 3
		.amdhsa_dx10_clamp 1
		.amdhsa_ieee_mode 1
		.amdhsa_fp16_overflow 0
		.amdhsa_tg_split 0
		.amdhsa_exception_fp_ieee_invalid_op 0
		.amdhsa_exception_fp_denorm_src 0
		.amdhsa_exception_fp_ieee_div_zero 0
		.amdhsa_exception_fp_ieee_overflow 0
		.amdhsa_exception_fp_ieee_underflow 0
		.amdhsa_exception_fp_ieee_inexact 0
		.amdhsa_exception_int_div_zero 0
	.end_amdhsa_kernel
	.section	.text._ZL29rocblas_internal_gemmt_kernelIiLi16ELi32ELi8ELc67ELc84ELc85ELb1ELb0E19rocblas_complex_numIdEPKS1_PKS3_PKPS1_EviT_T9_T10_S9_lSB_S9_lSA_T11_S9_li,"axG",@progbits,_ZL29rocblas_internal_gemmt_kernelIiLi16ELi32ELi8ELc67ELc84ELc85ELb1ELb0E19rocblas_complex_numIdEPKS1_PKS3_PKPS1_EviT_T9_T10_S9_lSB_S9_lSA_T11_S9_li,comdat
.Lfunc_end403:
	.size	_ZL29rocblas_internal_gemmt_kernelIiLi16ELi32ELi8ELc67ELc84ELc85ELb1ELb0E19rocblas_complex_numIdEPKS1_PKS3_PKPS1_EviT_T9_T10_S9_lSB_S9_lSA_T11_S9_li, .Lfunc_end403-_ZL29rocblas_internal_gemmt_kernelIiLi16ELi32ELi8ELc67ELc84ELc85ELb1ELb0E19rocblas_complex_numIdEPKS1_PKS3_PKPS1_EviT_T9_T10_S9_lSB_S9_lSA_T11_S9_li
                                        ; -- End function
	.set _ZL29rocblas_internal_gemmt_kernelIiLi16ELi32ELi8ELc67ELc84ELc85ELb1ELb0E19rocblas_complex_numIdEPKS1_PKS3_PKPS1_EviT_T9_T10_S9_lSB_S9_lSA_T11_S9_li.num_vgpr, 62
	.set _ZL29rocblas_internal_gemmt_kernelIiLi16ELi32ELi8ELc67ELc84ELc85ELb1ELb0E19rocblas_complex_numIdEPKS1_PKS3_PKPS1_EviT_T9_T10_S9_lSB_S9_lSA_T11_S9_li.num_agpr, 0
	.set _ZL29rocblas_internal_gemmt_kernelIiLi16ELi32ELi8ELc67ELc84ELc85ELb1ELb0E19rocblas_complex_numIdEPKS1_PKS3_PKPS1_EviT_T9_T10_S9_lSB_S9_lSA_T11_S9_li.numbered_sgpr, 36
	.set _ZL29rocblas_internal_gemmt_kernelIiLi16ELi32ELi8ELc67ELc84ELc85ELb1ELb0E19rocblas_complex_numIdEPKS1_PKS3_PKPS1_EviT_T9_T10_S9_lSB_S9_lSA_T11_S9_li.num_named_barrier, 0
	.set _ZL29rocblas_internal_gemmt_kernelIiLi16ELi32ELi8ELc67ELc84ELc85ELb1ELb0E19rocblas_complex_numIdEPKS1_PKS3_PKPS1_EviT_T9_T10_S9_lSB_S9_lSA_T11_S9_li.private_seg_size, 0
	.set _ZL29rocblas_internal_gemmt_kernelIiLi16ELi32ELi8ELc67ELc84ELc85ELb1ELb0E19rocblas_complex_numIdEPKS1_PKS3_PKPS1_EviT_T9_T10_S9_lSB_S9_lSA_T11_S9_li.uses_vcc, 1
	.set _ZL29rocblas_internal_gemmt_kernelIiLi16ELi32ELi8ELc67ELc84ELc85ELb1ELb0E19rocblas_complex_numIdEPKS1_PKS3_PKPS1_EviT_T9_T10_S9_lSB_S9_lSA_T11_S9_li.uses_flat_scratch, 0
	.set _ZL29rocblas_internal_gemmt_kernelIiLi16ELi32ELi8ELc67ELc84ELc85ELb1ELb0E19rocblas_complex_numIdEPKS1_PKS3_PKPS1_EviT_T9_T10_S9_lSB_S9_lSA_T11_S9_li.has_dyn_sized_stack, 0
	.set _ZL29rocblas_internal_gemmt_kernelIiLi16ELi32ELi8ELc67ELc84ELc85ELb1ELb0E19rocblas_complex_numIdEPKS1_PKS3_PKPS1_EviT_T9_T10_S9_lSB_S9_lSA_T11_S9_li.has_recursion, 0
	.set _ZL29rocblas_internal_gemmt_kernelIiLi16ELi32ELi8ELc67ELc84ELc85ELb1ELb0E19rocblas_complex_numIdEPKS1_PKS3_PKPS1_EviT_T9_T10_S9_lSB_S9_lSA_T11_S9_li.has_indirect_call, 0
	.section	.AMDGPU.csdata,"",@progbits
; Kernel info:
; codeLenInByte = 3140
; TotalNumSgprs: 42
; NumVgprs: 62
; NumAgprs: 0
; TotalNumVgprs: 62
; ScratchSize: 0
; MemoryBound: 1
; FloatMode: 240
; IeeeMode: 1
; LDSByteSize: 8192 bytes/workgroup (compile time only)
; SGPRBlocks: 5
; VGPRBlocks: 7
; NumSGPRsForWavesPerEU: 42
; NumVGPRsForWavesPerEU: 62
; AccumOffset: 64
; Occupancy: 8
; WaveLimiterHint : 1
; COMPUTE_PGM_RSRC2:SCRATCH_EN: 0
; COMPUTE_PGM_RSRC2:USER_SGPR: 2
; COMPUTE_PGM_RSRC2:TRAP_HANDLER: 0
; COMPUTE_PGM_RSRC2:TGID_X_EN: 1
; COMPUTE_PGM_RSRC2:TGID_Y_EN: 1
; COMPUTE_PGM_RSRC2:TGID_Z_EN: 1
; COMPUTE_PGM_RSRC2:TIDIG_COMP_CNT: 1
; COMPUTE_PGM_RSRC3_GFX90A:ACCUM_OFFSET: 15
; COMPUTE_PGM_RSRC3_GFX90A:TG_SPLIT: 0
	.section	.text._ZL29rocblas_internal_gemmt_kernelIiLi16ELi32ELi8ELc67ELc67ELc85ELb1ELb1E19rocblas_complex_numIdEPKS1_PKS3_PKPS1_EviT_T9_T10_S9_lSB_S9_lSA_T11_S9_li,"axG",@progbits,_ZL29rocblas_internal_gemmt_kernelIiLi16ELi32ELi8ELc67ELc67ELc85ELb1ELb1E19rocblas_complex_numIdEPKS1_PKS3_PKPS1_EviT_T9_T10_S9_lSB_S9_lSA_T11_S9_li,comdat
	.globl	_ZL29rocblas_internal_gemmt_kernelIiLi16ELi32ELi8ELc67ELc67ELc85ELb1ELb1E19rocblas_complex_numIdEPKS1_PKS3_PKPS1_EviT_T9_T10_S9_lSB_S9_lSA_T11_S9_li ; -- Begin function _ZL29rocblas_internal_gemmt_kernelIiLi16ELi32ELi8ELc67ELc67ELc85ELb1ELb1E19rocblas_complex_numIdEPKS1_PKS3_PKPS1_EviT_T9_T10_S9_lSB_S9_lSA_T11_S9_li
	.p2align	8
	.type	_ZL29rocblas_internal_gemmt_kernelIiLi16ELi32ELi8ELc67ELc67ELc85ELb1ELb1E19rocblas_complex_numIdEPKS1_PKS3_PKPS1_EviT_T9_T10_S9_lSB_S9_lSA_T11_S9_li,@function
_ZL29rocblas_internal_gemmt_kernelIiLi16ELi32ELi8ELc67ELc67ELc85ELb1ELb1E19rocblas_complex_numIdEPKS1_PKS3_PKPS1_EviT_T9_T10_S9_lSB_S9_lSA_T11_S9_li: ; @_ZL29rocblas_internal_gemmt_kernelIiLi16ELi32ELi8ELc67ELc67ELc85ELb1ELb1E19rocblas_complex_numIdEPKS1_PKS3_PKPS1_EviT_T9_T10_S9_lSB_S9_lSA_T11_S9_li
; %bb.0:
	s_load_dwordx4 s[16:19], s[0:1], 0x38
	s_load_dwordx4 s[20:23], s[0:1], 0x8
	s_mov_b64 s[6:7], 0
	s_waitcnt lgkmcnt(0)
	s_load_dwordx4 s[8:11], s[18:19], 0x0
	s_load_dwordx2 s[24:25], s[0:1], 0x0
	s_load_dwordx4 s[12:15], s[20:21], 0x0
	s_waitcnt lgkmcnt(0)
	v_cmp_eq_f64_e64 s[20:21], s[8:9], 1.0
	v_cmp_eq_f64_e64 s[18:19], s[10:11], 0
	s_and_b64 s[20:21], s[20:21], s[18:19]
	s_andn2_b64 vcc, exec, s[20:21]
	s_mov_b64 s[20:21], -1
	s_cbranch_vccnz .LBB404_4
; %bb.1:
	s_cmp_lg_u32 s25, 0
	s_cbranch_scc0 .LBB404_3
; %bb.2:
	v_cmp_neq_f64_e64 s[6:7], s[12:13], 0
	v_cmp_neq_f64_e64 s[20:21], s[14:15], 0
	s_or_b64 s[6:7], s[6:7], s[20:21]
.LBB404_3:
	s_mov_b64 s[20:21], s[6:7]
.LBB404_4:
	s_and_b64 vcc, exec, s[20:21]
	s_cbranch_vccz .LBB404_28
; %bb.5:
	s_load_dwordx2 s[20:21], s[0:1], 0x48
	s_mov_b32 s5, 0
	s_lshl_b64 s[6:7], s[4:5], 3
	v_cmp_eq_f64_e64 s[28:29], s[14:15], 0
	v_and_b32_e32 v24, 0x3ff, v0
	s_waitcnt lgkmcnt(0)
	s_add_u32 s20, s20, s6
	s_addc_u32 s21, s21, s7
	s_lshl_b32 s4, s2, 5
	s_lshl_b32 s26, s3, 5
	v_cmp_eq_f64_e64 s[2:3], s[12:13], 0
	s_load_dwordx2 s[20:21], s[20:21], 0x0
	s_and_b64 s[2:3], s[2:3], s[28:29]
	s_cmp_lt_i32 s25, 1
	s_cselect_b64 s[28:29], -1, 0
	s_or_b64 s[2:3], s[2:3], s[28:29]
	v_bfe_u32 v25, v0, 10, 10
	v_mov_b64_e32 v[20:21], 0
	s_and_b64 vcc, exec, s[2:3]
	v_mov_b64_e32 v[22:23], 0
	v_mov_b64_e32 v[16:17], 0
	v_mov_b64_e32 v[18:19], 0
	v_mov_b64_e32 v[12:13], 0
	v_mov_b64_e32 v[14:15], 0
	v_mov_b64_e32 v[10:11], 0
	v_mov_b64_e32 v[8:9], 0
	s_cbranch_vccnz .LBB404_12
; %bb.6:
	s_load_dword s27, s[0:1], 0x18
	s_load_dword s34, s[0:1], 0x30
	s_load_dwordx4 s[28:31], s[0:1], 0x20
	v_lshl_add_u32 v1, v25, 4, v24
	v_and_b32_e32 v3, 31, v1
	v_lshrrev_b32_e32 v27, 5, v1
	s_waitcnt lgkmcnt(0)
	s_ashr_i32 s35, s34, 31
	v_lshrrev_b32_e32 v2, 3, v1
	v_or_b32_e32 v1, s4, v3
	s_add_u32 s2, s30, s6
	v_and_b32_e32 v26, 7, v24
	s_addc_u32 s3, s31, s7
	v_cmp_gt_i32_e32 vcc, s24, v1
	v_lshlrev_b32_e32 v1, 4, v3
	s_load_dwordx2 s[30:31], s[2:3], 0x0
	s_add_u32 s2, s22, s6
	v_lshl_or_b32 v28, v27, 9, v1
	v_lshlrev_b32_e32 v1, 4, v26
	v_add_u32_e32 v0, s26, v2
	s_addc_u32 s3, s23, s7
	v_lshl_or_b32 v1, v2, 7, v1
	v_mov_b32_e32 v2, 0x1000
	s_load_dwordx2 s[6:7], s[2:3], 0x0
	v_lshl_add_u32 v31, v25, 7, v2
	v_add_u32_e32 v2, s4, v3
	v_mad_i64_i32 v[2:3], s[22:23], s27, v2, 0
	s_lshl_b64 s[22:23], s[28:29], 4
	s_nop 0
	v_lshl_add_u64 v[2:3], v[2:3], 4, s[22:23]
	v_lshlrev_b32_e32 v4, 4, v27
	v_mov_b32_e32 v5, 0
	v_lshl_add_u64 v[2:3], v[2:3], 0, v[4:5]
	s_waitcnt lgkmcnt(0)
	v_lshl_add_u64 v[4:5], s[6:7], 0, v[2:3]
	v_mad_i64_i32 v[2:3], s[6:7], s34, v26, 0
	s_lshl_b64 s[6:7], s[16:17], 4
	v_add_u32_e32 v29, 0x1000, v1
	v_ashrrev_i32_e32 v1, 31, v0
	v_lshl_add_u64 v[2:3], v[2:3], 4, s[6:7]
	v_cmp_gt_i32_e64 s[2:3], s24, v0
	v_lshl_add_u64 v[0:1], v[0:1], 4, v[2:3]
	v_lshlrev_b32_e32 v30, 4, v24
	v_lshl_add_u64 v[6:7], s[30:31], 0, v[0:1]
	s_lshl_b64 s[16:17], s[34:35], 7
	v_mov_b64_e32 v[8:9], 0
	s_mov_b64 s[22:23], 0x80
	v_mov_b64_e32 v[10:11], 0
	v_mov_b64_e32 v[14:15], 0
	;; [unrolled: 1-line block ×7, first 2 shown]
	s_branch .LBB404_8
.LBB404_7:                              ;   in Loop: Header=BB404_8 Depth=1
	s_or_b64 exec, exec, s[6:7]
	ds_write_b128 v29, v[0:3]
	s_waitcnt lgkmcnt(0)
	s_barrier
	ds_read_b128 v[0:3], v30
	ds_read_b128 v[32:35], v31
	ds_read_b128 v[36:39], v31 offset:16
	ds_read_b128 v[40:43], v31 offset:32
	;; [unrolled: 1-line block ×4, first 2 shown]
	s_waitcnt lgkmcnt(4)
	v_mul_f64 v[52:53], v[34:35], v[2:3]
	v_fma_f64 v[52:53], v[32:33], v[0:1], -v[52:53]
	v_mul_f64 v[54:55], v[32:33], v[2:3]
	v_fmac_f64_e32 v[54:55], v[34:35], v[0:1]
	v_add_f64 v[52:53], v[20:21], v[52:53]
	s_waitcnt lgkmcnt(0)
	v_mul_f64 v[20:21], v[34:35], v[50:51]
	v_add_f64 v[54:55], v[54:55], v[22:23]
	v_fma_f64 v[56:57], v[32:33], v[48:49], -v[20:21]
	ds_read_b128 v[20:23], v31 offset:2048
	v_mul_f64 v[32:33], v[32:33], v[50:51]
	v_fmac_f64_e32 v[32:33], v[34:35], v[48:49]
	v_add_f64 v[34:35], v[16:17], v[56:57]
	v_add_f64 v[32:33], v[32:33], v[18:19]
	ds_read_b128 v[16:19], v31 offset:2064
	s_waitcnt lgkmcnt(1)
	v_mul_f64 v[56:57], v[22:23], v[2:3]
	v_mul_f64 v[2:3], v[20:21], v[2:3]
	v_fma_f64 v[56:57], v[20:21], v[0:1], -v[56:57]
	v_fmac_f64_e32 v[2:3], v[22:23], v[0:1]
	v_mul_f64 v[0:1], v[22:23], v[50:51]
	v_add_f64 v[12:13], v[12:13], v[56:57]
	v_add_f64 v[14:15], v[2:3], v[14:15]
	v_fma_f64 v[56:57], v[20:21], v[48:49], -v[0:1]
	v_mul_f64 v[20:21], v[20:21], v[50:51]
	ds_read_b128 v[0:3], v30 offset:512
	v_fmac_f64_e32 v[20:21], v[22:23], v[48:49]
	v_add_f64 v[22:23], v[10:11], v[56:57]
	v_add_f64 v[20:21], v[20:21], v[8:9]
	ds_read_b128 v[8:11], v30 offset:768
	s_waitcnt lgkmcnt(1)
	v_mul_f64 v[48:49], v[38:39], v[2:3]
	v_fma_f64 v[48:49], v[36:37], v[0:1], -v[48:49]
	v_add_f64 v[48:49], v[52:53], v[48:49]
	v_mul_f64 v[50:51], v[36:37], v[2:3]
	s_waitcnt lgkmcnt(0)
	v_mul_f64 v[52:53], v[38:39], v[10:11]
	v_fma_f64 v[52:53], v[36:37], v[8:9], -v[52:53]
	v_mul_f64 v[36:37], v[36:37], v[10:11]
	v_fmac_f64_e32 v[36:37], v[38:39], v[8:9]
	v_add_f64 v[32:33], v[36:37], v[32:33]
	v_mul_f64 v[36:37], v[18:19], v[2:3]
	v_mul_f64 v[2:3], v[16:17], v[2:3]
	v_fmac_f64_e32 v[50:51], v[38:39], v[0:1]
	v_fma_f64 v[36:37], v[16:17], v[0:1], -v[36:37]
	v_fmac_f64_e32 v[2:3], v[18:19], v[0:1]
	v_mul_f64 v[0:1], v[18:19], v[10:11]
	v_add_f64 v[36:37], v[12:13], v[36:37]
	v_add_f64 v[38:39], v[2:3], v[14:15]
	v_fma_f64 v[12:13], v[16:17], v[8:9], -v[0:1]
	v_mul_f64 v[10:11], v[16:17], v[10:11]
	ds_read_b128 v[0:3], v30 offset:1024
	v_fmac_f64_e32 v[10:11], v[18:19], v[8:9]
	v_add_f64 v[20:21], v[10:11], v[20:21]
	ds_read_b128 v[8:11], v30 offset:1280
	v_add_f64 v[22:23], v[22:23], v[12:13]
	s_waitcnt lgkmcnt(1)
	v_mul_f64 v[12:13], v[42:43], v[2:3]
	v_fma_f64 v[12:13], v[40:41], v[0:1], -v[12:13]
	v_mul_f64 v[14:15], v[40:41], v[2:3]
	v_add_f64 v[50:51], v[50:51], v[54:55]
	v_fmac_f64_e32 v[14:15], v[42:43], v[0:1]
	v_add_f64 v[48:49], v[48:49], v[12:13]
	s_waitcnt lgkmcnt(0)
	v_mul_f64 v[12:13], v[42:43], v[10:11]
	v_add_f64 v[50:51], v[14:15], v[50:51]
	v_fma_f64 v[16:17], v[40:41], v[8:9], -v[12:13]
	ds_read_b128 v[12:15], v31 offset:2080
	v_mul_f64 v[18:19], v[40:41], v[10:11]
	v_add_f64 v[34:35], v[34:35], v[52:53]
	v_fmac_f64_e32 v[18:19], v[42:43], v[8:9]
	v_add_f64 v[34:35], v[34:35], v[16:17]
	v_add_f64 v[32:33], v[18:19], v[32:33]
	ds_read_b128 v[16:19], v31 offset:2096
	s_waitcnt lgkmcnt(1)
	v_mul_f64 v[40:41], v[14:15], v[2:3]
	v_mul_f64 v[2:3], v[12:13], v[2:3]
	v_fma_f64 v[40:41], v[12:13], v[0:1], -v[40:41]
	v_fmac_f64_e32 v[2:3], v[14:15], v[0:1]
	v_mul_f64 v[0:1], v[14:15], v[10:11]
	v_mul_f64 v[10:11], v[12:13], v[10:11]
	v_fmac_f64_e32 v[10:11], v[14:15], v[8:9]
	v_add_f64 v[36:37], v[36:37], v[40:41]
	v_add_f64 v[38:39], v[2:3], v[38:39]
	v_fma_f64 v[40:41], v[12:13], v[8:9], -v[0:1]
	ds_read_b128 v[0:3], v30 offset:1536
	v_add_f64 v[14:15], v[10:11], v[20:21]
	ds_read_b128 v[8:11], v30 offset:1792
	v_add_f64 v[12:13], v[22:23], v[40:41]
	s_add_i32 s5, s5, 8
	s_waitcnt lgkmcnt(1)
	v_mul_f64 v[20:21], v[46:47], v[2:3]
	v_mul_f64 v[22:23], v[44:45], v[2:3]
	s_waitcnt lgkmcnt(0)
	v_mul_f64 v[40:41], v[46:47], v[10:11]
	v_fma_f64 v[40:41], v[44:45], v[8:9], -v[40:41]
	v_add_f64 v[34:35], v[34:35], v[40:41]
	v_mul_f64 v[40:41], v[18:19], v[2:3]
	v_mul_f64 v[2:3], v[16:17], v[2:3]
	v_fma_f64 v[20:21], v[44:45], v[0:1], -v[20:21]
	v_fmac_f64_e32 v[22:23], v[46:47], v[0:1]
	v_fma_f64 v[40:41], v[16:17], v[0:1], -v[40:41]
	v_fmac_f64_e32 v[2:3], v[18:19], v[0:1]
	v_mul_f64 v[0:1], v[18:19], v[10:11]
	v_mul_f64 v[42:43], v[44:45], v[10:11]
	v_add_f64 v[36:37], v[36:37], v[40:41]
	v_fma_f64 v[40:41], v[16:17], v[8:9], -v[0:1]
	v_mul_f64 v[16:17], v[16:17], v[10:11]
	v_fmac_f64_e32 v[42:43], v[46:47], v[8:9]
	v_add_f64 v[38:39], v[2:3], v[38:39]
	v_fmac_f64_e32 v[16:17], v[18:19], v[8:9]
	ds_read_b128 v[0:3], v31 offset:64
	ds_read_b128 v[8:11], v30 offset:2048
	v_add_f64 v[32:33], v[42:43], v[32:33]
	v_add_f64 v[40:41], v[12:13], v[40:41]
	;; [unrolled: 1-line block ×3, first 2 shown]
	ds_read_b128 v[12:15], v30 offset:2304
	ds_read_b128 v[16:19], v31 offset:80
	s_waitcnt lgkmcnt(2)
	v_mul_f64 v[44:45], v[2:3], v[10:11]
	v_add_f64 v[20:21], v[48:49], v[20:21]
	v_fma_f64 v[44:45], v[0:1], v[8:9], -v[44:45]
	v_mul_f64 v[46:47], v[0:1], v[10:11]
	v_add_f64 v[22:23], v[22:23], v[50:51]
	v_fmac_f64_e32 v[46:47], v[2:3], v[8:9]
	v_add_f64 v[44:45], v[20:21], v[44:45]
	s_waitcnt lgkmcnt(1)
	v_mul_f64 v[20:21], v[2:3], v[14:15]
	v_add_f64 v[46:47], v[46:47], v[22:23]
	v_fma_f64 v[48:49], v[0:1], v[12:13], -v[20:21]
	ds_read_b128 v[20:23], v31 offset:2112
	v_mul_f64 v[0:1], v[0:1], v[14:15]
	v_fmac_f64_e32 v[0:1], v[2:3], v[12:13]
	v_add_f64 v[34:35], v[34:35], v[48:49]
	v_add_f64 v[32:33], v[0:1], v[32:33]
	ds_read_b128 v[0:3], v31 offset:2128
	s_waitcnt lgkmcnt(1)
	v_mul_f64 v[48:49], v[22:23], v[10:11]
	v_mul_f64 v[10:11], v[20:21], v[10:11]
	v_fma_f64 v[48:49], v[20:21], v[8:9], -v[48:49]
	v_fmac_f64_e32 v[10:11], v[22:23], v[8:9]
	v_mul_f64 v[8:9], v[22:23], v[14:15]
	v_add_f64 v[36:37], v[36:37], v[48:49]
	v_add_f64 v[38:39], v[10:11], v[38:39]
	v_fma_f64 v[48:49], v[20:21], v[12:13], -v[8:9]
	v_mul_f64 v[14:15], v[20:21], v[14:15]
	ds_read_b128 v[8:11], v30 offset:2560
	v_fmac_f64_e32 v[14:15], v[22:23], v[12:13]
	v_add_f64 v[22:23], v[14:15], v[42:43]
	ds_read_b128 v[12:15], v30 offset:2816
	v_add_f64 v[20:21], v[40:41], v[48:49]
	s_waitcnt lgkmcnt(1)
	v_mul_f64 v[40:41], v[18:19], v[10:11]
	v_fma_f64 v[40:41], v[16:17], v[8:9], -v[40:41]
	v_add_f64 v[40:41], v[44:45], v[40:41]
	s_waitcnt lgkmcnt(0)
	v_mul_f64 v[44:45], v[18:19], v[14:15]
	v_mul_f64 v[42:43], v[16:17], v[10:11]
	v_fma_f64 v[44:45], v[16:17], v[12:13], -v[44:45]
	v_mul_f64 v[16:17], v[16:17], v[14:15]
	v_fmac_f64_e32 v[16:17], v[18:19], v[12:13]
	v_add_f64 v[32:33], v[16:17], v[32:33]
	v_mul_f64 v[16:17], v[2:3], v[10:11]
	v_mul_f64 v[10:11], v[0:1], v[10:11]
	v_fmac_f64_e32 v[42:43], v[18:19], v[8:9]
	v_fma_f64 v[16:17], v[0:1], v[8:9], -v[16:17]
	v_fmac_f64_e32 v[10:11], v[2:3], v[8:9]
	v_mul_f64 v[8:9], v[2:3], v[14:15]
	v_mul_f64 v[14:15], v[0:1], v[14:15]
	v_add_f64 v[36:37], v[36:37], v[16:17]
	v_add_f64 v[38:39], v[10:11], v[38:39]
	v_fma_f64 v[16:17], v[0:1], v[12:13], -v[8:9]
	v_fmac_f64_e32 v[14:15], v[2:3], v[12:13]
	ds_read_b128 v[0:3], v31 offset:96
	ds_read_b128 v[8:11], v30 offset:3072
	v_add_f64 v[42:43], v[42:43], v[46:47]
	v_add_f64 v[34:35], v[34:35], v[44:45]
	;; [unrolled: 1-line block ×4, first 2 shown]
	ds_read_b128 v[12:15], v30 offset:3328
	ds_read_b128 v[16:19], v31 offset:112
	s_waitcnt lgkmcnt(2)
	v_mul_f64 v[20:21], v[2:3], v[10:11]
	v_fma_f64 v[20:21], v[0:1], v[8:9], -v[20:21]
	v_mul_f64 v[22:23], v[0:1], v[10:11]
	v_fmac_f64_e32 v[22:23], v[2:3], v[8:9]
	v_add_f64 v[40:41], v[40:41], v[20:21]
	s_waitcnt lgkmcnt(1)
	v_mul_f64 v[20:21], v[2:3], v[14:15]
	v_add_f64 v[42:43], v[22:23], v[42:43]
	v_fma_f64 v[48:49], v[0:1], v[12:13], -v[20:21]
	ds_read_b128 v[20:23], v31 offset:2144
	v_mul_f64 v[0:1], v[0:1], v[14:15]
	v_fmac_f64_e32 v[0:1], v[2:3], v[12:13]
	v_add_f64 v[50:51], v[0:1], v[32:33]
	ds_read_b128 v[0:3], v31 offset:2160
	s_waitcnt lgkmcnt(1)
	v_mul_f64 v[32:33], v[22:23], v[10:11]
	v_mul_f64 v[10:11], v[20:21], v[10:11]
	v_fma_f64 v[32:33], v[20:21], v[8:9], -v[32:33]
	v_fmac_f64_e32 v[10:11], v[22:23], v[8:9]
	v_mul_f64 v[8:9], v[22:23], v[14:15]
	v_add_f64 v[36:37], v[36:37], v[32:33]
	v_add_f64 v[38:39], v[10:11], v[38:39]
	v_fma_f64 v[32:33], v[20:21], v[12:13], -v[8:9]
	ds_read_b128 v[8:11], v30 offset:3584
	v_add_f64 v[48:49], v[34:35], v[48:49]
	v_add_f64 v[44:45], v[44:45], v[32:33]
	ds_read_b128 v[32:35], v30 offset:3840
	v_mul_f64 v[14:15], v[20:21], v[14:15]
	v_fmac_f64_e32 v[14:15], v[22:23], v[12:13]
	s_waitcnt lgkmcnt(1)
	v_mul_f64 v[12:13], v[18:19], v[10:11]
	v_fma_f64 v[12:13], v[16:17], v[8:9], -v[12:13]
	v_add_f64 v[46:47], v[14:15], v[46:47]
	v_mul_f64 v[14:15], v[16:17], v[10:11]
	v_add_f64 v[20:21], v[40:41], v[12:13]
	s_waitcnt lgkmcnt(0)
	v_mul_f64 v[12:13], v[18:19], v[34:35]
	v_fmac_f64_e32 v[14:15], v[18:19], v[8:9]
	v_fma_f64 v[12:13], v[16:17], v[32:33], -v[12:13]
	v_add_f64 v[22:23], v[14:15], v[42:43]
	v_mul_f64 v[14:15], v[16:17], v[34:35]
	v_add_f64 v[16:17], v[48:49], v[12:13]
	v_mul_f64 v[12:13], v[2:3], v[10:11]
	v_mul_f64 v[10:11], v[0:1], v[10:11]
	v_fma_f64 v[12:13], v[0:1], v[8:9], -v[12:13]
	v_fmac_f64_e32 v[10:11], v[2:3], v[8:9]
	v_mul_f64 v[8:9], v[2:3], v[34:35]
	v_fma_f64 v[8:9], v[0:1], v[32:33], -v[8:9]
	v_mul_f64 v[0:1], v[0:1], v[34:35]
	v_fmac_f64_e32 v[14:15], v[18:19], v[32:33]
	v_fmac_f64_e32 v[0:1], v[2:3], v[32:33]
	v_add_f64 v[18:19], v[14:15], v[50:51]
	v_add_f64 v[12:13], v[36:37], v[12:13]
	;; [unrolled: 1-line block ×5, first 2 shown]
	v_lshl_add_u64 v[4:5], v[4:5], 0, s[22:23]
	s_cmp_lt_i32 s5, s25
	v_lshl_add_u64 v[6:7], v[6:7], 0, s[16:17]
	s_barrier
	s_cbranch_scc0 .LBB404_12
.LBB404_8:                              ; =>This Inner Loop Header: Depth=1
	v_add_u32_e32 v0, s5, v27
	v_cmp_gt_i32_e64 s[6:7], s25, v0
	s_and_b64 s[28:29], vcc, s[6:7]
	v_mov_b64_e32 v[0:1], 0
	v_mov_b64_e32 v[2:3], 0
	s_and_saveexec_b64 s[6:7], s[28:29]
	s_cbranch_execz .LBB404_10
; %bb.9:                                ;   in Loop: Header=BB404_8 Depth=1
	flat_load_dwordx4 v[0:3], v[4:5]
	s_waitcnt vmcnt(0) lgkmcnt(0)
	v_xor_b32_e32 v3, 0x80000000, v3
.LBB404_10:                             ;   in Loop: Header=BB404_8 Depth=1
	s_or_b64 exec, exec, s[6:7]
	ds_write_b128 v28, v[0:3]
	v_add_u32_e32 v0, s5, v26
	v_cmp_gt_i32_e64 s[6:7], s25, v0
	s_and_b64 s[28:29], s[6:7], s[2:3]
	v_mov_b64_e32 v[0:1], 0
	v_mov_b64_e32 v[2:3], 0
	s_and_saveexec_b64 s[6:7], s[28:29]
	s_cbranch_execz .LBB404_7
; %bb.11:                               ;   in Loop: Header=BB404_8 Depth=1
	flat_load_dwordx4 v[0:3], v[6:7]
	s_waitcnt vmcnt(0) lgkmcnt(0)
	v_xor_b32_e32 v3, 0x80000000, v3
	s_branch .LBB404_7
.LBB404_12:
	s_load_dwordx2 s[2:3], s[0:1], 0x58
	s_load_dword s16, s[0:1], 0x50
	v_add_u32_e32 v4, s4, v24
	v_add_u32_e32 v26, s26, v25
	v_cmp_neq_f64_e64 s[0:1], s[8:9], 0
	s_waitcnt lgkmcnt(0)
	s_lshl_b64 s[2:3], s[2:3], 4
	s_add_u32 s4, s20, s2
	s_addc_u32 s5, s21, s3
	s_xor_b64 s[6:7], s[18:19], -1
	v_mad_i64_i32 v[0:1], s[18:19], v26, s16, 0
	s_or_b64 s[0:1], s[0:1], s[6:7]
	v_cmp_gt_i32_e64 s[2:3], s24, v26
	v_lshl_add_u64 v[24:25], v[0:1], 4, s[4:5]
	v_cmp_le_i32_e32 vcc, v4, v26
	v_cndmask_b32_e64 v0, 0, 1, s[0:1]
	s_and_b64 s[18:19], s[2:3], vcc
	v_ashrrev_i32_e32 v5, 31, v4
	v_cmp_ne_u32_e64 s[0:1], 1, v0
	s_and_saveexec_b64 s[6:7], s[18:19]
	s_cbranch_execz .LBB404_16
; %bb.13:
	v_mul_f64 v[0:1], s[14:15], v[22:23]
	v_mul_f64 v[2:3], s[12:13], v[22:23]
	v_fma_f64 v[0:1], s[12:13], v[20:21], -v[0:1]
	v_fmac_f64_e32 v[2:3], s[14:15], v[20:21]
	s_and_b64 vcc, exec, s[0:1]
	v_lshl_add_u64 v[6:7], v[4:5], 4, v[24:25]
	s_cbranch_vccnz .LBB404_15
; %bb.14:
	flat_load_dwordx4 v[20:23], v[6:7]
	s_waitcnt vmcnt(0) lgkmcnt(0)
	v_mul_f64 v[28:29], s[10:11], v[22:23]
	v_mul_f64 v[22:23], s[8:9], v[22:23]
	v_fma_f64 v[28:29], s[8:9], v[20:21], -v[28:29]
	v_fmac_f64_e32 v[22:23], s[10:11], v[20:21]
	v_add_f64 v[0:1], v[0:1], v[28:29]
	v_add_f64 v[2:3], v[2:3], v[22:23]
.LBB404_15:
	flat_store_dwordx4 v[6:7], v[0:3]
.LBB404_16:
	s_or_b64 exec, exec, s[6:7]
	v_add_u32_e32 v6, 16, v4
	v_cmp_le_i32_e32 vcc, v6, v26
	s_and_b64 s[6:7], s[2:3], vcc
	v_ashrrev_i32_e32 v7, 31, v6
	s_and_saveexec_b64 s[2:3], s[6:7]
	s_cbranch_execz .LBB404_20
; %bb.17:
	v_mul_f64 v[0:1], s[14:15], v[18:19]
	v_mul_f64 v[2:3], s[12:13], v[18:19]
	v_fma_f64 v[0:1], s[12:13], v[16:17], -v[0:1]
	v_fmac_f64_e32 v[2:3], s[14:15], v[16:17]
	s_and_b64 vcc, exec, s[0:1]
	v_lshl_add_u64 v[16:17], v[6:7], 4, v[24:25]
	s_cbranch_vccnz .LBB404_19
; %bb.18:
	flat_load_dwordx4 v[18:21], v[16:17]
	s_waitcnt vmcnt(0) lgkmcnt(0)
	v_mul_f64 v[22:23], s[10:11], v[20:21]
	v_mul_f64 v[20:21], s[8:9], v[20:21]
	v_fma_f64 v[22:23], s[8:9], v[18:19], -v[22:23]
	v_fmac_f64_e32 v[20:21], s[10:11], v[18:19]
	v_add_f64 v[0:1], v[0:1], v[22:23]
	v_add_f64 v[2:3], v[2:3], v[20:21]
.LBB404_19:
	flat_store_dwordx4 v[16:17], v[0:3]
.LBB404_20:
	s_or_b64 exec, exec, s[2:3]
	v_add_u32_e32 v18, 16, v26
	v_cmp_gt_i32_e64 s[2:3], s24, v18
	v_mad_i64_i32 v[0:1], s[6:7], v18, s16, 0
	v_cmp_le_i32_e32 vcc, v4, v18
	v_lshl_add_u64 v[16:17], v[0:1], 4, s[4:5]
	s_and_b64 s[6:7], s[2:3], vcc
	s_and_saveexec_b64 s[4:5], s[6:7]
	s_cbranch_execz .LBB404_24
; %bb.21:
	v_mul_f64 v[0:1], s[14:15], v[14:15]
	v_mul_f64 v[2:3], s[12:13], v[14:15]
	v_fma_f64 v[0:1], s[12:13], v[12:13], -v[0:1]
	v_fmac_f64_e32 v[2:3], s[14:15], v[12:13]
	s_and_b64 vcc, exec, s[0:1]
	v_lshl_add_u64 v[4:5], v[4:5], 4, v[16:17]
	s_cbranch_vccnz .LBB404_23
; %bb.22:
	flat_load_dwordx4 v[12:15], v[4:5]
	s_waitcnt vmcnt(0) lgkmcnt(0)
	v_mul_f64 v[20:21], s[10:11], v[14:15]
	v_mul_f64 v[14:15], s[8:9], v[14:15]
	v_fma_f64 v[20:21], s[8:9], v[12:13], -v[20:21]
	v_fmac_f64_e32 v[14:15], s[10:11], v[12:13]
	v_add_f64 v[0:1], v[0:1], v[20:21]
	v_add_f64 v[2:3], v[2:3], v[14:15]
.LBB404_23:
	flat_store_dwordx4 v[4:5], v[0:3]
.LBB404_24:
	s_or_b64 exec, exec, s[4:5]
	v_cmp_le_i32_e32 vcc, v6, v18
	s_and_b64 s[2:3], s[2:3], vcc
	s_and_saveexec_b64 s[4:5], s[2:3]
	s_cbranch_execz .LBB404_28
; %bb.25:
	v_mul_f64 v[0:1], s[14:15], v[8:9]
	v_mul_f64 v[2:3], s[12:13], v[8:9]
	v_fma_f64 v[0:1], s[12:13], v[10:11], -v[0:1]
	v_fmac_f64_e32 v[2:3], s[14:15], v[10:11]
	s_and_b64 vcc, exec, s[0:1]
	v_lshl_add_u64 v[4:5], v[6:7], 4, v[16:17]
	s_cbranch_vccnz .LBB404_27
; %bb.26:
	flat_load_dwordx4 v[6:9], v[4:5]
	s_waitcnt vmcnt(0) lgkmcnt(0)
	v_mul_f64 v[10:11], s[10:11], v[8:9]
	v_mul_f64 v[8:9], s[8:9], v[8:9]
	v_fma_f64 v[10:11], s[8:9], v[6:7], -v[10:11]
	v_fmac_f64_e32 v[8:9], s[10:11], v[6:7]
	v_add_f64 v[0:1], v[0:1], v[10:11]
	v_add_f64 v[2:3], v[2:3], v[8:9]
.LBB404_27:
	flat_store_dwordx4 v[4:5], v[0:3]
.LBB404_28:
	s_endpgm
	.section	.rodata,"a",@progbits
	.p2align	6, 0x0
	.amdhsa_kernel _ZL29rocblas_internal_gemmt_kernelIiLi16ELi32ELi8ELc67ELc67ELc85ELb1ELb1E19rocblas_complex_numIdEPKS1_PKS3_PKPS1_EviT_T9_T10_S9_lSB_S9_lSA_T11_S9_li
		.amdhsa_group_segment_fixed_size 8192
		.amdhsa_private_segment_fixed_size 0
		.amdhsa_kernarg_size 100
		.amdhsa_user_sgpr_count 2
		.amdhsa_user_sgpr_dispatch_ptr 0
		.amdhsa_user_sgpr_queue_ptr 0
		.amdhsa_user_sgpr_kernarg_segment_ptr 1
		.amdhsa_user_sgpr_dispatch_id 0
		.amdhsa_user_sgpr_kernarg_preload_length 0
		.amdhsa_user_sgpr_kernarg_preload_offset 0
		.amdhsa_user_sgpr_private_segment_size 0
		.amdhsa_uses_dynamic_stack 0
		.amdhsa_enable_private_segment 0
		.amdhsa_system_sgpr_workgroup_id_x 1
		.amdhsa_system_sgpr_workgroup_id_y 1
		.amdhsa_system_sgpr_workgroup_id_z 1
		.amdhsa_system_sgpr_workgroup_info 0
		.amdhsa_system_vgpr_workitem_id 1
		.amdhsa_next_free_vgpr 58
		.amdhsa_next_free_sgpr 36
		.amdhsa_accum_offset 60
		.amdhsa_reserve_vcc 1
		.amdhsa_float_round_mode_32 0
		.amdhsa_float_round_mode_16_64 0
		.amdhsa_float_denorm_mode_32 3
		.amdhsa_float_denorm_mode_16_64 3
		.amdhsa_dx10_clamp 1
		.amdhsa_ieee_mode 1
		.amdhsa_fp16_overflow 0
		.amdhsa_tg_split 0
		.amdhsa_exception_fp_ieee_invalid_op 0
		.amdhsa_exception_fp_denorm_src 0
		.amdhsa_exception_fp_ieee_div_zero 0
		.amdhsa_exception_fp_ieee_overflow 0
		.amdhsa_exception_fp_ieee_underflow 0
		.amdhsa_exception_fp_ieee_inexact 0
		.amdhsa_exception_int_div_zero 0
	.end_amdhsa_kernel
	.section	.text._ZL29rocblas_internal_gemmt_kernelIiLi16ELi32ELi8ELc67ELc67ELc85ELb1ELb1E19rocblas_complex_numIdEPKS1_PKS3_PKPS1_EviT_T9_T10_S9_lSB_S9_lSA_T11_S9_li,"axG",@progbits,_ZL29rocblas_internal_gemmt_kernelIiLi16ELi32ELi8ELc67ELc67ELc85ELb1ELb1E19rocblas_complex_numIdEPKS1_PKS3_PKPS1_EviT_T9_T10_S9_lSB_S9_lSA_T11_S9_li,comdat
.Lfunc_end404:
	.size	_ZL29rocblas_internal_gemmt_kernelIiLi16ELi32ELi8ELc67ELc67ELc85ELb1ELb1E19rocblas_complex_numIdEPKS1_PKS3_PKPS1_EviT_T9_T10_S9_lSB_S9_lSA_T11_S9_li, .Lfunc_end404-_ZL29rocblas_internal_gemmt_kernelIiLi16ELi32ELi8ELc67ELc67ELc85ELb1ELb1E19rocblas_complex_numIdEPKS1_PKS3_PKPS1_EviT_T9_T10_S9_lSB_S9_lSA_T11_S9_li
                                        ; -- End function
	.set _ZL29rocblas_internal_gemmt_kernelIiLi16ELi32ELi8ELc67ELc67ELc85ELb1ELb1E19rocblas_complex_numIdEPKS1_PKS3_PKPS1_EviT_T9_T10_S9_lSB_S9_lSA_T11_S9_li.num_vgpr, 58
	.set _ZL29rocblas_internal_gemmt_kernelIiLi16ELi32ELi8ELc67ELc67ELc85ELb1ELb1E19rocblas_complex_numIdEPKS1_PKS3_PKPS1_EviT_T9_T10_S9_lSB_S9_lSA_T11_S9_li.num_agpr, 0
	.set _ZL29rocblas_internal_gemmt_kernelIiLi16ELi32ELi8ELc67ELc67ELc85ELb1ELb1E19rocblas_complex_numIdEPKS1_PKS3_PKPS1_EviT_T9_T10_S9_lSB_S9_lSA_T11_S9_li.numbered_sgpr, 36
	.set _ZL29rocblas_internal_gemmt_kernelIiLi16ELi32ELi8ELc67ELc67ELc85ELb1ELb1E19rocblas_complex_numIdEPKS1_PKS3_PKPS1_EviT_T9_T10_S9_lSB_S9_lSA_T11_S9_li.num_named_barrier, 0
	.set _ZL29rocblas_internal_gemmt_kernelIiLi16ELi32ELi8ELc67ELc67ELc85ELb1ELb1E19rocblas_complex_numIdEPKS1_PKS3_PKPS1_EviT_T9_T10_S9_lSB_S9_lSA_T11_S9_li.private_seg_size, 0
	.set _ZL29rocblas_internal_gemmt_kernelIiLi16ELi32ELi8ELc67ELc67ELc85ELb1ELb1E19rocblas_complex_numIdEPKS1_PKS3_PKPS1_EviT_T9_T10_S9_lSB_S9_lSA_T11_S9_li.uses_vcc, 1
	.set _ZL29rocblas_internal_gemmt_kernelIiLi16ELi32ELi8ELc67ELc67ELc85ELb1ELb1E19rocblas_complex_numIdEPKS1_PKS3_PKPS1_EviT_T9_T10_S9_lSB_S9_lSA_T11_S9_li.uses_flat_scratch, 0
	.set _ZL29rocblas_internal_gemmt_kernelIiLi16ELi32ELi8ELc67ELc67ELc85ELb1ELb1E19rocblas_complex_numIdEPKS1_PKS3_PKPS1_EviT_T9_T10_S9_lSB_S9_lSA_T11_S9_li.has_dyn_sized_stack, 0
	.set _ZL29rocblas_internal_gemmt_kernelIiLi16ELi32ELi8ELc67ELc67ELc85ELb1ELb1E19rocblas_complex_numIdEPKS1_PKS3_PKPS1_EviT_T9_T10_S9_lSB_S9_lSA_T11_S9_li.has_recursion, 0
	.set _ZL29rocblas_internal_gemmt_kernelIiLi16ELi32ELi8ELc67ELc67ELc85ELb1ELb1E19rocblas_complex_numIdEPKS1_PKS3_PKPS1_EviT_T9_T10_S9_lSB_S9_lSA_T11_S9_li.has_indirect_call, 0
	.section	.AMDGPU.csdata,"",@progbits
; Kernel info:
; codeLenInByte = 3124
; TotalNumSgprs: 42
; NumVgprs: 58
; NumAgprs: 0
; TotalNumVgprs: 58
; ScratchSize: 0
; MemoryBound: 1
; FloatMode: 240
; IeeeMode: 1
; LDSByteSize: 8192 bytes/workgroup (compile time only)
; SGPRBlocks: 5
; VGPRBlocks: 7
; NumSGPRsForWavesPerEU: 42
; NumVGPRsForWavesPerEU: 58
; AccumOffset: 60
; Occupancy: 8
; WaveLimiterHint : 1
; COMPUTE_PGM_RSRC2:SCRATCH_EN: 0
; COMPUTE_PGM_RSRC2:USER_SGPR: 2
; COMPUTE_PGM_RSRC2:TRAP_HANDLER: 0
; COMPUTE_PGM_RSRC2:TGID_X_EN: 1
; COMPUTE_PGM_RSRC2:TGID_Y_EN: 1
; COMPUTE_PGM_RSRC2:TGID_Z_EN: 1
; COMPUTE_PGM_RSRC2:TIDIG_COMP_CNT: 1
; COMPUTE_PGM_RSRC3_GFX90A:ACCUM_OFFSET: 14
; COMPUTE_PGM_RSRC3_GFX90A:TG_SPLIT: 0
	.section	.text._ZL29rocblas_internal_gemmt_kernelIiLi16ELi32ELi8ELc78ELc78ELc76ELb0ELb0E19rocblas_complex_numIdEPKS1_PKS3_PKPS1_EviT_T9_T10_S9_lSB_S9_lSA_T11_S9_li,"axG",@progbits,_ZL29rocblas_internal_gemmt_kernelIiLi16ELi32ELi8ELc78ELc78ELc76ELb0ELb0E19rocblas_complex_numIdEPKS1_PKS3_PKPS1_EviT_T9_T10_S9_lSB_S9_lSA_T11_S9_li,comdat
	.globl	_ZL29rocblas_internal_gemmt_kernelIiLi16ELi32ELi8ELc78ELc78ELc76ELb0ELb0E19rocblas_complex_numIdEPKS1_PKS3_PKPS1_EviT_T9_T10_S9_lSB_S9_lSA_T11_S9_li ; -- Begin function _ZL29rocblas_internal_gemmt_kernelIiLi16ELi32ELi8ELc78ELc78ELc76ELb0ELb0E19rocblas_complex_numIdEPKS1_PKS3_PKPS1_EviT_T9_T10_S9_lSB_S9_lSA_T11_S9_li
	.p2align	8
	.type	_ZL29rocblas_internal_gemmt_kernelIiLi16ELi32ELi8ELc78ELc78ELc76ELb0ELb0E19rocblas_complex_numIdEPKS1_PKS3_PKPS1_EviT_T9_T10_S9_lSB_S9_lSA_T11_S9_li,@function
_ZL29rocblas_internal_gemmt_kernelIiLi16ELi32ELi8ELc78ELc78ELc76ELb0ELb0E19rocblas_complex_numIdEPKS1_PKS3_PKPS1_EviT_T9_T10_S9_lSB_S9_lSA_T11_S9_li: ; @_ZL29rocblas_internal_gemmt_kernelIiLi16ELi32ELi8ELc78ELc78ELc76ELb0ELb0E19rocblas_complex_numIdEPKS1_PKS3_PKPS1_EviT_T9_T10_S9_lSB_S9_lSA_T11_S9_li
; %bb.0:
	s_load_dwordx4 s[16:19], s[0:1], 0x38
	s_load_dwordx4 s[20:23], s[0:1], 0x8
	s_mov_b64 s[24:25], 0
	s_waitcnt lgkmcnt(0)
	s_load_dwordx4 s[8:11], s[18:19], 0x0
	s_load_dwordx2 s[6:7], s[0:1], 0x0
	s_load_dwordx4 s[12:15], s[20:21], 0x0
	s_waitcnt lgkmcnt(0)
	v_cmp_eq_f64_e64 s[20:21], s[8:9], 1.0
	v_cmp_eq_f64_e64 s[18:19], s[10:11], 0
	s_and_b64 s[20:21], s[20:21], s[18:19]
	s_andn2_b64 vcc, exec, s[20:21]
	s_mov_b64 s[20:21], -1
	s_cbranch_vccnz .LBB405_4
; %bb.1:
	s_cmp_lg_u32 s7, 0
	s_cbranch_scc0 .LBB405_3
; %bb.2:
	v_cmp_neq_f64_e64 s[20:21], s[12:13], 0
	v_cmp_neq_f64_e64 s[24:25], s[14:15], 0
	s_or_b64 s[24:25], s[20:21], s[24:25]
.LBB405_3:
	s_mov_b64 s[20:21], s[24:25]
.LBB405_4:
	s_and_b64 vcc, exec, s[20:21]
	s_cbranch_vccz .LBB405_32
; %bb.5:
	s_load_dwordx2 s[20:21], s[0:1], 0x48
	s_mov_b32 s5, 0
	s_lshl_b64 s[24:25], s[4:5], 3
	v_cmp_eq_f64_e64 s[26:27], s[14:15], 0
	v_and_b32_e32 v24, 0x3ff, v0
	s_waitcnt lgkmcnt(0)
	s_add_u32 s20, s20, s24
	s_addc_u32 s21, s21, s25
	s_lshl_b32 s4, s2, 5
	s_lshl_b32 s28, s3, 5
	v_cmp_eq_f64_e64 s[2:3], s[12:13], 0
	s_load_dwordx2 s[20:21], s[20:21], 0x0
	s_and_b64 s[2:3], s[2:3], s[26:27]
	s_cmp_lt_i32 s7, 1
	s_cselect_b64 s[26:27], -1, 0
	s_or_b64 s[2:3], s[2:3], s[26:27]
	v_bfe_u32 v25, v0, 10, 10
	v_mov_b64_e32 v[20:21], 0
	s_and_b64 vcc, exec, s[2:3]
	v_mov_b64_e32 v[22:23], 0
	v_mov_b64_e32 v[16:17], 0
	;; [unrolled: 1-line block ×7, first 2 shown]
	s_cbranch_vccnz .LBB405_16
; %bb.6:
	s_load_dword s26, s[0:1], 0x18
	s_load_dwordx4 s[36:39], s[0:1], 0x20
	s_load_dword s29, s[0:1], 0x30
	v_lshl_add_u32 v0, v25, 4, v24
	v_lshrrev_b32_e32 v27, 5, v0
	v_and_b32_e32 v4, 31, v0
	s_waitcnt lgkmcnt(0)
	s_ashr_i32 s27, s26, 31
	s_add_u32 s2, s38, s24
	s_addc_u32 s3, s39, s25
	s_load_dwordx2 s[30:31], s[2:3], 0x0
	s_add_u32 s2, s22, s24
	s_addc_u32 s3, s23, s25
	s_load_dwordx2 s[22:23], s[2:3], 0x0
	v_lshrrev_b32_e32 v1, 3, v0
	v_or_b32_e32 v0, s4, v4
	v_mad_i64_i32 v[2:3], s[24:25], v27, s26, 0
	v_and_b32_e32 v26, 7, v24
	v_cmp_gt_i32_e32 vcc, s6, v0
	v_lshlrev_b32_e32 v0, 4, v4
	s_lshl_b64 s[24:25], s[36:37], 4
	v_add_u32_e32 v4, s4, v4
	v_lshl_or_b32 v28, v27, 9, v0
	v_lshlrev_b32_e32 v0, 4, v26
	v_lshl_add_u64 v[2:3], v[2:3], 4, s[24:25]
	v_ashrrev_i32_e32 v5, 31, v4
	v_add_u32_e32 v6, s28, v1
	v_lshl_or_b32 v1, v1, 7, v0
	v_lshl_add_u64 v[2:3], v[4:5], 4, v[2:3]
	v_add_u32_e32 v29, 0x1000, v1
	v_mov_b32_e32 v1, 0x1000
	s_waitcnt lgkmcnt(0)
	v_lshl_add_u64 v[4:5], s[22:23], 0, v[2:3]
	v_mad_i64_i32 v[2:3], s[24:25], s29, v6, 0
	s_lshl_b64 s[16:17], s[16:17], 4
	v_lshl_add_u32 v31, v25, 7, v1
	v_lshl_add_u64 v[2:3], v[2:3], 4, s[16:17]
	v_mov_b32_e32 v1, 0
	v_cmp_gt_i32_e64 s[2:3], s6, v6
	v_lshl_add_u64 v[2:3], v[2:3], 0, v[0:1]
	v_lshlrev_b32_e32 v30, 4, v24
	s_lshl_b64 s[22:23], s[26:27], 7
	v_lshl_add_u64 v[6:7], s[30:31], 0, v[2:3]
	v_mov_b64_e32 v[8:9], 0
	s_xor_b64 s[16:17], vcc, -1
	s_xor_b64 s[2:3], s[2:3], -1
	s_mov_b64 s[24:25], 0x80
	v_mov_b32_e32 v0, v1
	v_mov_b32_e32 v2, v1
	v_mov_b32_e32 v3, v1
	v_mov_b64_e32 v[10:11], 0
	v_mov_b64_e32 v[14:15], 0
	;; [unrolled: 1-line block ×7, first 2 shown]
	s_branch .LBB405_8
.LBB405_7:                              ;   in Loop: Header=BB405_8 Depth=1
	s_or_b64 exec, exec, s[26:27]
	s_waitcnt lgkmcnt(0)
	s_barrier
	ds_read_b128 v[32:35], v30
	ds_read_b128 v[36:39], v31
	ds_read_b128 v[40:43], v31 offset:16
	ds_read_b128 v[44:47], v31 offset:32
	;; [unrolled: 1-line block ×4, first 2 shown]
	s_waitcnt lgkmcnt(4)
	v_mul_f64 v[56:57], v[38:39], v[34:35]
	v_fma_f64 v[56:57], v[36:37], v[32:33], -v[56:57]
	v_mul_f64 v[58:59], v[36:37], v[34:35]
	v_fmac_f64_e32 v[58:59], v[38:39], v[32:33]
	v_add_f64 v[56:57], v[20:21], v[56:57]
	s_waitcnt lgkmcnt(0)
	v_mul_f64 v[20:21], v[38:39], v[54:55]
	v_add_f64 v[58:59], v[58:59], v[22:23]
	v_fma_f64 v[60:61], v[36:37], v[52:53], -v[20:21]
	ds_read_b128 v[20:23], v31 offset:2048
	v_mul_f64 v[36:37], v[36:37], v[54:55]
	v_fmac_f64_e32 v[36:37], v[38:39], v[52:53]
	v_add_f64 v[38:39], v[16:17], v[60:61]
	v_add_f64 v[36:37], v[36:37], v[18:19]
	ds_read_b128 v[16:19], v31 offset:2064
	s_waitcnt lgkmcnt(1)
	v_mul_f64 v[60:61], v[22:23], v[34:35]
	v_fma_f64 v[60:61], v[20:21], v[32:33], -v[60:61]
	v_mul_f64 v[34:35], v[20:21], v[34:35]
	v_fmac_f64_e32 v[34:35], v[22:23], v[32:33]
	v_add_f64 v[32:33], v[12:13], v[60:61]
	v_mul_f64 v[12:13], v[22:23], v[54:55]
	v_add_f64 v[34:35], v[34:35], v[14:15]
	v_fma_f64 v[60:61], v[20:21], v[52:53], -v[12:13]
	v_mul_f64 v[20:21], v[20:21], v[54:55]
	ds_read_b128 v[12:15], v30 offset:512
	v_fmac_f64_e32 v[20:21], v[22:23], v[52:53]
	v_add_f64 v[22:23], v[10:11], v[60:61]
	v_add_f64 v[20:21], v[20:21], v[8:9]
	ds_read_b128 v[8:11], v30 offset:768
	s_waitcnt lgkmcnt(1)
	v_mul_f64 v[52:53], v[42:43], v[14:15]
	v_fma_f64 v[52:53], v[40:41], v[12:13], -v[52:53]
	v_add_f64 v[52:53], v[56:57], v[52:53]
	v_mul_f64 v[54:55], v[40:41], v[14:15]
	s_waitcnt lgkmcnt(0)
	v_mul_f64 v[56:57], v[42:43], v[10:11]
	v_fma_f64 v[56:57], v[40:41], v[8:9], -v[56:57]
	v_mul_f64 v[40:41], v[40:41], v[10:11]
	v_fmac_f64_e32 v[40:41], v[42:43], v[8:9]
	v_add_f64 v[36:37], v[40:41], v[36:37]
	v_mul_f64 v[40:41], v[18:19], v[14:15]
	v_mul_f64 v[14:15], v[16:17], v[14:15]
	v_fmac_f64_e32 v[54:55], v[42:43], v[12:13]
	v_fma_f64 v[40:41], v[16:17], v[12:13], -v[40:41]
	v_fmac_f64_e32 v[14:15], v[18:19], v[12:13]
	v_mul_f64 v[12:13], v[18:19], v[10:11]
	v_add_f64 v[42:43], v[14:15], v[34:35]
	v_fma_f64 v[14:15], v[16:17], v[8:9], -v[12:13]
	v_mul_f64 v[16:17], v[16:17], v[10:11]
	ds_read_b128 v[10:13], v30 offset:1024
	v_fmac_f64_e32 v[16:17], v[18:19], v[8:9]
	v_add_f64 v[38:39], v[38:39], v[56:57]
	v_add_f64 v[22:23], v[22:23], v[14:15]
	v_add_f64 v[56:57], v[16:17], v[20:21]
	ds_read_b128 v[14:17], v30 offset:1280
	s_waitcnt lgkmcnt(1)
	v_mul_f64 v[18:19], v[44:45], v[12:13]
	v_add_f64 v[54:55], v[54:55], v[58:59]
	v_fmac_f64_e32 v[18:19], v[46:47], v[10:11]
	v_add_f64 v[54:55], v[18:19], v[54:55]
	ds_read_b128 v[18:21], v31 offset:2080
	v_mul_f64 v[8:9], v[46:47], v[12:13]
	v_fma_f64 v[8:9], v[44:45], v[10:11], -v[8:9]
	v_add_f64 v[40:41], v[32:33], v[40:41]
	v_add_f64 v[52:53], v[52:53], v[8:9]
	s_waitcnt lgkmcnt(1)
	v_mul_f64 v[8:9], v[46:47], v[16:17]
	v_mul_f64 v[32:33], v[44:45], v[16:17]
	v_fma_f64 v[8:9], v[44:45], v[14:15], -v[8:9]
	v_fmac_f64_e32 v[32:33], v[46:47], v[14:15]
	v_add_f64 v[38:39], v[38:39], v[8:9]
	v_add_f64 v[36:37], v[32:33], v[36:37]
	ds_read_b128 v[32:35], v31 offset:2096
	s_waitcnt lgkmcnt(1)
	v_mul_f64 v[8:9], v[20:21], v[12:13]
	v_fma_f64 v[8:9], v[18:19], v[10:11], -v[8:9]
	v_mul_f64 v[12:13], v[18:19], v[12:13]
	v_fmac_f64_e32 v[12:13], v[20:21], v[10:11]
	v_add_f64 v[40:41], v[40:41], v[8:9]
	v_mul_f64 v[8:9], v[20:21], v[16:17]
	v_add_f64 v[42:43], v[12:13], v[42:43]
	v_fma_f64 v[12:13], v[18:19], v[14:15], -v[8:9]
	ds_read_b128 v[8:11], v30 offset:1536
	v_mul_f64 v[16:17], v[18:19], v[16:17]
	v_fmac_f64_e32 v[16:17], v[20:21], v[14:15]
	v_add_f64 v[18:19], v[22:23], v[12:13]
	ds_read_b128 v[12:15], v30 offset:1792
	s_waitcnt lgkmcnt(1)
	v_mul_f64 v[20:21], v[50:51], v[10:11]
	v_fma_f64 v[20:21], v[48:49], v[8:9], -v[20:21]
	v_mul_f64 v[22:23], v[48:49], v[10:11]
	v_fmac_f64_e32 v[22:23], v[50:51], v[8:9]
	v_add_f64 v[44:45], v[52:53], v[20:21]
	s_waitcnt lgkmcnt(0)
	v_mul_f64 v[20:21], v[50:51], v[14:15]
	v_add_f64 v[46:47], v[22:23], v[54:55]
	v_fma_f64 v[20:21], v[48:49], v[12:13], -v[20:21]
	v_mul_f64 v[22:23], v[48:49], v[14:15]
	v_fmac_f64_e32 v[22:23], v[50:51], v[12:13]
	v_add_f64 v[38:39], v[38:39], v[20:21]
	v_mul_f64 v[20:21], v[34:35], v[10:11]
	v_mul_f64 v[10:11], v[32:33], v[10:11]
	v_add_f64 v[36:37], v[22:23], v[36:37]
	v_fma_f64 v[20:21], v[32:33], v[8:9], -v[20:21]
	v_fmac_f64_e32 v[10:11], v[34:35], v[8:9]
	v_mul_f64 v[8:9], v[34:35], v[14:15]
	v_mul_f64 v[22:23], v[32:33], v[14:15]
	v_add_f64 v[40:41], v[40:41], v[20:21]
	v_add_f64 v[42:43], v[10:11], v[42:43]
	v_fma_f64 v[20:21], v[32:33], v[12:13], -v[8:9]
	v_fmac_f64_e32 v[22:23], v[34:35], v[12:13]
	ds_read_b128 v[8:11], v31 offset:64
	ds_read_b128 v[12:15], v30 offset:2048
	v_add_f64 v[16:17], v[16:17], v[56:57]
	v_add_f64 v[48:49], v[18:19], v[20:21]
	;; [unrolled: 1-line block ×3, first 2 shown]
	ds_read_b128 v[16:19], v30 offset:2304
	ds_read_b128 v[20:23], v31 offset:80
	s_waitcnt lgkmcnt(2)
	v_mul_f64 v[32:33], v[10:11], v[14:15]
	v_fma_f64 v[32:33], v[8:9], v[12:13], -v[32:33]
	v_mul_f64 v[34:35], v[8:9], v[14:15]
	v_fmac_f64_e32 v[34:35], v[10:11], v[12:13]
	v_add_f64 v[44:45], v[44:45], v[32:33]
	s_waitcnt lgkmcnt(1)
	v_mul_f64 v[32:33], v[10:11], v[18:19]
	v_add_f64 v[46:47], v[34:35], v[46:47]
	v_fma_f64 v[52:53], v[8:9], v[16:17], -v[32:33]
	ds_read_b128 v[32:35], v31 offset:2112
	v_mul_f64 v[8:9], v[8:9], v[18:19]
	v_fmac_f64_e32 v[8:9], v[10:11], v[16:17]
	v_add_f64 v[38:39], v[38:39], v[52:53]
	v_add_f64 v[36:37], v[8:9], v[36:37]
	ds_read_b128 v[8:11], v31 offset:2128
	s_waitcnt lgkmcnt(1)
	v_mul_f64 v[52:53], v[34:35], v[14:15]
	v_mul_f64 v[14:15], v[32:33], v[14:15]
	v_fma_f64 v[52:53], v[32:33], v[12:13], -v[52:53]
	v_fmac_f64_e32 v[14:15], v[34:35], v[12:13]
	v_mul_f64 v[12:13], v[34:35], v[18:19]
	v_add_f64 v[40:41], v[40:41], v[52:53]
	v_add_f64 v[42:43], v[14:15], v[42:43]
	v_fma_f64 v[52:53], v[32:33], v[16:17], -v[12:13]
	v_mul_f64 v[18:19], v[32:33], v[18:19]
	ds_read_b128 v[12:15], v30 offset:2560
	v_fmac_f64_e32 v[18:19], v[34:35], v[16:17]
	v_add_f64 v[34:35], v[18:19], v[50:51]
	ds_read_b128 v[16:19], v30 offset:2816
	v_add_f64 v[32:33], v[48:49], v[52:53]
	s_waitcnt lgkmcnt(1)
	v_mul_f64 v[48:49], v[22:23], v[14:15]
	v_fma_f64 v[48:49], v[20:21], v[12:13], -v[48:49]
	v_add_f64 v[44:45], v[44:45], v[48:49]
	s_waitcnt lgkmcnt(0)
	v_mul_f64 v[48:49], v[22:23], v[18:19]
	v_mul_f64 v[50:51], v[20:21], v[14:15]
	v_fma_f64 v[48:49], v[20:21], v[16:17], -v[48:49]
	v_mul_f64 v[20:21], v[20:21], v[18:19]
	v_fmac_f64_e32 v[20:21], v[22:23], v[16:17]
	v_add_f64 v[36:37], v[20:21], v[36:37]
	v_mul_f64 v[20:21], v[10:11], v[14:15]
	v_mul_f64 v[14:15], v[8:9], v[14:15]
	v_fmac_f64_e32 v[50:51], v[22:23], v[12:13]
	v_fma_f64 v[20:21], v[8:9], v[12:13], -v[20:21]
	v_fmac_f64_e32 v[14:15], v[10:11], v[12:13]
	v_mul_f64 v[12:13], v[10:11], v[18:19]
	v_mul_f64 v[18:19], v[8:9], v[18:19]
	v_add_f64 v[40:41], v[40:41], v[20:21]
	v_add_f64 v[42:43], v[14:15], v[42:43]
	v_fma_f64 v[20:21], v[8:9], v[16:17], -v[12:13]
	v_fmac_f64_e32 v[18:19], v[10:11], v[16:17]
	ds_read_b128 v[8:11], v31 offset:96
	ds_read_b128 v[12:15], v30 offset:3072
	v_add_f64 v[46:47], v[50:51], v[46:47]
	v_add_f64 v[38:39], v[38:39], v[48:49]
	;; [unrolled: 1-line block ×4, first 2 shown]
	ds_read_b128 v[16:19], v30 offset:3328
	ds_read_b128 v[32:35], v31 offset:112
	s_waitcnt lgkmcnt(2)
	v_mul_f64 v[20:21], v[10:11], v[14:15]
	v_fma_f64 v[20:21], v[8:9], v[12:13], -v[20:21]
	v_mul_f64 v[22:23], v[8:9], v[14:15]
	v_fmac_f64_e32 v[22:23], v[10:11], v[12:13]
	v_add_f64 v[44:45], v[44:45], v[20:21]
	s_waitcnt lgkmcnt(1)
	v_mul_f64 v[20:21], v[10:11], v[18:19]
	v_add_f64 v[46:47], v[22:23], v[46:47]
	v_fma_f64 v[52:53], v[8:9], v[16:17], -v[20:21]
	ds_read_b128 v[20:23], v31 offset:2144
	v_mul_f64 v[8:9], v[8:9], v[18:19]
	v_fmac_f64_e32 v[8:9], v[10:11], v[16:17]
	v_add_f64 v[54:55], v[8:9], v[36:37]
	ds_read_b128 v[8:11], v31 offset:2160
	s_waitcnt lgkmcnt(1)
	v_mul_f64 v[36:37], v[22:23], v[14:15]
	v_mul_f64 v[14:15], v[20:21], v[14:15]
	v_fma_f64 v[36:37], v[20:21], v[12:13], -v[36:37]
	v_fmac_f64_e32 v[14:15], v[22:23], v[12:13]
	v_mul_f64 v[12:13], v[22:23], v[18:19]
	v_add_f64 v[40:41], v[40:41], v[36:37]
	v_add_f64 v[42:43], v[14:15], v[42:43]
	v_fma_f64 v[36:37], v[20:21], v[16:17], -v[12:13]
	ds_read_b128 v[12:15], v30 offset:3584
	v_add_f64 v[52:53], v[38:39], v[52:53]
	v_add_f64 v[48:49], v[48:49], v[36:37]
	ds_read_b128 v[36:39], v30 offset:3840
	v_mul_f64 v[18:19], v[20:21], v[18:19]
	v_fmac_f64_e32 v[18:19], v[22:23], v[16:17]
	s_waitcnt lgkmcnt(1)
	v_mul_f64 v[16:17], v[34:35], v[14:15]
	v_add_f64 v[50:51], v[18:19], v[50:51]
	v_fma_f64 v[16:17], v[32:33], v[12:13], -v[16:17]
	v_mul_f64 v[18:19], v[32:33], v[14:15]
	v_fmac_f64_e32 v[18:19], v[34:35], v[12:13]
	v_add_f64 v[20:21], v[44:45], v[16:17]
	s_waitcnt lgkmcnt(0)
	v_mul_f64 v[16:17], v[34:35], v[38:39]
	v_add_f64 v[22:23], v[18:19], v[46:47]
	v_fma_f64 v[16:17], v[32:33], v[36:37], -v[16:17]
	v_mul_f64 v[18:19], v[32:33], v[38:39]
	v_mul_f64 v[32:33], v[10:11], v[14:15]
	v_fma_f64 v[32:33], v[8:9], v[12:13], -v[32:33]
	v_mul_f64 v[14:15], v[8:9], v[14:15]
	v_fmac_f64_e32 v[14:15], v[10:11], v[12:13]
	v_add_f64 v[12:13], v[40:41], v[32:33]
	v_mul_f64 v[32:33], v[10:11], v[38:39]
	v_fma_f64 v[32:33], v[8:9], v[36:37], -v[32:33]
	v_mul_f64 v[8:9], v[8:9], v[38:39]
	v_fmac_f64_e32 v[18:19], v[34:35], v[36:37]
	v_fmac_f64_e32 v[8:9], v[10:11], v[36:37]
	s_add_i32 s5, s5, 8
	v_add_f64 v[16:17], v[52:53], v[16:17]
	v_add_f64 v[18:19], v[18:19], v[54:55]
	;; [unrolled: 1-line block ×5, first 2 shown]
	v_lshl_add_u64 v[4:5], v[4:5], 0, s[22:23]
	s_cmp_lt_i32 s5, s7
	v_lshl_add_u64 v[6:7], v[6:7], 0, s[24:25]
	s_barrier
	s_cbranch_scc0 .LBB405_16
.LBB405_8:                              ; =>This Inner Loop Header: Depth=1
	v_add_u32_e32 v32, s5, v27
	v_cmp_le_i32_e32 vcc, s7, v32
	s_or_b64 s[26:27], s[16:17], vcc
	s_and_saveexec_b64 s[30:31], s[26:27]
	s_xor_b64 s[26:27], exec, s[30:31]
; %bb.9:                                ;   in Loop: Header=BB405_8 Depth=1
	ds_write_b128 v28, v[0:3]
; %bb.10:                               ;   in Loop: Header=BB405_8 Depth=1
	s_andn2_saveexec_b64 s[26:27], s[26:27]
	s_cbranch_execz .LBB405_12
; %bb.11:                               ;   in Loop: Header=BB405_8 Depth=1
	flat_load_dwordx4 v[32:35], v[4:5]
	s_waitcnt vmcnt(0) lgkmcnt(0)
	ds_write2_b64 v28, v[32:33], v[34:35] offset1:1
.LBB405_12:                             ;   in Loop: Header=BB405_8 Depth=1
	s_or_b64 exec, exec, s[26:27]
	v_add_u32_e32 v32, s5, v26
	v_cmp_le_i32_e32 vcc, s7, v32
	s_or_b64 s[26:27], vcc, s[2:3]
	s_and_saveexec_b64 s[30:31], s[26:27]
	s_xor_b64 s[26:27], exec, s[30:31]
; %bb.13:                               ;   in Loop: Header=BB405_8 Depth=1
	ds_write_b128 v29, v[0:3]
; %bb.14:                               ;   in Loop: Header=BB405_8 Depth=1
	s_andn2_saveexec_b64 s[26:27], s[26:27]
	s_cbranch_execz .LBB405_7
; %bb.15:                               ;   in Loop: Header=BB405_8 Depth=1
	flat_load_dwordx4 v[32:35], v[6:7]
	s_waitcnt vmcnt(0) lgkmcnt(0)
	ds_write2_b64 v29, v[32:33], v[34:35] offset1:1
	s_branch .LBB405_7
.LBB405_16:
	s_load_dwordx2 s[2:3], s[0:1], 0x58
	s_load_dword s22, s[0:1], 0x50
	v_add_u32_e32 v4, s4, v24
	v_add_u32_e32 v26, s28, v25
	v_cmp_neq_f64_e64 s[0:1], s[8:9], 0
	s_waitcnt lgkmcnt(0)
	s_lshl_b64 s[2:3], s[2:3], 4
	s_add_u32 s16, s20, s2
	s_addc_u32 s17, s21, s3
	s_xor_b64 s[4:5], s[18:19], -1
	v_mad_i64_i32 v[0:1], s[2:3], v26, s22, 0
	s_or_b64 s[0:1], s[0:1], s[4:5]
	v_lshl_add_u64 v[24:25], v[0:1], 4, s[16:17]
	v_cmp_le_i32_e32 vcc, v26, v4
	v_cmp_gt_i32_e64 s[2:3], s6, v4
	v_cndmask_b32_e64 v0, 0, 1, s[0:1]
	s_and_b64 s[18:19], vcc, s[2:3]
	v_ashrrev_i32_e32 v5, 31, v4
	v_cmp_ne_u32_e64 s[0:1], 1, v0
	s_and_saveexec_b64 s[4:5], s[18:19]
	s_cbranch_execz .LBB405_20
; %bb.17:
	v_mul_f64 v[0:1], s[14:15], v[22:23]
	v_mul_f64 v[2:3], s[12:13], v[22:23]
	v_fma_f64 v[0:1], s[12:13], v[20:21], -v[0:1]
	v_fmac_f64_e32 v[2:3], s[14:15], v[20:21]
	s_and_b64 vcc, exec, s[0:1]
	v_lshl_add_u64 v[6:7], v[4:5], 4, v[24:25]
	s_cbranch_vccnz .LBB405_19
; %bb.18:
	flat_load_dwordx4 v[20:23], v[6:7]
	s_waitcnt vmcnt(0) lgkmcnt(0)
	v_mul_f64 v[28:29], s[10:11], v[22:23]
	v_mul_f64 v[22:23], s[8:9], v[22:23]
	v_fma_f64 v[28:29], s[8:9], v[20:21], -v[28:29]
	v_fmac_f64_e32 v[22:23], s[10:11], v[20:21]
	v_add_f64 v[0:1], v[0:1], v[28:29]
	v_add_f64 v[2:3], v[2:3], v[22:23]
.LBB405_19:
	flat_store_dwordx4 v[6:7], v[0:3]
.LBB405_20:
	s_or_b64 exec, exec, s[4:5]
	v_add_u32_e32 v6, 16, v4
	v_cmp_le_i32_e32 vcc, v26, v6
	v_cmp_gt_i32_e64 s[4:5], s6, v6
	s_and_b64 s[18:19], vcc, s[4:5]
	v_ashrrev_i32_e32 v7, 31, v6
	s_and_saveexec_b64 s[6:7], s[18:19]
	s_cbranch_execz .LBB405_24
; %bb.21:
	v_mul_f64 v[0:1], s[14:15], v[18:19]
	v_mul_f64 v[2:3], s[12:13], v[18:19]
	v_fma_f64 v[0:1], s[12:13], v[16:17], -v[0:1]
	v_fmac_f64_e32 v[2:3], s[14:15], v[16:17]
	s_and_b64 vcc, exec, s[0:1]
	v_lshl_add_u64 v[16:17], v[6:7], 4, v[24:25]
	s_cbranch_vccnz .LBB405_23
; %bb.22:
	flat_load_dwordx4 v[18:21], v[16:17]
	s_waitcnt vmcnt(0) lgkmcnt(0)
	v_mul_f64 v[22:23], s[10:11], v[20:21]
	v_mul_f64 v[20:21], s[8:9], v[20:21]
	v_fma_f64 v[22:23], s[8:9], v[18:19], -v[22:23]
	v_fmac_f64_e32 v[20:21], s[10:11], v[18:19]
	v_add_f64 v[0:1], v[0:1], v[22:23]
	v_add_f64 v[2:3], v[2:3], v[20:21]
.LBB405_23:
	flat_store_dwordx4 v[16:17], v[0:3]
.LBB405_24:
	s_or_b64 exec, exec, s[6:7]
	v_add_u32_e32 v18, 16, v26
	v_mad_i64_i32 v[0:1], s[6:7], v18, s22, 0
	v_cmp_le_i32_e32 vcc, v18, v4
	v_lshl_add_u64 v[16:17], v[0:1], 4, s[16:17]
	s_and_b64 s[6:7], vcc, s[2:3]
	s_and_saveexec_b64 s[2:3], s[6:7]
	s_cbranch_execz .LBB405_28
; %bb.25:
	v_mul_f64 v[0:1], s[14:15], v[14:15]
	v_mul_f64 v[2:3], s[12:13], v[14:15]
	v_fma_f64 v[0:1], s[12:13], v[12:13], -v[0:1]
	v_fmac_f64_e32 v[2:3], s[14:15], v[12:13]
	s_and_b64 vcc, exec, s[0:1]
	v_lshl_add_u64 v[4:5], v[4:5], 4, v[16:17]
	s_cbranch_vccnz .LBB405_27
; %bb.26:
	flat_load_dwordx4 v[12:15], v[4:5]
	s_waitcnt vmcnt(0) lgkmcnt(0)
	v_mul_f64 v[20:21], s[10:11], v[14:15]
	v_mul_f64 v[14:15], s[8:9], v[14:15]
	v_fma_f64 v[20:21], s[8:9], v[12:13], -v[20:21]
	v_fmac_f64_e32 v[14:15], s[10:11], v[12:13]
	v_add_f64 v[0:1], v[0:1], v[20:21]
	v_add_f64 v[2:3], v[2:3], v[14:15]
.LBB405_27:
	flat_store_dwordx4 v[4:5], v[0:3]
.LBB405_28:
	s_or_b64 exec, exec, s[2:3]
	v_cmp_le_i32_e32 vcc, v18, v6
	s_and_b64 s[2:3], vcc, s[4:5]
	s_and_saveexec_b64 s[4:5], s[2:3]
	s_cbranch_execz .LBB405_32
; %bb.29:
	v_mul_f64 v[0:1], s[14:15], v[8:9]
	v_mul_f64 v[2:3], s[12:13], v[8:9]
	v_fma_f64 v[0:1], s[12:13], v[10:11], -v[0:1]
	v_fmac_f64_e32 v[2:3], s[14:15], v[10:11]
	s_and_b64 vcc, exec, s[0:1]
	v_lshl_add_u64 v[4:5], v[6:7], 4, v[16:17]
	s_cbranch_vccnz .LBB405_31
; %bb.30:
	flat_load_dwordx4 v[6:9], v[4:5]
	s_waitcnt vmcnt(0) lgkmcnt(0)
	v_mul_f64 v[10:11], s[10:11], v[8:9]
	v_mul_f64 v[8:9], s[8:9], v[8:9]
	v_fma_f64 v[10:11], s[8:9], v[6:7], -v[10:11]
	v_fmac_f64_e32 v[8:9], s[10:11], v[6:7]
	v_add_f64 v[0:1], v[0:1], v[10:11]
	v_add_f64 v[2:3], v[2:3], v[8:9]
.LBB405_31:
	flat_store_dwordx4 v[4:5], v[0:3]
.LBB405_32:
	s_endpgm
	.section	.rodata,"a",@progbits
	.p2align	6, 0x0
	.amdhsa_kernel _ZL29rocblas_internal_gemmt_kernelIiLi16ELi32ELi8ELc78ELc78ELc76ELb0ELb0E19rocblas_complex_numIdEPKS1_PKS3_PKPS1_EviT_T9_T10_S9_lSB_S9_lSA_T11_S9_li
		.amdhsa_group_segment_fixed_size 8192
		.amdhsa_private_segment_fixed_size 0
		.amdhsa_kernarg_size 100
		.amdhsa_user_sgpr_count 2
		.amdhsa_user_sgpr_dispatch_ptr 0
		.amdhsa_user_sgpr_queue_ptr 0
		.amdhsa_user_sgpr_kernarg_segment_ptr 1
		.amdhsa_user_sgpr_dispatch_id 0
		.amdhsa_user_sgpr_kernarg_preload_length 0
		.amdhsa_user_sgpr_kernarg_preload_offset 0
		.amdhsa_user_sgpr_private_segment_size 0
		.amdhsa_uses_dynamic_stack 0
		.amdhsa_enable_private_segment 0
		.amdhsa_system_sgpr_workgroup_id_x 1
		.amdhsa_system_sgpr_workgroup_id_y 1
		.amdhsa_system_sgpr_workgroup_id_z 1
		.amdhsa_system_sgpr_workgroup_info 0
		.amdhsa_system_vgpr_workitem_id 1
		.amdhsa_next_free_vgpr 62
		.amdhsa_next_free_sgpr 40
		.amdhsa_accum_offset 64
		.amdhsa_reserve_vcc 1
		.amdhsa_float_round_mode_32 0
		.amdhsa_float_round_mode_16_64 0
		.amdhsa_float_denorm_mode_32 3
		.amdhsa_float_denorm_mode_16_64 3
		.amdhsa_dx10_clamp 1
		.amdhsa_ieee_mode 1
		.amdhsa_fp16_overflow 0
		.amdhsa_tg_split 0
		.amdhsa_exception_fp_ieee_invalid_op 0
		.amdhsa_exception_fp_denorm_src 0
		.amdhsa_exception_fp_ieee_div_zero 0
		.amdhsa_exception_fp_ieee_overflow 0
		.amdhsa_exception_fp_ieee_underflow 0
		.amdhsa_exception_fp_ieee_inexact 0
		.amdhsa_exception_int_div_zero 0
	.end_amdhsa_kernel
	.section	.text._ZL29rocblas_internal_gemmt_kernelIiLi16ELi32ELi8ELc78ELc78ELc76ELb0ELb0E19rocblas_complex_numIdEPKS1_PKS3_PKPS1_EviT_T9_T10_S9_lSB_S9_lSA_T11_S9_li,"axG",@progbits,_ZL29rocblas_internal_gemmt_kernelIiLi16ELi32ELi8ELc78ELc78ELc76ELb0ELb0E19rocblas_complex_numIdEPKS1_PKS3_PKPS1_EviT_T9_T10_S9_lSB_S9_lSA_T11_S9_li,comdat
.Lfunc_end405:
	.size	_ZL29rocblas_internal_gemmt_kernelIiLi16ELi32ELi8ELc78ELc78ELc76ELb0ELb0E19rocblas_complex_numIdEPKS1_PKS3_PKPS1_EviT_T9_T10_S9_lSB_S9_lSA_T11_S9_li, .Lfunc_end405-_ZL29rocblas_internal_gemmt_kernelIiLi16ELi32ELi8ELc78ELc78ELc76ELb0ELb0E19rocblas_complex_numIdEPKS1_PKS3_PKPS1_EviT_T9_T10_S9_lSB_S9_lSA_T11_S9_li
                                        ; -- End function
	.set _ZL29rocblas_internal_gemmt_kernelIiLi16ELi32ELi8ELc78ELc78ELc76ELb0ELb0E19rocblas_complex_numIdEPKS1_PKS3_PKPS1_EviT_T9_T10_S9_lSB_S9_lSA_T11_S9_li.num_vgpr, 62
	.set _ZL29rocblas_internal_gemmt_kernelIiLi16ELi32ELi8ELc78ELc78ELc76ELb0ELb0E19rocblas_complex_numIdEPKS1_PKS3_PKPS1_EviT_T9_T10_S9_lSB_S9_lSA_T11_S9_li.num_agpr, 0
	.set _ZL29rocblas_internal_gemmt_kernelIiLi16ELi32ELi8ELc78ELc78ELc76ELb0ELb0E19rocblas_complex_numIdEPKS1_PKS3_PKPS1_EviT_T9_T10_S9_lSB_S9_lSA_T11_S9_li.numbered_sgpr, 40
	.set _ZL29rocblas_internal_gemmt_kernelIiLi16ELi32ELi8ELc78ELc78ELc76ELb0ELb0E19rocblas_complex_numIdEPKS1_PKS3_PKPS1_EviT_T9_T10_S9_lSB_S9_lSA_T11_S9_li.num_named_barrier, 0
	.set _ZL29rocblas_internal_gemmt_kernelIiLi16ELi32ELi8ELc78ELc78ELc76ELb0ELb0E19rocblas_complex_numIdEPKS1_PKS3_PKPS1_EviT_T9_T10_S9_lSB_S9_lSA_T11_S9_li.private_seg_size, 0
	.set _ZL29rocblas_internal_gemmt_kernelIiLi16ELi32ELi8ELc78ELc78ELc76ELb0ELb0E19rocblas_complex_numIdEPKS1_PKS3_PKPS1_EviT_T9_T10_S9_lSB_S9_lSA_T11_S9_li.uses_vcc, 1
	.set _ZL29rocblas_internal_gemmt_kernelIiLi16ELi32ELi8ELc78ELc78ELc76ELb0ELb0E19rocblas_complex_numIdEPKS1_PKS3_PKPS1_EviT_T9_T10_S9_lSB_S9_lSA_T11_S9_li.uses_flat_scratch, 0
	.set _ZL29rocblas_internal_gemmt_kernelIiLi16ELi32ELi8ELc78ELc78ELc76ELb0ELb0E19rocblas_complex_numIdEPKS1_PKS3_PKPS1_EviT_T9_T10_S9_lSB_S9_lSA_T11_S9_li.has_dyn_sized_stack, 0
	.set _ZL29rocblas_internal_gemmt_kernelIiLi16ELi32ELi8ELc78ELc78ELc76ELb0ELb0E19rocblas_complex_numIdEPKS1_PKS3_PKPS1_EviT_T9_T10_S9_lSB_S9_lSA_T11_S9_li.has_recursion, 0
	.set _ZL29rocblas_internal_gemmt_kernelIiLi16ELi32ELi8ELc78ELc78ELc76ELb0ELb0E19rocblas_complex_numIdEPKS1_PKS3_PKPS1_EviT_T9_T10_S9_lSB_S9_lSA_T11_S9_li.has_indirect_call, 0
	.section	.AMDGPU.csdata,"",@progbits
; Kernel info:
; codeLenInByte = 3128
; TotalNumSgprs: 46
; NumVgprs: 62
; NumAgprs: 0
; TotalNumVgprs: 62
; ScratchSize: 0
; MemoryBound: 0
; FloatMode: 240
; IeeeMode: 1
; LDSByteSize: 8192 bytes/workgroup (compile time only)
; SGPRBlocks: 5
; VGPRBlocks: 7
; NumSGPRsForWavesPerEU: 46
; NumVGPRsForWavesPerEU: 62
; AccumOffset: 64
; Occupancy: 8
; WaveLimiterHint : 1
; COMPUTE_PGM_RSRC2:SCRATCH_EN: 0
; COMPUTE_PGM_RSRC2:USER_SGPR: 2
; COMPUTE_PGM_RSRC2:TRAP_HANDLER: 0
; COMPUTE_PGM_RSRC2:TGID_X_EN: 1
; COMPUTE_PGM_RSRC2:TGID_Y_EN: 1
; COMPUTE_PGM_RSRC2:TGID_Z_EN: 1
; COMPUTE_PGM_RSRC2:TIDIG_COMP_CNT: 1
; COMPUTE_PGM_RSRC3_GFX90A:ACCUM_OFFSET: 15
; COMPUTE_PGM_RSRC3_GFX90A:TG_SPLIT: 0
	.section	.text._ZL29rocblas_internal_gemmt_kernelIiLi16ELi32ELi8ELc78ELc84ELc76ELb0ELb0E19rocblas_complex_numIdEPKS1_PKS3_PKPS1_EviT_T9_T10_S9_lSB_S9_lSA_T11_S9_li,"axG",@progbits,_ZL29rocblas_internal_gemmt_kernelIiLi16ELi32ELi8ELc78ELc84ELc76ELb0ELb0E19rocblas_complex_numIdEPKS1_PKS3_PKPS1_EviT_T9_T10_S9_lSB_S9_lSA_T11_S9_li,comdat
	.globl	_ZL29rocblas_internal_gemmt_kernelIiLi16ELi32ELi8ELc78ELc84ELc76ELb0ELb0E19rocblas_complex_numIdEPKS1_PKS3_PKPS1_EviT_T9_T10_S9_lSB_S9_lSA_T11_S9_li ; -- Begin function _ZL29rocblas_internal_gemmt_kernelIiLi16ELi32ELi8ELc78ELc84ELc76ELb0ELb0E19rocblas_complex_numIdEPKS1_PKS3_PKPS1_EviT_T9_T10_S9_lSB_S9_lSA_T11_S9_li
	.p2align	8
	.type	_ZL29rocblas_internal_gemmt_kernelIiLi16ELi32ELi8ELc78ELc84ELc76ELb0ELb0E19rocblas_complex_numIdEPKS1_PKS3_PKPS1_EviT_T9_T10_S9_lSB_S9_lSA_T11_S9_li,@function
_ZL29rocblas_internal_gemmt_kernelIiLi16ELi32ELi8ELc78ELc84ELc76ELb0ELb0E19rocblas_complex_numIdEPKS1_PKS3_PKPS1_EviT_T9_T10_S9_lSB_S9_lSA_T11_S9_li: ; @_ZL29rocblas_internal_gemmt_kernelIiLi16ELi32ELi8ELc78ELc84ELc76ELb0ELb0E19rocblas_complex_numIdEPKS1_PKS3_PKPS1_EviT_T9_T10_S9_lSB_S9_lSA_T11_S9_li
; %bb.0:
	s_load_dwordx4 s[16:19], s[0:1], 0x38
	s_load_dwordx4 s[20:23], s[0:1], 0x8
	s_mov_b64 s[24:25], 0
	s_waitcnt lgkmcnt(0)
	s_load_dwordx4 s[8:11], s[18:19], 0x0
	s_load_dwordx2 s[6:7], s[0:1], 0x0
	s_load_dwordx4 s[12:15], s[20:21], 0x0
	s_waitcnt lgkmcnt(0)
	v_cmp_eq_f64_e64 s[20:21], s[8:9], 1.0
	v_cmp_eq_f64_e64 s[18:19], s[10:11], 0
	s_and_b64 s[20:21], s[20:21], s[18:19]
	s_andn2_b64 vcc, exec, s[20:21]
	s_mov_b64 s[20:21], -1
	s_cbranch_vccnz .LBB406_4
; %bb.1:
	s_cmp_lg_u32 s7, 0
	s_cbranch_scc0 .LBB406_3
; %bb.2:
	v_cmp_neq_f64_e64 s[20:21], s[12:13], 0
	v_cmp_neq_f64_e64 s[24:25], s[14:15], 0
	s_or_b64 s[24:25], s[20:21], s[24:25]
.LBB406_3:
	s_mov_b64 s[20:21], s[24:25]
.LBB406_4:
	s_and_b64 vcc, exec, s[20:21]
	s_cbranch_vccz .LBB406_32
; %bb.5:
	s_load_dwordx2 s[20:21], s[0:1], 0x48
	s_mov_b32 s5, 0
	s_lshl_b64 s[24:25], s[4:5], 3
	v_cmp_eq_f64_e64 s[26:27], s[14:15], 0
	v_and_b32_e32 v20, 0x3ff, v0
	s_waitcnt lgkmcnt(0)
	s_add_u32 s20, s20, s24
	s_addc_u32 s21, s21, s25
	s_lshl_b32 s4, s2, 5
	s_lshl_b32 s28, s3, 5
	v_cmp_eq_f64_e64 s[2:3], s[12:13], 0
	s_load_dwordx2 s[20:21], s[20:21], 0x0
	s_and_b64 s[2:3], s[2:3], s[26:27]
	s_cmp_lt_i32 s7, 1
	s_cselect_b64 s[26:27], -1, 0
	s_or_b64 s[2:3], s[2:3], s[26:27]
	v_bfe_u32 v21, v0, 10, 10
	v_mov_b64_e32 v[16:17], 0
	s_and_b64 vcc, exec, s[2:3]
	v_mov_b64_e32 v[18:19], 0
	v_mov_b64_e32 v[12:13], 0
	;; [unrolled: 1-line block ×7, first 2 shown]
	s_cbranch_vccnz .LBB406_16
; %bb.6:
	s_load_dword s26, s[0:1], 0x18
	s_load_dwordx4 s[36:39], s[0:1], 0x20
	s_load_dword s30, s[0:1], 0x30
	v_lshl_add_u32 v0, v21, 4, v20
	v_and_b32_e32 v4, 31, v0
	v_lshrrev_b32_e32 v23, 5, v0
	v_lshrrev_b32_e32 v1, 3, v0
	v_or_b32_e32 v0, s4, v4
	v_and_b32_e32 v22, 7, v20
	s_waitcnt lgkmcnt(0)
	s_ashr_i32 s27, s26, 31
	s_ashr_i32 s31, s30, 31
	v_cmp_gt_i32_e32 vcc, s6, v0
	v_lshlrev_b32_e32 v0, 4, v4
	s_add_u32 s2, s38, s24
	v_lshl_or_b32 v24, v23, 9, v0
	v_lshlrev_b32_e32 v0, 4, v22
	s_addc_u32 s3, s39, s25
	v_lshl_or_b32 v0, v1, 7, v0
	s_load_dwordx2 s[34:35], s[2:3], 0x0
	s_add_u32 s2, s22, s24
	v_add_u32_e32 v25, 0x1000, v0
	v_mov_b32_e32 v0, 0x1000
	v_add_u32_e32 v2, s28, v1
	s_addc_u32 s3, s23, s25
	v_lshl_add_u32 v27, v21, 7, v0
	v_mad_i64_i32 v[0:1], s[24:25], v23, s26, 0
	s_load_dwordx2 s[22:23], s[2:3], 0x0
	s_lshl_b64 s[24:25], s[36:37], 4
	v_add_u32_e32 v4, s4, v4
	v_lshl_add_u64 v[0:1], v[0:1], 4, s[24:25]
	v_ashrrev_i32_e32 v5, 31, v4
	v_lshl_add_u64 v[0:1], v[4:5], 4, v[0:1]
	v_mad_i64_i32 v[4:5], s[24:25], s30, v22, 0
	s_lshl_b64 s[16:17], s[16:17], 4
	v_ashrrev_i32_e32 v3, 31, v2
	v_lshl_add_u64 v[4:5], v[4:5], 4, s[16:17]
	v_cmp_gt_i32_e64 s[2:3], s6, v2
	v_lshl_add_u64 v[2:3], v[2:3], 4, v[4:5]
	v_mov_b32_e32 v28, 0
	v_lshlrev_b32_e32 v26, 4, v20
	s_waitcnt lgkmcnt(0)
	v_lshl_add_u64 v[0:1], s[22:23], 0, v[0:1]
	s_lshl_b64 s[22:23], s[26:27], 7
	v_lshl_add_u64 v[2:3], s[34:35], 0, v[2:3]
	s_lshl_b64 s[16:17], s[30:31], 7
	v_mov_b64_e32 v[4:5], 0
	s_xor_b64 s[24:25], vcc, -1
	s_xor_b64 s[2:3], s[2:3], -1
	v_mov_b32_e32 v29, v28
	v_mov_b32_e32 v30, v28
	v_mov_b32_e32 v31, v28
	v_mov_b64_e32 v[6:7], 0
	v_mov_b64_e32 v[10:11], 0
	;; [unrolled: 1-line block ×7, first 2 shown]
	s_branch .LBB406_8
.LBB406_7:                              ;   in Loop: Header=BB406_8 Depth=1
	s_or_b64 exec, exec, s[26:27]
	s_waitcnt lgkmcnt(0)
	s_barrier
	ds_read_b128 v[32:35], v26
	ds_read_b128 v[36:39], v27
	ds_read_b128 v[40:43], v27 offset:16
	ds_read_b128 v[44:47], v27 offset:32
	;; [unrolled: 1-line block ×4, first 2 shown]
	s_waitcnt lgkmcnt(4)
	v_mul_f64 v[56:57], v[38:39], v[34:35]
	v_fma_f64 v[56:57], v[36:37], v[32:33], -v[56:57]
	v_mul_f64 v[58:59], v[36:37], v[34:35]
	v_fmac_f64_e32 v[58:59], v[38:39], v[32:33]
	v_add_f64 v[56:57], v[16:17], v[56:57]
	s_waitcnt lgkmcnt(0)
	v_mul_f64 v[16:17], v[38:39], v[54:55]
	v_add_f64 v[58:59], v[58:59], v[18:19]
	v_fma_f64 v[60:61], v[36:37], v[52:53], -v[16:17]
	ds_read_b128 v[16:19], v27 offset:2048
	v_mul_f64 v[36:37], v[36:37], v[54:55]
	v_fmac_f64_e32 v[36:37], v[38:39], v[52:53]
	v_add_f64 v[38:39], v[12:13], v[60:61]
	v_add_f64 v[36:37], v[36:37], v[14:15]
	ds_read_b128 v[12:15], v27 offset:2064
	s_waitcnt lgkmcnt(1)
	v_mul_f64 v[60:61], v[18:19], v[34:35]
	v_fma_f64 v[60:61], v[16:17], v[32:33], -v[60:61]
	v_mul_f64 v[34:35], v[16:17], v[34:35]
	v_fmac_f64_e32 v[34:35], v[18:19], v[32:33]
	v_add_f64 v[32:33], v[8:9], v[60:61]
	v_mul_f64 v[8:9], v[18:19], v[54:55]
	v_add_f64 v[34:35], v[34:35], v[10:11]
	v_fma_f64 v[60:61], v[16:17], v[52:53], -v[8:9]
	v_mul_f64 v[16:17], v[16:17], v[54:55]
	ds_read_b128 v[8:11], v26 offset:512
	v_fmac_f64_e32 v[16:17], v[18:19], v[52:53]
	v_add_f64 v[18:19], v[6:7], v[60:61]
	v_add_f64 v[16:17], v[16:17], v[4:5]
	ds_read_b128 v[4:7], v26 offset:768
	s_waitcnt lgkmcnt(1)
	v_mul_f64 v[52:53], v[42:43], v[10:11]
	v_fma_f64 v[52:53], v[40:41], v[8:9], -v[52:53]
	v_add_f64 v[52:53], v[56:57], v[52:53]
	v_mul_f64 v[54:55], v[40:41], v[10:11]
	s_waitcnt lgkmcnt(0)
	v_mul_f64 v[56:57], v[42:43], v[6:7]
	v_fma_f64 v[56:57], v[40:41], v[4:5], -v[56:57]
	v_mul_f64 v[40:41], v[40:41], v[6:7]
	v_fmac_f64_e32 v[40:41], v[42:43], v[4:5]
	v_add_f64 v[36:37], v[40:41], v[36:37]
	v_mul_f64 v[40:41], v[14:15], v[10:11]
	v_mul_f64 v[10:11], v[12:13], v[10:11]
	v_fmac_f64_e32 v[54:55], v[42:43], v[8:9]
	v_fma_f64 v[40:41], v[12:13], v[8:9], -v[40:41]
	v_fmac_f64_e32 v[10:11], v[14:15], v[8:9]
	v_mul_f64 v[8:9], v[14:15], v[6:7]
	v_add_f64 v[42:43], v[10:11], v[34:35]
	v_fma_f64 v[10:11], v[12:13], v[4:5], -v[8:9]
	v_mul_f64 v[12:13], v[12:13], v[6:7]
	ds_read_b128 v[6:9], v26 offset:1024
	v_fmac_f64_e32 v[12:13], v[14:15], v[4:5]
	v_add_f64 v[38:39], v[38:39], v[56:57]
	v_add_f64 v[18:19], v[18:19], v[10:11]
	;; [unrolled: 1-line block ×3, first 2 shown]
	ds_read_b128 v[10:13], v26 offset:1280
	s_waitcnt lgkmcnt(1)
	v_mul_f64 v[14:15], v[44:45], v[8:9]
	v_add_f64 v[54:55], v[54:55], v[58:59]
	v_fmac_f64_e32 v[14:15], v[46:47], v[6:7]
	v_add_f64 v[54:55], v[14:15], v[54:55]
	ds_read_b128 v[14:17], v27 offset:2080
	v_mul_f64 v[4:5], v[46:47], v[8:9]
	v_fma_f64 v[4:5], v[44:45], v[6:7], -v[4:5]
	v_add_f64 v[40:41], v[32:33], v[40:41]
	v_add_f64 v[52:53], v[52:53], v[4:5]
	s_waitcnt lgkmcnt(1)
	v_mul_f64 v[4:5], v[46:47], v[12:13]
	v_mul_f64 v[32:33], v[44:45], v[12:13]
	v_fma_f64 v[4:5], v[44:45], v[10:11], -v[4:5]
	v_fmac_f64_e32 v[32:33], v[46:47], v[10:11]
	v_add_f64 v[38:39], v[38:39], v[4:5]
	v_add_f64 v[36:37], v[32:33], v[36:37]
	ds_read_b128 v[32:35], v27 offset:2096
	s_waitcnt lgkmcnt(1)
	v_mul_f64 v[4:5], v[16:17], v[8:9]
	v_fma_f64 v[4:5], v[14:15], v[6:7], -v[4:5]
	v_mul_f64 v[8:9], v[14:15], v[8:9]
	v_fmac_f64_e32 v[8:9], v[16:17], v[6:7]
	v_add_f64 v[40:41], v[40:41], v[4:5]
	v_mul_f64 v[4:5], v[16:17], v[12:13]
	v_add_f64 v[42:43], v[8:9], v[42:43]
	v_fma_f64 v[8:9], v[14:15], v[10:11], -v[4:5]
	ds_read_b128 v[4:7], v26 offset:1536
	v_mul_f64 v[12:13], v[14:15], v[12:13]
	v_fmac_f64_e32 v[12:13], v[16:17], v[10:11]
	v_add_f64 v[14:15], v[18:19], v[8:9]
	ds_read_b128 v[8:11], v26 offset:1792
	s_waitcnt lgkmcnt(1)
	v_mul_f64 v[16:17], v[50:51], v[6:7]
	v_fma_f64 v[16:17], v[48:49], v[4:5], -v[16:17]
	v_mul_f64 v[18:19], v[48:49], v[6:7]
	v_fmac_f64_e32 v[18:19], v[50:51], v[4:5]
	v_add_f64 v[44:45], v[52:53], v[16:17]
	s_waitcnt lgkmcnt(0)
	v_mul_f64 v[16:17], v[50:51], v[10:11]
	v_add_f64 v[46:47], v[18:19], v[54:55]
	v_fma_f64 v[16:17], v[48:49], v[8:9], -v[16:17]
	v_mul_f64 v[18:19], v[48:49], v[10:11]
	v_fmac_f64_e32 v[18:19], v[50:51], v[8:9]
	v_add_f64 v[38:39], v[38:39], v[16:17]
	v_mul_f64 v[16:17], v[34:35], v[6:7]
	v_mul_f64 v[6:7], v[32:33], v[6:7]
	v_add_f64 v[36:37], v[18:19], v[36:37]
	v_fma_f64 v[16:17], v[32:33], v[4:5], -v[16:17]
	v_fmac_f64_e32 v[6:7], v[34:35], v[4:5]
	v_mul_f64 v[4:5], v[34:35], v[10:11]
	v_mul_f64 v[18:19], v[32:33], v[10:11]
	v_add_f64 v[40:41], v[40:41], v[16:17]
	v_add_f64 v[42:43], v[6:7], v[42:43]
	v_fma_f64 v[16:17], v[32:33], v[8:9], -v[4:5]
	v_fmac_f64_e32 v[18:19], v[34:35], v[8:9]
	ds_read_b128 v[4:7], v27 offset:64
	ds_read_b128 v[8:11], v26 offset:2048
	v_add_f64 v[12:13], v[12:13], v[56:57]
	v_add_f64 v[48:49], v[14:15], v[16:17]
	;; [unrolled: 1-line block ×3, first 2 shown]
	ds_read_b128 v[12:15], v26 offset:2304
	ds_read_b128 v[16:19], v27 offset:80
	s_waitcnt lgkmcnt(2)
	v_mul_f64 v[32:33], v[6:7], v[10:11]
	v_fma_f64 v[32:33], v[4:5], v[8:9], -v[32:33]
	v_mul_f64 v[34:35], v[4:5], v[10:11]
	v_fmac_f64_e32 v[34:35], v[6:7], v[8:9]
	v_add_f64 v[44:45], v[44:45], v[32:33]
	s_waitcnt lgkmcnt(1)
	v_mul_f64 v[32:33], v[6:7], v[14:15]
	v_add_f64 v[46:47], v[34:35], v[46:47]
	v_fma_f64 v[52:53], v[4:5], v[12:13], -v[32:33]
	ds_read_b128 v[32:35], v27 offset:2112
	v_mul_f64 v[4:5], v[4:5], v[14:15]
	v_fmac_f64_e32 v[4:5], v[6:7], v[12:13]
	v_add_f64 v[38:39], v[38:39], v[52:53]
	v_add_f64 v[36:37], v[4:5], v[36:37]
	ds_read_b128 v[4:7], v27 offset:2128
	s_waitcnt lgkmcnt(1)
	v_mul_f64 v[52:53], v[34:35], v[10:11]
	v_mul_f64 v[10:11], v[32:33], v[10:11]
	v_fma_f64 v[52:53], v[32:33], v[8:9], -v[52:53]
	v_fmac_f64_e32 v[10:11], v[34:35], v[8:9]
	v_mul_f64 v[8:9], v[34:35], v[14:15]
	v_add_f64 v[40:41], v[40:41], v[52:53]
	v_add_f64 v[42:43], v[10:11], v[42:43]
	v_fma_f64 v[52:53], v[32:33], v[12:13], -v[8:9]
	v_mul_f64 v[14:15], v[32:33], v[14:15]
	ds_read_b128 v[8:11], v26 offset:2560
	v_fmac_f64_e32 v[14:15], v[34:35], v[12:13]
	v_add_f64 v[34:35], v[14:15], v[50:51]
	ds_read_b128 v[12:15], v26 offset:2816
	v_add_f64 v[32:33], v[48:49], v[52:53]
	s_waitcnt lgkmcnt(1)
	v_mul_f64 v[48:49], v[18:19], v[10:11]
	v_fma_f64 v[48:49], v[16:17], v[8:9], -v[48:49]
	v_add_f64 v[44:45], v[44:45], v[48:49]
	s_waitcnt lgkmcnt(0)
	v_mul_f64 v[48:49], v[18:19], v[14:15]
	v_mul_f64 v[50:51], v[16:17], v[10:11]
	v_fma_f64 v[48:49], v[16:17], v[12:13], -v[48:49]
	v_mul_f64 v[16:17], v[16:17], v[14:15]
	v_fmac_f64_e32 v[16:17], v[18:19], v[12:13]
	v_add_f64 v[36:37], v[16:17], v[36:37]
	v_mul_f64 v[16:17], v[6:7], v[10:11]
	v_mul_f64 v[10:11], v[4:5], v[10:11]
	v_fmac_f64_e32 v[50:51], v[18:19], v[8:9]
	v_fma_f64 v[16:17], v[4:5], v[8:9], -v[16:17]
	v_fmac_f64_e32 v[10:11], v[6:7], v[8:9]
	v_mul_f64 v[8:9], v[6:7], v[14:15]
	v_mul_f64 v[14:15], v[4:5], v[14:15]
	v_add_f64 v[40:41], v[40:41], v[16:17]
	v_add_f64 v[42:43], v[10:11], v[42:43]
	v_fma_f64 v[16:17], v[4:5], v[12:13], -v[8:9]
	v_fmac_f64_e32 v[14:15], v[6:7], v[12:13]
	ds_read_b128 v[4:7], v27 offset:96
	ds_read_b128 v[8:11], v26 offset:3072
	v_add_f64 v[46:47], v[50:51], v[46:47]
	v_add_f64 v[38:39], v[38:39], v[48:49]
	;; [unrolled: 1-line block ×4, first 2 shown]
	ds_read_b128 v[12:15], v26 offset:3328
	ds_read_b128 v[32:35], v27 offset:112
	s_waitcnt lgkmcnt(2)
	v_mul_f64 v[16:17], v[6:7], v[10:11]
	v_fma_f64 v[16:17], v[4:5], v[8:9], -v[16:17]
	v_mul_f64 v[18:19], v[4:5], v[10:11]
	v_fmac_f64_e32 v[18:19], v[6:7], v[8:9]
	v_add_f64 v[44:45], v[44:45], v[16:17]
	s_waitcnt lgkmcnt(1)
	v_mul_f64 v[16:17], v[6:7], v[14:15]
	v_add_f64 v[46:47], v[18:19], v[46:47]
	v_fma_f64 v[52:53], v[4:5], v[12:13], -v[16:17]
	ds_read_b128 v[16:19], v27 offset:2144
	v_mul_f64 v[4:5], v[4:5], v[14:15]
	v_fmac_f64_e32 v[4:5], v[6:7], v[12:13]
	v_add_f64 v[54:55], v[4:5], v[36:37]
	ds_read_b128 v[4:7], v27 offset:2160
	s_waitcnt lgkmcnt(1)
	v_mul_f64 v[36:37], v[18:19], v[10:11]
	v_mul_f64 v[10:11], v[16:17], v[10:11]
	v_fma_f64 v[36:37], v[16:17], v[8:9], -v[36:37]
	v_fmac_f64_e32 v[10:11], v[18:19], v[8:9]
	v_mul_f64 v[8:9], v[18:19], v[14:15]
	v_add_f64 v[40:41], v[40:41], v[36:37]
	v_add_f64 v[42:43], v[10:11], v[42:43]
	v_fma_f64 v[36:37], v[16:17], v[12:13], -v[8:9]
	ds_read_b128 v[8:11], v26 offset:3584
	v_add_f64 v[52:53], v[38:39], v[52:53]
	v_add_f64 v[48:49], v[48:49], v[36:37]
	ds_read_b128 v[36:39], v26 offset:3840
	v_mul_f64 v[14:15], v[16:17], v[14:15]
	v_fmac_f64_e32 v[14:15], v[18:19], v[12:13]
	s_waitcnt lgkmcnt(1)
	v_mul_f64 v[12:13], v[34:35], v[10:11]
	v_add_f64 v[50:51], v[14:15], v[50:51]
	v_fma_f64 v[12:13], v[32:33], v[8:9], -v[12:13]
	v_mul_f64 v[14:15], v[32:33], v[10:11]
	v_fmac_f64_e32 v[14:15], v[34:35], v[8:9]
	v_add_f64 v[16:17], v[44:45], v[12:13]
	s_waitcnt lgkmcnt(0)
	v_mul_f64 v[12:13], v[34:35], v[38:39]
	v_add_f64 v[18:19], v[14:15], v[46:47]
	v_fma_f64 v[12:13], v[32:33], v[36:37], -v[12:13]
	v_mul_f64 v[14:15], v[32:33], v[38:39]
	v_mul_f64 v[32:33], v[6:7], v[10:11]
	v_fma_f64 v[32:33], v[4:5], v[8:9], -v[32:33]
	v_mul_f64 v[10:11], v[4:5], v[10:11]
	v_fmac_f64_e32 v[10:11], v[6:7], v[8:9]
	v_add_f64 v[8:9], v[40:41], v[32:33]
	v_mul_f64 v[32:33], v[6:7], v[38:39]
	v_fma_f64 v[32:33], v[4:5], v[36:37], -v[32:33]
	v_mul_f64 v[4:5], v[4:5], v[38:39]
	v_fmac_f64_e32 v[14:15], v[34:35], v[36:37]
	v_fmac_f64_e32 v[4:5], v[6:7], v[36:37]
	s_add_i32 s5, s5, 8
	v_add_f64 v[12:13], v[52:53], v[12:13]
	v_add_f64 v[14:15], v[14:15], v[54:55]
	;; [unrolled: 1-line block ×5, first 2 shown]
	v_lshl_add_u64 v[0:1], v[0:1], 0, s[22:23]
	s_cmp_lt_i32 s5, s7
	v_lshl_add_u64 v[2:3], v[2:3], 0, s[16:17]
	s_barrier
	s_cbranch_scc0 .LBB406_16
.LBB406_8:                              ; =>This Inner Loop Header: Depth=1
	v_add_u32_e32 v32, s5, v23
	v_cmp_le_i32_e32 vcc, s7, v32
	s_or_b64 s[26:27], s[24:25], vcc
	s_and_saveexec_b64 s[30:31], s[26:27]
	s_xor_b64 s[26:27], exec, s[30:31]
; %bb.9:                                ;   in Loop: Header=BB406_8 Depth=1
	ds_write_b128 v24, v[28:31]
; %bb.10:                               ;   in Loop: Header=BB406_8 Depth=1
	s_andn2_saveexec_b64 s[26:27], s[26:27]
	s_cbranch_execz .LBB406_12
; %bb.11:                               ;   in Loop: Header=BB406_8 Depth=1
	flat_load_dwordx4 v[32:35], v[0:1]
	s_waitcnt vmcnt(0) lgkmcnt(0)
	ds_write2_b64 v24, v[32:33], v[34:35] offset1:1
.LBB406_12:                             ;   in Loop: Header=BB406_8 Depth=1
	s_or_b64 exec, exec, s[26:27]
	v_add_u32_e32 v32, s5, v22
	v_cmp_le_i32_e32 vcc, s7, v32
	s_or_b64 s[26:27], vcc, s[2:3]
	s_and_saveexec_b64 s[30:31], s[26:27]
	s_xor_b64 s[26:27], exec, s[30:31]
; %bb.13:                               ;   in Loop: Header=BB406_8 Depth=1
	ds_write_b128 v25, v[28:31]
; %bb.14:                               ;   in Loop: Header=BB406_8 Depth=1
	s_andn2_saveexec_b64 s[26:27], s[26:27]
	s_cbranch_execz .LBB406_7
; %bb.15:                               ;   in Loop: Header=BB406_8 Depth=1
	flat_load_dwordx4 v[32:35], v[2:3]
	s_waitcnt vmcnt(0) lgkmcnt(0)
	ds_write2_b64 v25, v[32:33], v[34:35] offset1:1
	s_branch .LBB406_7
.LBB406_16:
	s_load_dwordx2 s[2:3], s[0:1], 0x58
	s_load_dword s22, s[0:1], 0x50
	v_add_u32_e32 v20, s4, v20
	v_add_u32_e32 v24, s28, v21
	v_cmp_neq_f64_e64 s[0:1], s[8:9], 0
	s_waitcnt lgkmcnt(0)
	s_lshl_b64 s[2:3], s[2:3], 4
	s_add_u32 s16, s20, s2
	s_addc_u32 s17, s21, s3
	s_xor_b64 s[4:5], s[18:19], -1
	v_mad_i64_i32 v[0:1], s[2:3], v24, s22, 0
	s_or_b64 s[0:1], s[0:1], s[4:5]
	v_lshl_add_u64 v[22:23], v[0:1], 4, s[16:17]
	v_cmp_le_i32_e32 vcc, v24, v20
	v_cmp_gt_i32_e64 s[2:3], s6, v20
	v_cndmask_b32_e64 v0, 0, 1, s[0:1]
	s_and_b64 s[18:19], vcc, s[2:3]
	v_ashrrev_i32_e32 v21, 31, v20
	v_cmp_ne_u32_e64 s[0:1], 1, v0
	s_and_saveexec_b64 s[4:5], s[18:19]
	s_cbranch_execz .LBB406_20
; %bb.17:
	v_mul_f64 v[0:1], s[14:15], v[18:19]
	v_mul_f64 v[2:3], s[12:13], v[18:19]
	v_fma_f64 v[0:1], s[12:13], v[16:17], -v[0:1]
	v_fmac_f64_e32 v[2:3], s[14:15], v[16:17]
	s_and_b64 vcc, exec, s[0:1]
	v_lshl_add_u64 v[16:17], v[20:21], 4, v[22:23]
	s_cbranch_vccnz .LBB406_19
; %bb.18:
	flat_load_dwordx4 v[26:29], v[16:17]
	s_waitcnt vmcnt(0) lgkmcnt(0)
	v_mul_f64 v[18:19], s[10:11], v[28:29]
	v_mul_f64 v[28:29], s[8:9], v[28:29]
	v_fma_f64 v[18:19], s[8:9], v[26:27], -v[18:19]
	v_fmac_f64_e32 v[28:29], s[10:11], v[26:27]
	v_add_f64 v[0:1], v[0:1], v[18:19]
	v_add_f64 v[2:3], v[2:3], v[28:29]
.LBB406_19:
	flat_store_dwordx4 v[16:17], v[0:3]
.LBB406_20:
	s_or_b64 exec, exec, s[4:5]
	v_add_u32_e32 v16, 16, v20
	v_cmp_le_i32_e32 vcc, v24, v16
	v_cmp_gt_i32_e64 s[4:5], s6, v16
	s_and_b64 s[18:19], vcc, s[4:5]
	v_ashrrev_i32_e32 v17, 31, v16
	s_and_saveexec_b64 s[6:7], s[18:19]
	s_cbranch_execz .LBB406_24
; %bb.21:
	v_mul_f64 v[0:1], s[14:15], v[14:15]
	v_mul_f64 v[2:3], s[12:13], v[14:15]
	v_fma_f64 v[0:1], s[12:13], v[12:13], -v[0:1]
	v_fmac_f64_e32 v[2:3], s[14:15], v[12:13]
	s_and_b64 vcc, exec, s[0:1]
	v_lshl_add_u64 v[12:13], v[16:17], 4, v[22:23]
	s_cbranch_vccnz .LBB406_23
; %bb.22:
	flat_load_dwordx4 v[26:29], v[12:13]
	s_waitcnt vmcnt(0) lgkmcnt(0)
	v_mul_f64 v[14:15], s[10:11], v[28:29]
	v_mul_f64 v[18:19], s[8:9], v[28:29]
	v_fma_f64 v[14:15], s[8:9], v[26:27], -v[14:15]
	v_fmac_f64_e32 v[18:19], s[10:11], v[26:27]
	v_add_f64 v[0:1], v[0:1], v[14:15]
	v_add_f64 v[2:3], v[2:3], v[18:19]
.LBB406_23:
	flat_store_dwordx4 v[12:13], v[0:3]
.LBB406_24:
	s_or_b64 exec, exec, s[6:7]
	v_add_u32_e32 v14, 16, v24
	v_mad_i64_i32 v[0:1], s[6:7], v14, s22, 0
	v_cmp_le_i32_e32 vcc, v14, v20
	v_lshl_add_u64 v[12:13], v[0:1], 4, s[16:17]
	s_and_b64 s[6:7], vcc, s[2:3]
	s_and_saveexec_b64 s[2:3], s[6:7]
	s_cbranch_execz .LBB406_28
; %bb.25:
	v_mul_f64 v[0:1], s[14:15], v[10:11]
	v_mul_f64 v[2:3], s[12:13], v[10:11]
	v_fma_f64 v[0:1], s[12:13], v[8:9], -v[0:1]
	v_fmac_f64_e32 v[2:3], s[14:15], v[8:9]
	s_and_b64 vcc, exec, s[0:1]
	v_lshl_add_u64 v[8:9], v[20:21], 4, v[12:13]
	s_cbranch_vccnz .LBB406_27
; %bb.26:
	flat_load_dwordx4 v[18:21], v[8:9]
	s_waitcnt vmcnt(0) lgkmcnt(0)
	v_mul_f64 v[10:11], s[10:11], v[20:21]
	v_mul_f64 v[20:21], s[8:9], v[20:21]
	v_fma_f64 v[10:11], s[8:9], v[18:19], -v[10:11]
	v_fmac_f64_e32 v[20:21], s[10:11], v[18:19]
	v_add_f64 v[0:1], v[0:1], v[10:11]
	v_add_f64 v[2:3], v[2:3], v[20:21]
.LBB406_27:
	flat_store_dwordx4 v[8:9], v[0:3]
.LBB406_28:
	s_or_b64 exec, exec, s[2:3]
	v_cmp_le_i32_e32 vcc, v14, v16
	s_and_b64 s[2:3], vcc, s[4:5]
	s_and_saveexec_b64 s[4:5], s[2:3]
	s_cbranch_execz .LBB406_32
; %bb.29:
	v_mul_f64 v[0:1], s[14:15], v[4:5]
	v_mul_f64 v[2:3], s[12:13], v[4:5]
	v_fma_f64 v[0:1], s[12:13], v[6:7], -v[0:1]
	v_fmac_f64_e32 v[2:3], s[14:15], v[6:7]
	s_and_b64 vcc, exec, s[0:1]
	v_lshl_add_u64 v[4:5], v[16:17], 4, v[12:13]
	s_cbranch_vccnz .LBB406_31
; %bb.30:
	flat_load_dwordx4 v[6:9], v[4:5]
	s_waitcnt vmcnt(0) lgkmcnt(0)
	v_mul_f64 v[10:11], s[10:11], v[8:9]
	v_mul_f64 v[8:9], s[8:9], v[8:9]
	v_fma_f64 v[10:11], s[8:9], v[6:7], -v[10:11]
	v_fmac_f64_e32 v[8:9], s[10:11], v[6:7]
	v_add_f64 v[0:1], v[0:1], v[10:11]
	v_add_f64 v[2:3], v[2:3], v[8:9]
.LBB406_31:
	flat_store_dwordx4 v[4:5], v[0:3]
.LBB406_32:
	s_endpgm
	.section	.rodata,"a",@progbits
	.p2align	6, 0x0
	.amdhsa_kernel _ZL29rocblas_internal_gemmt_kernelIiLi16ELi32ELi8ELc78ELc84ELc76ELb0ELb0E19rocblas_complex_numIdEPKS1_PKS3_PKPS1_EviT_T9_T10_S9_lSB_S9_lSA_T11_S9_li
		.amdhsa_group_segment_fixed_size 8192
		.amdhsa_private_segment_fixed_size 0
		.amdhsa_kernarg_size 100
		.amdhsa_user_sgpr_count 2
		.amdhsa_user_sgpr_dispatch_ptr 0
		.amdhsa_user_sgpr_queue_ptr 0
		.amdhsa_user_sgpr_kernarg_segment_ptr 1
		.amdhsa_user_sgpr_dispatch_id 0
		.amdhsa_user_sgpr_kernarg_preload_length 0
		.amdhsa_user_sgpr_kernarg_preload_offset 0
		.amdhsa_user_sgpr_private_segment_size 0
		.amdhsa_uses_dynamic_stack 0
		.amdhsa_enable_private_segment 0
		.amdhsa_system_sgpr_workgroup_id_x 1
		.amdhsa_system_sgpr_workgroup_id_y 1
		.amdhsa_system_sgpr_workgroup_id_z 1
		.amdhsa_system_sgpr_workgroup_info 0
		.amdhsa_system_vgpr_workitem_id 1
		.amdhsa_next_free_vgpr 62
		.amdhsa_next_free_sgpr 40
		.amdhsa_accum_offset 64
		.amdhsa_reserve_vcc 1
		.amdhsa_float_round_mode_32 0
		.amdhsa_float_round_mode_16_64 0
		.amdhsa_float_denorm_mode_32 3
		.amdhsa_float_denorm_mode_16_64 3
		.amdhsa_dx10_clamp 1
		.amdhsa_ieee_mode 1
		.amdhsa_fp16_overflow 0
		.amdhsa_tg_split 0
		.amdhsa_exception_fp_ieee_invalid_op 0
		.amdhsa_exception_fp_denorm_src 0
		.amdhsa_exception_fp_ieee_div_zero 0
		.amdhsa_exception_fp_ieee_overflow 0
		.amdhsa_exception_fp_ieee_underflow 0
		.amdhsa_exception_fp_ieee_inexact 0
		.amdhsa_exception_int_div_zero 0
	.end_amdhsa_kernel
	.section	.text._ZL29rocblas_internal_gemmt_kernelIiLi16ELi32ELi8ELc78ELc84ELc76ELb0ELb0E19rocblas_complex_numIdEPKS1_PKS3_PKPS1_EviT_T9_T10_S9_lSB_S9_lSA_T11_S9_li,"axG",@progbits,_ZL29rocblas_internal_gemmt_kernelIiLi16ELi32ELi8ELc78ELc84ELc76ELb0ELb0E19rocblas_complex_numIdEPKS1_PKS3_PKPS1_EviT_T9_T10_S9_lSB_S9_lSA_T11_S9_li,comdat
.Lfunc_end406:
	.size	_ZL29rocblas_internal_gemmt_kernelIiLi16ELi32ELi8ELc78ELc84ELc76ELb0ELb0E19rocblas_complex_numIdEPKS1_PKS3_PKPS1_EviT_T9_T10_S9_lSB_S9_lSA_T11_S9_li, .Lfunc_end406-_ZL29rocblas_internal_gemmt_kernelIiLi16ELi32ELi8ELc78ELc84ELc76ELb0ELb0E19rocblas_complex_numIdEPKS1_PKS3_PKPS1_EviT_T9_T10_S9_lSB_S9_lSA_T11_S9_li
                                        ; -- End function
	.set _ZL29rocblas_internal_gemmt_kernelIiLi16ELi32ELi8ELc78ELc84ELc76ELb0ELb0E19rocblas_complex_numIdEPKS1_PKS3_PKPS1_EviT_T9_T10_S9_lSB_S9_lSA_T11_S9_li.num_vgpr, 62
	.set _ZL29rocblas_internal_gemmt_kernelIiLi16ELi32ELi8ELc78ELc84ELc76ELb0ELb0E19rocblas_complex_numIdEPKS1_PKS3_PKPS1_EviT_T9_T10_S9_lSB_S9_lSA_T11_S9_li.num_agpr, 0
	.set _ZL29rocblas_internal_gemmt_kernelIiLi16ELi32ELi8ELc78ELc84ELc76ELb0ELb0E19rocblas_complex_numIdEPKS1_PKS3_PKPS1_EviT_T9_T10_S9_lSB_S9_lSA_T11_S9_li.numbered_sgpr, 40
	.set _ZL29rocblas_internal_gemmt_kernelIiLi16ELi32ELi8ELc78ELc84ELc76ELb0ELb0E19rocblas_complex_numIdEPKS1_PKS3_PKPS1_EviT_T9_T10_S9_lSB_S9_lSA_T11_S9_li.num_named_barrier, 0
	.set _ZL29rocblas_internal_gemmt_kernelIiLi16ELi32ELi8ELc78ELc84ELc76ELb0ELb0E19rocblas_complex_numIdEPKS1_PKS3_PKPS1_EviT_T9_T10_S9_lSB_S9_lSA_T11_S9_li.private_seg_size, 0
	.set _ZL29rocblas_internal_gemmt_kernelIiLi16ELi32ELi8ELc78ELc84ELc76ELb0ELb0E19rocblas_complex_numIdEPKS1_PKS3_PKPS1_EviT_T9_T10_S9_lSB_S9_lSA_T11_S9_li.uses_vcc, 1
	.set _ZL29rocblas_internal_gemmt_kernelIiLi16ELi32ELi8ELc78ELc84ELc76ELb0ELb0E19rocblas_complex_numIdEPKS1_PKS3_PKPS1_EviT_T9_T10_S9_lSB_S9_lSA_T11_S9_li.uses_flat_scratch, 0
	.set _ZL29rocblas_internal_gemmt_kernelIiLi16ELi32ELi8ELc78ELc84ELc76ELb0ELb0E19rocblas_complex_numIdEPKS1_PKS3_PKPS1_EviT_T9_T10_S9_lSB_S9_lSA_T11_S9_li.has_dyn_sized_stack, 0
	.set _ZL29rocblas_internal_gemmt_kernelIiLi16ELi32ELi8ELc78ELc84ELc76ELb0ELb0E19rocblas_complex_numIdEPKS1_PKS3_PKPS1_EviT_T9_T10_S9_lSB_S9_lSA_T11_S9_li.has_recursion, 0
	.set _ZL29rocblas_internal_gemmt_kernelIiLi16ELi32ELi8ELc78ELc84ELc76ELb0ELb0E19rocblas_complex_numIdEPKS1_PKS3_PKPS1_EviT_T9_T10_S9_lSB_S9_lSA_T11_S9_li.has_indirect_call, 0
	.section	.AMDGPU.csdata,"",@progbits
; Kernel info:
; codeLenInByte = 3132
; TotalNumSgprs: 46
; NumVgprs: 62
; NumAgprs: 0
; TotalNumVgprs: 62
; ScratchSize: 0
; MemoryBound: 0
; FloatMode: 240
; IeeeMode: 1
; LDSByteSize: 8192 bytes/workgroup (compile time only)
; SGPRBlocks: 5
; VGPRBlocks: 7
; NumSGPRsForWavesPerEU: 46
; NumVGPRsForWavesPerEU: 62
; AccumOffset: 64
; Occupancy: 8
; WaveLimiterHint : 1
; COMPUTE_PGM_RSRC2:SCRATCH_EN: 0
; COMPUTE_PGM_RSRC2:USER_SGPR: 2
; COMPUTE_PGM_RSRC2:TRAP_HANDLER: 0
; COMPUTE_PGM_RSRC2:TGID_X_EN: 1
; COMPUTE_PGM_RSRC2:TGID_Y_EN: 1
; COMPUTE_PGM_RSRC2:TGID_Z_EN: 1
; COMPUTE_PGM_RSRC2:TIDIG_COMP_CNT: 1
; COMPUTE_PGM_RSRC3_GFX90A:ACCUM_OFFSET: 15
; COMPUTE_PGM_RSRC3_GFX90A:TG_SPLIT: 0
	.section	.text._ZL29rocblas_internal_gemmt_kernelIiLi16ELi32ELi8ELc78ELc67ELc76ELb0ELb1E19rocblas_complex_numIdEPKS1_PKS3_PKPS1_EviT_T9_T10_S9_lSB_S9_lSA_T11_S9_li,"axG",@progbits,_ZL29rocblas_internal_gemmt_kernelIiLi16ELi32ELi8ELc78ELc67ELc76ELb0ELb1E19rocblas_complex_numIdEPKS1_PKS3_PKPS1_EviT_T9_T10_S9_lSB_S9_lSA_T11_S9_li,comdat
	.globl	_ZL29rocblas_internal_gemmt_kernelIiLi16ELi32ELi8ELc78ELc67ELc76ELb0ELb1E19rocblas_complex_numIdEPKS1_PKS3_PKPS1_EviT_T9_T10_S9_lSB_S9_lSA_T11_S9_li ; -- Begin function _ZL29rocblas_internal_gemmt_kernelIiLi16ELi32ELi8ELc78ELc67ELc76ELb0ELb1E19rocblas_complex_numIdEPKS1_PKS3_PKPS1_EviT_T9_T10_S9_lSB_S9_lSA_T11_S9_li
	.p2align	8
	.type	_ZL29rocblas_internal_gemmt_kernelIiLi16ELi32ELi8ELc78ELc67ELc76ELb0ELb1E19rocblas_complex_numIdEPKS1_PKS3_PKPS1_EviT_T9_T10_S9_lSB_S9_lSA_T11_S9_li,@function
_ZL29rocblas_internal_gemmt_kernelIiLi16ELi32ELi8ELc78ELc67ELc76ELb0ELb1E19rocblas_complex_numIdEPKS1_PKS3_PKPS1_EviT_T9_T10_S9_lSB_S9_lSA_T11_S9_li: ; @_ZL29rocblas_internal_gemmt_kernelIiLi16ELi32ELi8ELc78ELc67ELc76ELb0ELb1E19rocblas_complex_numIdEPKS1_PKS3_PKPS1_EviT_T9_T10_S9_lSB_S9_lSA_T11_S9_li
; %bb.0:
	s_load_dwordx4 s[16:19], s[0:1], 0x38
	s_load_dwordx4 s[20:23], s[0:1], 0x8
	s_mov_b64 s[24:25], 0
	s_waitcnt lgkmcnt(0)
	s_load_dwordx4 s[8:11], s[18:19], 0x0
	s_load_dwordx2 s[6:7], s[0:1], 0x0
	s_load_dwordx4 s[12:15], s[20:21], 0x0
	s_waitcnt lgkmcnt(0)
	v_cmp_eq_f64_e64 s[20:21], s[8:9], 1.0
	v_cmp_eq_f64_e64 s[18:19], s[10:11], 0
	s_and_b64 s[20:21], s[20:21], s[18:19]
	s_andn2_b64 vcc, exec, s[20:21]
	s_mov_b64 s[20:21], -1
	s_cbranch_vccnz .LBB407_4
; %bb.1:
	s_cmp_lg_u32 s7, 0
	s_cbranch_scc0 .LBB407_3
; %bb.2:
	v_cmp_neq_f64_e64 s[20:21], s[12:13], 0
	v_cmp_neq_f64_e64 s[24:25], s[14:15], 0
	s_or_b64 s[24:25], s[20:21], s[24:25]
.LBB407_3:
	s_mov_b64 s[20:21], s[24:25]
.LBB407_4:
	s_and_b64 vcc, exec, s[20:21]
	s_cbranch_vccz .LBB407_30
; %bb.5:
	s_load_dwordx2 s[20:21], s[0:1], 0x48
	s_mov_b32 s5, 0
	s_lshl_b64 s[24:25], s[4:5], 3
	v_cmp_eq_f64_e64 s[28:29], s[14:15], 0
	v_and_b32_e32 v24, 0x3ff, v0
	s_waitcnt lgkmcnt(0)
	s_add_u32 s20, s20, s24
	s_addc_u32 s21, s21, s25
	s_lshl_b32 s4, s2, 5
	s_lshl_b32 s26, s3, 5
	v_cmp_eq_f64_e64 s[2:3], s[12:13], 0
	s_load_dwordx2 s[20:21], s[20:21], 0x0
	s_and_b64 s[2:3], s[2:3], s[28:29]
	s_cmp_lt_i32 s7, 1
	s_cselect_b64 s[28:29], -1, 0
	s_or_b64 s[2:3], s[2:3], s[28:29]
	v_bfe_u32 v25, v0, 10, 10
	v_mov_b64_e32 v[20:21], 0
	s_and_b64 vcc, exec, s[2:3]
	v_mov_b64_e32 v[22:23], 0
	v_mov_b64_e32 v[16:17], 0
	;; [unrolled: 1-line block ×7, first 2 shown]
	s_cbranch_vccnz .LBB407_14
; %bb.6:
	s_load_dword s34, s[0:1], 0x18
	s_load_dwordx4 s[28:31], s[0:1], 0x20
	s_load_dword s36, s[0:1], 0x30
	v_lshl_add_u32 v1, v25, 4, v24
	v_and_b32_e32 v4, 31, v1
	s_waitcnt lgkmcnt(0)
	s_ashr_i32 s35, s34, 31
	v_lshrrev_b32_e32 v27, 5, v1
	s_ashr_i32 s37, s36, 31
	s_add_u32 s2, s30, s24
	s_addc_u32 s3, s31, s25
	s_load_dwordx2 s[30:31], s[2:3], 0x0
	s_add_u32 s2, s22, s24
	v_lshrrev_b32_e32 v2, 3, v1
	v_or_b32_e32 v1, s4, v4
	s_addc_u32 s3, s23, s25
	v_and_b32_e32 v26, 7, v24
	s_load_dwordx2 s[22:23], s[2:3], 0x0
	v_cmp_gt_i32_e64 s[2:3], s6, v1
	v_lshlrev_b32_e32 v1, 4, v4
	v_lshl_or_b32 v28, v27, 9, v1
	v_lshlrev_b32_e32 v1, 4, v26
	v_add_u32_e32 v0, s26, v2
	v_lshl_or_b32 v1, v2, 7, v1
	v_mov_b32_e32 v2, 0x1000
	v_lshl_add_u32 v31, v25, 7, v2
	v_mad_i64_i32 v[2:3], s[24:25], v27, s34, 0
	s_lshl_b64 s[24:25], s[28:29], 4
	v_add_u32_e32 v4, s4, v4
	v_lshl_add_u64 v[2:3], v[2:3], 4, s[24:25]
	v_ashrrev_i32_e32 v5, 31, v4
	v_lshl_add_u64 v[2:3], v[4:5], 4, v[2:3]
	s_waitcnt lgkmcnt(0)
	v_lshl_add_u64 v[4:5], s[22:23], 0, v[2:3]
	v_mad_i64_i32 v[2:3], s[24:25], s36, v26, 0
	s_lshl_b64 s[16:17], s[16:17], 4
	v_add_u32_e32 v29, 0x1000, v1
	v_ashrrev_i32_e32 v1, 31, v0
	v_lshl_add_u64 v[2:3], v[2:3], 4, s[16:17]
	v_cmp_gt_i32_e32 vcc, s6, v0
	v_lshl_add_u64 v[0:1], v[0:1], 4, v[2:3]
	v_mov_b32_e32 v32, 0
	v_lshlrev_b32_e32 v30, 4, v24
	s_lshl_b64 s[22:23], s[34:35], 7
	v_lshl_add_u64 v[6:7], s[30:31], 0, v[0:1]
	s_lshl_b64 s[16:17], s[36:37], 7
	v_mov_b64_e32 v[8:9], 0
	s_xor_b64 s[24:25], s[2:3], -1
	v_mov_b32_e32 v33, v32
	v_mov_b32_e32 v34, v32
	;; [unrolled: 1-line block ×3, first 2 shown]
	v_mov_b64_e32 v[10:11], 0
	v_mov_b64_e32 v[14:15], 0
	;; [unrolled: 1-line block ×7, first 2 shown]
	s_branch .LBB407_8
.LBB407_7:                              ;   in Loop: Header=BB407_8 Depth=1
	s_or_b64 exec, exec, s[2:3]
	ds_write_b128 v29, v[0:3]
	s_waitcnt lgkmcnt(0)
	s_barrier
	ds_read_b128 v[0:3], v30
	ds_read_b128 v[36:39], v31
	ds_read_b128 v[40:43], v31 offset:16
	ds_read_b128 v[44:47], v31 offset:32
	;; [unrolled: 1-line block ×4, first 2 shown]
	s_waitcnt lgkmcnt(4)
	v_mul_f64 v[56:57], v[38:39], v[2:3]
	v_fma_f64 v[56:57], v[36:37], v[0:1], -v[56:57]
	v_mul_f64 v[58:59], v[36:37], v[2:3]
	v_fmac_f64_e32 v[58:59], v[38:39], v[0:1]
	v_add_f64 v[56:57], v[20:21], v[56:57]
	s_waitcnt lgkmcnt(0)
	v_mul_f64 v[20:21], v[38:39], v[54:55]
	v_add_f64 v[58:59], v[58:59], v[22:23]
	v_fma_f64 v[60:61], v[36:37], v[52:53], -v[20:21]
	ds_read_b128 v[20:23], v31 offset:2048
	v_mul_f64 v[36:37], v[36:37], v[54:55]
	v_fmac_f64_e32 v[36:37], v[38:39], v[52:53]
	v_add_f64 v[38:39], v[16:17], v[60:61]
	v_add_f64 v[36:37], v[36:37], v[18:19]
	ds_read_b128 v[16:19], v31 offset:2064
	s_waitcnt lgkmcnt(1)
	v_mul_f64 v[60:61], v[22:23], v[2:3]
	v_mul_f64 v[2:3], v[20:21], v[2:3]
	v_fma_f64 v[60:61], v[20:21], v[0:1], -v[60:61]
	v_fmac_f64_e32 v[2:3], v[22:23], v[0:1]
	v_mul_f64 v[0:1], v[22:23], v[54:55]
	v_add_f64 v[12:13], v[12:13], v[60:61]
	v_add_f64 v[14:15], v[2:3], v[14:15]
	v_fma_f64 v[60:61], v[20:21], v[52:53], -v[0:1]
	v_mul_f64 v[20:21], v[20:21], v[54:55]
	ds_read_b128 v[0:3], v30 offset:512
	v_fmac_f64_e32 v[20:21], v[22:23], v[52:53]
	v_add_f64 v[22:23], v[10:11], v[60:61]
	v_add_f64 v[20:21], v[20:21], v[8:9]
	ds_read_b128 v[8:11], v30 offset:768
	s_waitcnt lgkmcnt(1)
	v_mul_f64 v[52:53], v[42:43], v[2:3]
	v_fma_f64 v[52:53], v[40:41], v[0:1], -v[52:53]
	v_add_f64 v[52:53], v[56:57], v[52:53]
	v_mul_f64 v[54:55], v[40:41], v[2:3]
	s_waitcnt lgkmcnt(0)
	v_mul_f64 v[56:57], v[42:43], v[10:11]
	v_fma_f64 v[56:57], v[40:41], v[8:9], -v[56:57]
	v_mul_f64 v[40:41], v[40:41], v[10:11]
	v_fmac_f64_e32 v[40:41], v[42:43], v[8:9]
	v_add_f64 v[36:37], v[40:41], v[36:37]
	v_mul_f64 v[40:41], v[18:19], v[2:3]
	v_mul_f64 v[2:3], v[16:17], v[2:3]
	v_fmac_f64_e32 v[54:55], v[42:43], v[0:1]
	v_fma_f64 v[40:41], v[16:17], v[0:1], -v[40:41]
	v_fmac_f64_e32 v[2:3], v[18:19], v[0:1]
	v_mul_f64 v[0:1], v[18:19], v[10:11]
	v_add_f64 v[40:41], v[12:13], v[40:41]
	v_add_f64 v[42:43], v[2:3], v[14:15]
	v_fma_f64 v[12:13], v[16:17], v[8:9], -v[0:1]
	v_mul_f64 v[10:11], v[16:17], v[10:11]
	ds_read_b128 v[0:3], v30 offset:1024
	v_fmac_f64_e32 v[10:11], v[18:19], v[8:9]
	v_add_f64 v[20:21], v[10:11], v[20:21]
	ds_read_b128 v[8:11], v30 offset:1280
	v_add_f64 v[22:23], v[22:23], v[12:13]
	s_waitcnt lgkmcnt(1)
	v_mul_f64 v[12:13], v[46:47], v[2:3]
	v_fma_f64 v[12:13], v[44:45], v[0:1], -v[12:13]
	v_mul_f64 v[14:15], v[44:45], v[2:3]
	v_add_f64 v[54:55], v[54:55], v[58:59]
	v_fmac_f64_e32 v[14:15], v[46:47], v[0:1]
	v_add_f64 v[52:53], v[52:53], v[12:13]
	s_waitcnt lgkmcnt(0)
	v_mul_f64 v[12:13], v[46:47], v[10:11]
	v_add_f64 v[54:55], v[14:15], v[54:55]
	v_fma_f64 v[16:17], v[44:45], v[8:9], -v[12:13]
	ds_read_b128 v[12:15], v31 offset:2080
	v_mul_f64 v[18:19], v[44:45], v[10:11]
	v_add_f64 v[38:39], v[38:39], v[56:57]
	v_fmac_f64_e32 v[18:19], v[46:47], v[8:9]
	v_add_f64 v[38:39], v[38:39], v[16:17]
	v_add_f64 v[36:37], v[18:19], v[36:37]
	ds_read_b128 v[16:19], v31 offset:2096
	s_waitcnt lgkmcnt(1)
	v_mul_f64 v[44:45], v[14:15], v[2:3]
	v_mul_f64 v[2:3], v[12:13], v[2:3]
	v_fma_f64 v[44:45], v[12:13], v[0:1], -v[44:45]
	v_fmac_f64_e32 v[2:3], v[14:15], v[0:1]
	v_mul_f64 v[0:1], v[14:15], v[10:11]
	v_mul_f64 v[10:11], v[12:13], v[10:11]
	v_fmac_f64_e32 v[10:11], v[14:15], v[8:9]
	v_add_f64 v[40:41], v[40:41], v[44:45]
	v_add_f64 v[42:43], v[2:3], v[42:43]
	v_fma_f64 v[44:45], v[12:13], v[8:9], -v[0:1]
	ds_read_b128 v[0:3], v30 offset:1536
	v_add_f64 v[14:15], v[10:11], v[20:21]
	ds_read_b128 v[8:11], v30 offset:1792
	v_add_f64 v[12:13], v[22:23], v[44:45]
	s_add_i32 s5, s5, 8
	s_waitcnt lgkmcnt(1)
	v_mul_f64 v[20:21], v[50:51], v[2:3]
	v_mul_f64 v[22:23], v[48:49], v[2:3]
	s_waitcnt lgkmcnt(0)
	v_mul_f64 v[44:45], v[50:51], v[10:11]
	v_fma_f64 v[44:45], v[48:49], v[8:9], -v[44:45]
	v_add_f64 v[38:39], v[38:39], v[44:45]
	v_mul_f64 v[44:45], v[18:19], v[2:3]
	v_mul_f64 v[2:3], v[16:17], v[2:3]
	v_fma_f64 v[20:21], v[48:49], v[0:1], -v[20:21]
	v_fmac_f64_e32 v[22:23], v[50:51], v[0:1]
	v_fma_f64 v[44:45], v[16:17], v[0:1], -v[44:45]
	v_fmac_f64_e32 v[2:3], v[18:19], v[0:1]
	v_mul_f64 v[0:1], v[18:19], v[10:11]
	v_mul_f64 v[46:47], v[48:49], v[10:11]
	v_add_f64 v[40:41], v[40:41], v[44:45]
	v_fma_f64 v[44:45], v[16:17], v[8:9], -v[0:1]
	v_mul_f64 v[16:17], v[16:17], v[10:11]
	v_fmac_f64_e32 v[46:47], v[50:51], v[8:9]
	v_add_f64 v[42:43], v[2:3], v[42:43]
	v_fmac_f64_e32 v[16:17], v[18:19], v[8:9]
	ds_read_b128 v[0:3], v31 offset:64
	ds_read_b128 v[8:11], v30 offset:2048
	v_add_f64 v[36:37], v[46:47], v[36:37]
	v_add_f64 v[44:45], v[12:13], v[44:45]
	v_add_f64 v[46:47], v[16:17], v[14:15]
	ds_read_b128 v[12:15], v30 offset:2304
	ds_read_b128 v[16:19], v31 offset:80
	s_waitcnt lgkmcnt(2)
	v_mul_f64 v[48:49], v[2:3], v[10:11]
	v_add_f64 v[20:21], v[52:53], v[20:21]
	v_fma_f64 v[48:49], v[0:1], v[8:9], -v[48:49]
	v_mul_f64 v[50:51], v[0:1], v[10:11]
	v_add_f64 v[22:23], v[22:23], v[54:55]
	v_fmac_f64_e32 v[50:51], v[2:3], v[8:9]
	v_add_f64 v[48:49], v[20:21], v[48:49]
	s_waitcnt lgkmcnt(1)
	v_mul_f64 v[20:21], v[2:3], v[14:15]
	v_add_f64 v[50:51], v[50:51], v[22:23]
	v_fma_f64 v[52:53], v[0:1], v[12:13], -v[20:21]
	ds_read_b128 v[20:23], v31 offset:2112
	v_mul_f64 v[0:1], v[0:1], v[14:15]
	v_fmac_f64_e32 v[0:1], v[2:3], v[12:13]
	v_add_f64 v[38:39], v[38:39], v[52:53]
	v_add_f64 v[36:37], v[0:1], v[36:37]
	ds_read_b128 v[0:3], v31 offset:2128
	s_waitcnt lgkmcnt(1)
	v_mul_f64 v[52:53], v[22:23], v[10:11]
	v_mul_f64 v[10:11], v[20:21], v[10:11]
	v_fma_f64 v[52:53], v[20:21], v[8:9], -v[52:53]
	v_fmac_f64_e32 v[10:11], v[22:23], v[8:9]
	v_mul_f64 v[8:9], v[22:23], v[14:15]
	v_add_f64 v[40:41], v[40:41], v[52:53]
	v_add_f64 v[42:43], v[10:11], v[42:43]
	v_fma_f64 v[52:53], v[20:21], v[12:13], -v[8:9]
	v_mul_f64 v[14:15], v[20:21], v[14:15]
	ds_read_b128 v[8:11], v30 offset:2560
	v_fmac_f64_e32 v[14:15], v[22:23], v[12:13]
	v_add_f64 v[22:23], v[14:15], v[46:47]
	ds_read_b128 v[12:15], v30 offset:2816
	v_add_f64 v[20:21], v[44:45], v[52:53]
	s_waitcnt lgkmcnt(1)
	v_mul_f64 v[44:45], v[18:19], v[10:11]
	v_fma_f64 v[44:45], v[16:17], v[8:9], -v[44:45]
	v_add_f64 v[44:45], v[48:49], v[44:45]
	s_waitcnt lgkmcnt(0)
	v_mul_f64 v[48:49], v[18:19], v[14:15]
	v_mul_f64 v[46:47], v[16:17], v[10:11]
	v_fma_f64 v[48:49], v[16:17], v[12:13], -v[48:49]
	v_mul_f64 v[16:17], v[16:17], v[14:15]
	v_fmac_f64_e32 v[16:17], v[18:19], v[12:13]
	v_add_f64 v[36:37], v[16:17], v[36:37]
	v_mul_f64 v[16:17], v[2:3], v[10:11]
	v_mul_f64 v[10:11], v[0:1], v[10:11]
	v_fmac_f64_e32 v[46:47], v[18:19], v[8:9]
	v_fma_f64 v[16:17], v[0:1], v[8:9], -v[16:17]
	v_fmac_f64_e32 v[10:11], v[2:3], v[8:9]
	v_mul_f64 v[8:9], v[2:3], v[14:15]
	v_mul_f64 v[14:15], v[0:1], v[14:15]
	v_add_f64 v[40:41], v[40:41], v[16:17]
	v_add_f64 v[42:43], v[10:11], v[42:43]
	v_fma_f64 v[16:17], v[0:1], v[12:13], -v[8:9]
	v_fmac_f64_e32 v[14:15], v[2:3], v[12:13]
	ds_read_b128 v[0:3], v31 offset:96
	ds_read_b128 v[8:11], v30 offset:3072
	v_add_f64 v[46:47], v[46:47], v[50:51]
	v_add_f64 v[38:39], v[38:39], v[48:49]
	;; [unrolled: 1-line block ×4, first 2 shown]
	ds_read_b128 v[12:15], v30 offset:3328
	ds_read_b128 v[16:19], v31 offset:112
	s_waitcnt lgkmcnt(2)
	v_mul_f64 v[20:21], v[2:3], v[10:11]
	v_fma_f64 v[20:21], v[0:1], v[8:9], -v[20:21]
	v_mul_f64 v[22:23], v[0:1], v[10:11]
	v_fmac_f64_e32 v[22:23], v[2:3], v[8:9]
	v_add_f64 v[44:45], v[44:45], v[20:21]
	s_waitcnt lgkmcnt(1)
	v_mul_f64 v[20:21], v[2:3], v[14:15]
	v_add_f64 v[46:47], v[22:23], v[46:47]
	v_fma_f64 v[52:53], v[0:1], v[12:13], -v[20:21]
	ds_read_b128 v[20:23], v31 offset:2144
	v_mul_f64 v[0:1], v[0:1], v[14:15]
	v_fmac_f64_e32 v[0:1], v[2:3], v[12:13]
	v_add_f64 v[54:55], v[0:1], v[36:37]
	ds_read_b128 v[0:3], v31 offset:2160
	s_waitcnt lgkmcnt(1)
	v_mul_f64 v[36:37], v[22:23], v[10:11]
	v_mul_f64 v[10:11], v[20:21], v[10:11]
	v_fma_f64 v[36:37], v[20:21], v[8:9], -v[36:37]
	v_fmac_f64_e32 v[10:11], v[22:23], v[8:9]
	v_mul_f64 v[8:9], v[22:23], v[14:15]
	v_add_f64 v[40:41], v[40:41], v[36:37]
	v_add_f64 v[42:43], v[10:11], v[42:43]
	v_fma_f64 v[36:37], v[20:21], v[12:13], -v[8:9]
	ds_read_b128 v[8:11], v30 offset:3584
	v_add_f64 v[52:53], v[38:39], v[52:53]
	v_add_f64 v[48:49], v[48:49], v[36:37]
	ds_read_b128 v[36:39], v30 offset:3840
	v_mul_f64 v[14:15], v[20:21], v[14:15]
	v_fmac_f64_e32 v[14:15], v[22:23], v[12:13]
	s_waitcnt lgkmcnt(1)
	v_mul_f64 v[12:13], v[18:19], v[10:11]
	v_fma_f64 v[12:13], v[16:17], v[8:9], -v[12:13]
	v_add_f64 v[50:51], v[14:15], v[50:51]
	v_mul_f64 v[14:15], v[16:17], v[10:11]
	v_add_f64 v[20:21], v[44:45], v[12:13]
	s_waitcnt lgkmcnt(0)
	v_mul_f64 v[12:13], v[18:19], v[38:39]
	v_fmac_f64_e32 v[14:15], v[18:19], v[8:9]
	v_fma_f64 v[12:13], v[16:17], v[36:37], -v[12:13]
	v_add_f64 v[22:23], v[14:15], v[46:47]
	v_mul_f64 v[14:15], v[16:17], v[38:39]
	v_add_f64 v[16:17], v[52:53], v[12:13]
	v_mul_f64 v[12:13], v[2:3], v[10:11]
	v_mul_f64 v[10:11], v[0:1], v[10:11]
	v_fma_f64 v[12:13], v[0:1], v[8:9], -v[12:13]
	v_fmac_f64_e32 v[10:11], v[2:3], v[8:9]
	v_mul_f64 v[8:9], v[2:3], v[38:39]
	v_fma_f64 v[8:9], v[0:1], v[36:37], -v[8:9]
	v_mul_f64 v[0:1], v[0:1], v[38:39]
	v_fmac_f64_e32 v[14:15], v[18:19], v[36:37]
	v_fmac_f64_e32 v[0:1], v[2:3], v[36:37]
	v_add_f64 v[18:19], v[14:15], v[54:55]
	v_add_f64 v[12:13], v[40:41], v[12:13]
	;; [unrolled: 1-line block ×5, first 2 shown]
	v_lshl_add_u64 v[4:5], v[4:5], 0, s[22:23]
	s_cmp_lt_i32 s5, s7
	v_lshl_add_u64 v[6:7], v[6:7], 0, s[16:17]
	s_barrier
	s_cbranch_scc0 .LBB407_14
.LBB407_8:                              ; =>This Inner Loop Header: Depth=1
	v_add_u32_e32 v0, s5, v27
	v_cmp_le_i32_e64 s[2:3], s7, v0
	s_or_b64 s[2:3], s[24:25], s[2:3]
	s_and_saveexec_b64 s[28:29], s[2:3]
	s_xor_b64 s[2:3], exec, s[28:29]
; %bb.9:                                ;   in Loop: Header=BB407_8 Depth=1
	ds_write_b128 v28, v[32:35]
; %bb.10:                               ;   in Loop: Header=BB407_8 Depth=1
	s_andn2_saveexec_b64 s[2:3], s[2:3]
	s_cbranch_execz .LBB407_12
; %bb.11:                               ;   in Loop: Header=BB407_8 Depth=1
	flat_load_dwordx4 v[0:3], v[4:5]
	s_waitcnt vmcnt(0) lgkmcnt(0)
	ds_write2_b64 v28, v[0:1], v[2:3] offset1:1
.LBB407_12:                             ;   in Loop: Header=BB407_8 Depth=1
	s_or_b64 exec, exec, s[2:3]
	v_add_u32_e32 v0, s5, v26
	v_cmp_gt_i32_e64 s[2:3], s7, v0
	s_and_b64 s[28:29], s[2:3], vcc
	v_mov_b64_e32 v[0:1], 0
	v_mov_b64_e32 v[2:3], 0
	s_and_saveexec_b64 s[2:3], s[28:29]
	s_cbranch_execz .LBB407_7
; %bb.13:                               ;   in Loop: Header=BB407_8 Depth=1
	flat_load_dwordx4 v[0:3], v[6:7]
	s_waitcnt vmcnt(0) lgkmcnt(0)
	v_xor_b32_e32 v3, 0x80000000, v3
	s_branch .LBB407_7
.LBB407_14:
	s_load_dwordx2 s[2:3], s[0:1], 0x58
	s_load_dword s22, s[0:1], 0x50
	v_add_u32_e32 v4, s4, v24
	v_add_u32_e32 v26, s26, v25
	v_cmp_neq_f64_e64 s[0:1], s[8:9], 0
	s_waitcnt lgkmcnt(0)
	s_lshl_b64 s[2:3], s[2:3], 4
	s_add_u32 s16, s20, s2
	s_addc_u32 s17, s21, s3
	s_xor_b64 s[4:5], s[18:19], -1
	v_mad_i64_i32 v[0:1], s[2:3], v26, s22, 0
	s_or_b64 s[0:1], s[0:1], s[4:5]
	v_lshl_add_u64 v[24:25], v[0:1], 4, s[16:17]
	v_cmp_le_i32_e32 vcc, v26, v4
	v_cmp_gt_i32_e64 s[2:3], s6, v4
	v_cndmask_b32_e64 v0, 0, 1, s[0:1]
	s_and_b64 s[18:19], vcc, s[2:3]
	v_ashrrev_i32_e32 v5, 31, v4
	v_cmp_ne_u32_e64 s[0:1], 1, v0
	s_and_saveexec_b64 s[4:5], s[18:19]
	s_cbranch_execz .LBB407_18
; %bb.15:
	v_mul_f64 v[0:1], s[14:15], v[22:23]
	v_mul_f64 v[2:3], s[12:13], v[22:23]
	v_fma_f64 v[0:1], s[12:13], v[20:21], -v[0:1]
	v_fmac_f64_e32 v[2:3], s[14:15], v[20:21]
	s_and_b64 vcc, exec, s[0:1]
	v_lshl_add_u64 v[6:7], v[4:5], 4, v[24:25]
	s_cbranch_vccnz .LBB407_17
; %bb.16:
	flat_load_dwordx4 v[20:23], v[6:7]
	s_waitcnt vmcnt(0) lgkmcnt(0)
	v_mul_f64 v[28:29], s[10:11], v[22:23]
	v_mul_f64 v[22:23], s[8:9], v[22:23]
	v_fma_f64 v[28:29], s[8:9], v[20:21], -v[28:29]
	v_fmac_f64_e32 v[22:23], s[10:11], v[20:21]
	v_add_f64 v[0:1], v[0:1], v[28:29]
	v_add_f64 v[2:3], v[2:3], v[22:23]
.LBB407_17:
	flat_store_dwordx4 v[6:7], v[0:3]
.LBB407_18:
	s_or_b64 exec, exec, s[4:5]
	v_add_u32_e32 v6, 16, v4
	v_cmp_le_i32_e32 vcc, v26, v6
	v_cmp_gt_i32_e64 s[4:5], s6, v6
	s_and_b64 s[18:19], vcc, s[4:5]
	v_ashrrev_i32_e32 v7, 31, v6
	s_and_saveexec_b64 s[6:7], s[18:19]
	s_cbranch_execz .LBB407_22
; %bb.19:
	v_mul_f64 v[0:1], s[14:15], v[18:19]
	v_mul_f64 v[2:3], s[12:13], v[18:19]
	v_fma_f64 v[0:1], s[12:13], v[16:17], -v[0:1]
	v_fmac_f64_e32 v[2:3], s[14:15], v[16:17]
	s_and_b64 vcc, exec, s[0:1]
	v_lshl_add_u64 v[16:17], v[6:7], 4, v[24:25]
	s_cbranch_vccnz .LBB407_21
; %bb.20:
	flat_load_dwordx4 v[18:21], v[16:17]
	s_waitcnt vmcnt(0) lgkmcnt(0)
	v_mul_f64 v[22:23], s[10:11], v[20:21]
	v_mul_f64 v[20:21], s[8:9], v[20:21]
	v_fma_f64 v[22:23], s[8:9], v[18:19], -v[22:23]
	v_fmac_f64_e32 v[20:21], s[10:11], v[18:19]
	v_add_f64 v[0:1], v[0:1], v[22:23]
	v_add_f64 v[2:3], v[2:3], v[20:21]
.LBB407_21:
	flat_store_dwordx4 v[16:17], v[0:3]
.LBB407_22:
	s_or_b64 exec, exec, s[6:7]
	v_add_u32_e32 v18, 16, v26
	v_mad_i64_i32 v[0:1], s[6:7], v18, s22, 0
	v_cmp_le_i32_e32 vcc, v18, v4
	v_lshl_add_u64 v[16:17], v[0:1], 4, s[16:17]
	s_and_b64 s[6:7], vcc, s[2:3]
	s_and_saveexec_b64 s[2:3], s[6:7]
	s_cbranch_execz .LBB407_26
; %bb.23:
	v_mul_f64 v[0:1], s[14:15], v[14:15]
	v_mul_f64 v[2:3], s[12:13], v[14:15]
	v_fma_f64 v[0:1], s[12:13], v[12:13], -v[0:1]
	v_fmac_f64_e32 v[2:3], s[14:15], v[12:13]
	s_and_b64 vcc, exec, s[0:1]
	v_lshl_add_u64 v[4:5], v[4:5], 4, v[16:17]
	s_cbranch_vccnz .LBB407_25
; %bb.24:
	flat_load_dwordx4 v[12:15], v[4:5]
	s_waitcnt vmcnt(0) lgkmcnt(0)
	v_mul_f64 v[20:21], s[10:11], v[14:15]
	v_mul_f64 v[14:15], s[8:9], v[14:15]
	v_fma_f64 v[20:21], s[8:9], v[12:13], -v[20:21]
	v_fmac_f64_e32 v[14:15], s[10:11], v[12:13]
	v_add_f64 v[0:1], v[0:1], v[20:21]
	v_add_f64 v[2:3], v[2:3], v[14:15]
.LBB407_25:
	flat_store_dwordx4 v[4:5], v[0:3]
.LBB407_26:
	s_or_b64 exec, exec, s[2:3]
	v_cmp_le_i32_e32 vcc, v18, v6
	s_and_b64 s[2:3], vcc, s[4:5]
	s_and_saveexec_b64 s[4:5], s[2:3]
	s_cbranch_execz .LBB407_30
; %bb.27:
	v_mul_f64 v[0:1], s[14:15], v[8:9]
	v_mul_f64 v[2:3], s[12:13], v[8:9]
	v_fma_f64 v[0:1], s[12:13], v[10:11], -v[0:1]
	v_fmac_f64_e32 v[2:3], s[14:15], v[10:11]
	s_and_b64 vcc, exec, s[0:1]
	v_lshl_add_u64 v[4:5], v[6:7], 4, v[16:17]
	s_cbranch_vccnz .LBB407_29
; %bb.28:
	flat_load_dwordx4 v[6:9], v[4:5]
	s_waitcnt vmcnt(0) lgkmcnt(0)
	v_mul_f64 v[10:11], s[10:11], v[8:9]
	v_mul_f64 v[8:9], s[8:9], v[8:9]
	v_fma_f64 v[10:11], s[8:9], v[6:7], -v[10:11]
	v_fmac_f64_e32 v[8:9], s[10:11], v[6:7]
	v_add_f64 v[0:1], v[0:1], v[10:11]
	v_add_f64 v[2:3], v[2:3], v[8:9]
.LBB407_29:
	flat_store_dwordx4 v[4:5], v[0:3]
.LBB407_30:
	s_endpgm
	.section	.rodata,"a",@progbits
	.p2align	6, 0x0
	.amdhsa_kernel _ZL29rocblas_internal_gemmt_kernelIiLi16ELi32ELi8ELc78ELc67ELc76ELb0ELb1E19rocblas_complex_numIdEPKS1_PKS3_PKPS1_EviT_T9_T10_S9_lSB_S9_lSA_T11_S9_li
		.amdhsa_group_segment_fixed_size 8192
		.amdhsa_private_segment_fixed_size 0
		.amdhsa_kernarg_size 100
		.amdhsa_user_sgpr_count 2
		.amdhsa_user_sgpr_dispatch_ptr 0
		.amdhsa_user_sgpr_queue_ptr 0
		.amdhsa_user_sgpr_kernarg_segment_ptr 1
		.amdhsa_user_sgpr_dispatch_id 0
		.amdhsa_user_sgpr_kernarg_preload_length 0
		.amdhsa_user_sgpr_kernarg_preload_offset 0
		.amdhsa_user_sgpr_private_segment_size 0
		.amdhsa_uses_dynamic_stack 0
		.amdhsa_enable_private_segment 0
		.amdhsa_system_sgpr_workgroup_id_x 1
		.amdhsa_system_sgpr_workgroup_id_y 1
		.amdhsa_system_sgpr_workgroup_id_z 1
		.amdhsa_system_sgpr_workgroup_info 0
		.amdhsa_system_vgpr_workitem_id 1
		.amdhsa_next_free_vgpr 62
		.amdhsa_next_free_sgpr 38
		.amdhsa_accum_offset 64
		.amdhsa_reserve_vcc 1
		.amdhsa_float_round_mode_32 0
		.amdhsa_float_round_mode_16_64 0
		.amdhsa_float_denorm_mode_32 3
		.amdhsa_float_denorm_mode_16_64 3
		.amdhsa_dx10_clamp 1
		.amdhsa_ieee_mode 1
		.amdhsa_fp16_overflow 0
		.amdhsa_tg_split 0
		.amdhsa_exception_fp_ieee_invalid_op 0
		.amdhsa_exception_fp_denorm_src 0
		.amdhsa_exception_fp_ieee_div_zero 0
		.amdhsa_exception_fp_ieee_overflow 0
		.amdhsa_exception_fp_ieee_underflow 0
		.amdhsa_exception_fp_ieee_inexact 0
		.amdhsa_exception_int_div_zero 0
	.end_amdhsa_kernel
	.section	.text._ZL29rocblas_internal_gemmt_kernelIiLi16ELi32ELi8ELc78ELc67ELc76ELb0ELb1E19rocblas_complex_numIdEPKS1_PKS3_PKPS1_EviT_T9_T10_S9_lSB_S9_lSA_T11_S9_li,"axG",@progbits,_ZL29rocblas_internal_gemmt_kernelIiLi16ELi32ELi8ELc78ELc67ELc76ELb0ELb1E19rocblas_complex_numIdEPKS1_PKS3_PKPS1_EviT_T9_T10_S9_lSB_S9_lSA_T11_S9_li,comdat
.Lfunc_end407:
	.size	_ZL29rocblas_internal_gemmt_kernelIiLi16ELi32ELi8ELc78ELc67ELc76ELb0ELb1E19rocblas_complex_numIdEPKS1_PKS3_PKPS1_EviT_T9_T10_S9_lSB_S9_lSA_T11_S9_li, .Lfunc_end407-_ZL29rocblas_internal_gemmt_kernelIiLi16ELi32ELi8ELc78ELc67ELc76ELb0ELb1E19rocblas_complex_numIdEPKS1_PKS3_PKPS1_EviT_T9_T10_S9_lSB_S9_lSA_T11_S9_li
                                        ; -- End function
	.set _ZL29rocblas_internal_gemmt_kernelIiLi16ELi32ELi8ELc78ELc67ELc76ELb0ELb1E19rocblas_complex_numIdEPKS1_PKS3_PKPS1_EviT_T9_T10_S9_lSB_S9_lSA_T11_S9_li.num_vgpr, 62
	.set _ZL29rocblas_internal_gemmt_kernelIiLi16ELi32ELi8ELc78ELc67ELc76ELb0ELb1E19rocblas_complex_numIdEPKS1_PKS3_PKPS1_EviT_T9_T10_S9_lSB_S9_lSA_T11_S9_li.num_agpr, 0
	.set _ZL29rocblas_internal_gemmt_kernelIiLi16ELi32ELi8ELc78ELc67ELc76ELb0ELb1E19rocblas_complex_numIdEPKS1_PKS3_PKPS1_EviT_T9_T10_S9_lSB_S9_lSA_T11_S9_li.numbered_sgpr, 38
	.set _ZL29rocblas_internal_gemmt_kernelIiLi16ELi32ELi8ELc78ELc67ELc76ELb0ELb1E19rocblas_complex_numIdEPKS1_PKS3_PKPS1_EviT_T9_T10_S9_lSB_S9_lSA_T11_S9_li.num_named_barrier, 0
	.set _ZL29rocblas_internal_gemmt_kernelIiLi16ELi32ELi8ELc78ELc67ELc76ELb0ELb1E19rocblas_complex_numIdEPKS1_PKS3_PKPS1_EviT_T9_T10_S9_lSB_S9_lSA_T11_S9_li.private_seg_size, 0
	.set _ZL29rocblas_internal_gemmt_kernelIiLi16ELi32ELi8ELc78ELc67ELc76ELb0ELb1E19rocblas_complex_numIdEPKS1_PKS3_PKPS1_EviT_T9_T10_S9_lSB_S9_lSA_T11_S9_li.uses_vcc, 1
	.set _ZL29rocblas_internal_gemmt_kernelIiLi16ELi32ELi8ELc78ELc67ELc76ELb0ELb1E19rocblas_complex_numIdEPKS1_PKS3_PKPS1_EviT_T9_T10_S9_lSB_S9_lSA_T11_S9_li.uses_flat_scratch, 0
	.set _ZL29rocblas_internal_gemmt_kernelIiLi16ELi32ELi8ELc78ELc67ELc76ELb0ELb1E19rocblas_complex_numIdEPKS1_PKS3_PKPS1_EviT_T9_T10_S9_lSB_S9_lSA_T11_S9_li.has_dyn_sized_stack, 0
	.set _ZL29rocblas_internal_gemmt_kernelIiLi16ELi32ELi8ELc78ELc67ELc76ELb0ELb1E19rocblas_complex_numIdEPKS1_PKS3_PKPS1_EviT_T9_T10_S9_lSB_S9_lSA_T11_S9_li.has_recursion, 0
	.set _ZL29rocblas_internal_gemmt_kernelIiLi16ELi32ELi8ELc78ELc67ELc76ELb0ELb1E19rocblas_complex_numIdEPKS1_PKS3_PKPS1_EviT_T9_T10_S9_lSB_S9_lSA_T11_S9_li.has_indirect_call, 0
	.section	.AMDGPU.csdata,"",@progbits
; Kernel info:
; codeLenInByte = 3136
; TotalNumSgprs: 44
; NumVgprs: 62
; NumAgprs: 0
; TotalNumVgprs: 62
; ScratchSize: 0
; MemoryBound: 1
; FloatMode: 240
; IeeeMode: 1
; LDSByteSize: 8192 bytes/workgroup (compile time only)
; SGPRBlocks: 5
; VGPRBlocks: 7
; NumSGPRsForWavesPerEU: 44
; NumVGPRsForWavesPerEU: 62
; AccumOffset: 64
; Occupancy: 8
; WaveLimiterHint : 1
; COMPUTE_PGM_RSRC2:SCRATCH_EN: 0
; COMPUTE_PGM_RSRC2:USER_SGPR: 2
; COMPUTE_PGM_RSRC2:TRAP_HANDLER: 0
; COMPUTE_PGM_RSRC2:TGID_X_EN: 1
; COMPUTE_PGM_RSRC2:TGID_Y_EN: 1
; COMPUTE_PGM_RSRC2:TGID_Z_EN: 1
; COMPUTE_PGM_RSRC2:TIDIG_COMP_CNT: 1
; COMPUTE_PGM_RSRC3_GFX90A:ACCUM_OFFSET: 15
; COMPUTE_PGM_RSRC3_GFX90A:TG_SPLIT: 0
	.section	.text._ZL29rocblas_internal_gemmt_kernelIiLi16ELi32ELi8ELc84ELc78ELc76ELb0ELb0E19rocblas_complex_numIdEPKS1_PKS3_PKPS1_EviT_T9_T10_S9_lSB_S9_lSA_T11_S9_li,"axG",@progbits,_ZL29rocblas_internal_gemmt_kernelIiLi16ELi32ELi8ELc84ELc78ELc76ELb0ELb0E19rocblas_complex_numIdEPKS1_PKS3_PKPS1_EviT_T9_T10_S9_lSB_S9_lSA_T11_S9_li,comdat
	.globl	_ZL29rocblas_internal_gemmt_kernelIiLi16ELi32ELi8ELc84ELc78ELc76ELb0ELb0E19rocblas_complex_numIdEPKS1_PKS3_PKPS1_EviT_T9_T10_S9_lSB_S9_lSA_T11_S9_li ; -- Begin function _ZL29rocblas_internal_gemmt_kernelIiLi16ELi32ELi8ELc84ELc78ELc76ELb0ELb0E19rocblas_complex_numIdEPKS1_PKS3_PKPS1_EviT_T9_T10_S9_lSB_S9_lSA_T11_S9_li
	.p2align	8
	.type	_ZL29rocblas_internal_gemmt_kernelIiLi16ELi32ELi8ELc84ELc78ELc76ELb0ELb0E19rocblas_complex_numIdEPKS1_PKS3_PKPS1_EviT_T9_T10_S9_lSB_S9_lSA_T11_S9_li,@function
_ZL29rocblas_internal_gemmt_kernelIiLi16ELi32ELi8ELc84ELc78ELc76ELb0ELb0E19rocblas_complex_numIdEPKS1_PKS3_PKPS1_EviT_T9_T10_S9_lSB_S9_lSA_T11_S9_li: ; @_ZL29rocblas_internal_gemmt_kernelIiLi16ELi32ELi8ELc84ELc78ELc76ELb0ELb0E19rocblas_complex_numIdEPKS1_PKS3_PKPS1_EviT_T9_T10_S9_lSB_S9_lSA_T11_S9_li
; %bb.0:
	s_load_dwordx4 s[16:19], s[0:1], 0x38
	s_load_dwordx4 s[20:23], s[0:1], 0x8
	s_mov_b64 s[24:25], 0
	s_waitcnt lgkmcnt(0)
	s_load_dwordx4 s[8:11], s[18:19], 0x0
	s_load_dwordx2 s[6:7], s[0:1], 0x0
	s_load_dwordx4 s[12:15], s[20:21], 0x0
	s_waitcnt lgkmcnt(0)
	v_cmp_eq_f64_e64 s[20:21], s[8:9], 1.0
	v_cmp_eq_f64_e64 s[18:19], s[10:11], 0
	s_and_b64 s[20:21], s[20:21], s[18:19]
	s_andn2_b64 vcc, exec, s[20:21]
	s_mov_b64 s[20:21], -1
	s_cbranch_vccnz .LBB408_4
; %bb.1:
	s_cmp_lg_u32 s7, 0
	s_cbranch_scc0 .LBB408_3
; %bb.2:
	v_cmp_neq_f64_e64 s[20:21], s[12:13], 0
	v_cmp_neq_f64_e64 s[24:25], s[14:15], 0
	s_or_b64 s[24:25], s[20:21], s[24:25]
.LBB408_3:
	s_mov_b64 s[20:21], s[24:25]
.LBB408_4:
	s_and_b64 vcc, exec, s[20:21]
	s_cbranch_vccz .LBB408_32
; %bb.5:
	s_load_dwordx2 s[20:21], s[0:1], 0x48
	s_mov_b32 s5, 0
	s_lshl_b64 s[24:25], s[4:5], 3
	v_cmp_eq_f64_e64 s[28:29], s[14:15], 0
	v_and_b32_e32 v24, 0x3ff, v0
	s_waitcnt lgkmcnt(0)
	s_add_u32 s20, s20, s24
	s_addc_u32 s21, s21, s25
	s_lshl_b32 s4, s2, 5
	s_lshl_b32 s26, s3, 5
	v_cmp_eq_f64_e64 s[2:3], s[12:13], 0
	s_load_dwordx2 s[20:21], s[20:21], 0x0
	s_and_b64 s[2:3], s[2:3], s[28:29]
	s_cmp_lt_i32 s7, 1
	s_cselect_b64 s[28:29], -1, 0
	s_or_b64 s[2:3], s[2:3], s[28:29]
	v_bfe_u32 v25, v0, 10, 10
	v_mov_b64_e32 v[20:21], 0
	s_and_b64 vcc, exec, s[2:3]
	v_mov_b64_e32 v[22:23], 0
	v_mov_b64_e32 v[16:17], 0
	;; [unrolled: 1-line block ×7, first 2 shown]
	s_cbranch_vccnz .LBB408_16
; %bb.6:
	s_load_dword s27, s[0:1], 0x18
	s_load_dwordx4 s[28:31], s[0:1], 0x20
	s_load_dword s33, s[0:1], 0x30
	v_lshl_add_u32 v0, v25, 4, v24
	v_lshrrev_b32_e32 v27, 5, v0
	v_lshrrev_b32_e32 v1, 3, v0
	v_and_b32_e32 v0, 31, v0
	v_or_b32_e32 v2, s4, v0
	s_waitcnt lgkmcnt(0)
	s_add_u32 s2, s30, s24
	v_and_b32_e32 v26, 7, v24
	s_addc_u32 s3, s31, s25
	v_cmp_gt_i32_e32 vcc, s6, v2
	v_lshlrev_b32_e32 v2, 4, v0
	s_load_dwordx2 s[30:31], s[2:3], 0x0
	s_add_u32 s2, s22, s24
	v_lshl_or_b32 v28, v27, 9, v2
	v_lshlrev_b32_e32 v2, 4, v26
	v_add_u32_e32 v3, s26, v1
	s_addc_u32 s3, s23, s25
	v_lshl_or_b32 v1, v1, 7, v2
	s_load_dwordx2 s[22:23], s[2:3], 0x0
	v_add_u32_e32 v29, 0x1000, v1
	v_mov_b32_e32 v1, 0x1000
	v_add_u32_e32 v0, s4, v0
	v_lshl_add_u32 v31, v25, 7, v1
	v_mad_i64_i32 v[0:1], s[24:25], s27, v0, 0
	s_lshl_b64 s[24:25], s[28:29], 4
	s_nop 0
	v_lshl_add_u64 v[4:5], v[0:1], 4, s[24:25]
	v_lshlrev_b32_e32 v0, 4, v27
	v_mov_b32_e32 v1, 0
	v_lshl_add_u64 v[4:5], v[4:5], 0, v[0:1]
	s_waitcnt lgkmcnt(0)
	v_lshl_add_u64 v[4:5], s[22:23], 0, v[4:5]
	v_mad_i64_i32 v[6:7], s[22:23], s33, v3, 0
	s_lshl_b64 s[16:17], s[16:17], 4
	v_cmp_gt_i32_e64 s[2:3], s6, v3
	v_lshl_add_u64 v[6:7], v[6:7], 4, s[16:17]
	v_mov_b32_e32 v3, v1
	v_lshl_add_u64 v[2:3], v[6:7], 0, v[2:3]
	v_lshlrev_b32_e32 v30, 4, v24
	v_lshl_add_u64 v[6:7], s[30:31], 0, v[2:3]
	v_mov_b64_e32 v[8:9], 0
	s_xor_b64 s[16:17], vcc, -1
	s_xor_b64 s[2:3], s[2:3], -1
	s_mov_b64 s[22:23], 0x80
	v_mov_b32_e32 v0, v1
	v_mov_b32_e32 v2, v1
	;; [unrolled: 1-line block ×3, first 2 shown]
	v_mov_b64_e32 v[10:11], 0
	v_mov_b64_e32 v[14:15], 0
	;; [unrolled: 1-line block ×7, first 2 shown]
	s_branch .LBB408_8
.LBB408_7:                              ;   in Loop: Header=BB408_8 Depth=1
	s_or_b64 exec, exec, s[24:25]
	s_waitcnt lgkmcnt(0)
	s_barrier
	ds_read_b128 v[32:35], v30
	ds_read_b128 v[36:39], v31
	ds_read_b128 v[40:43], v31 offset:16
	ds_read_b128 v[44:47], v31 offset:32
	;; [unrolled: 1-line block ×4, first 2 shown]
	s_waitcnt lgkmcnt(4)
	v_mul_f64 v[56:57], v[38:39], v[34:35]
	v_fma_f64 v[56:57], v[36:37], v[32:33], -v[56:57]
	v_mul_f64 v[58:59], v[36:37], v[34:35]
	v_fmac_f64_e32 v[58:59], v[38:39], v[32:33]
	v_add_f64 v[56:57], v[20:21], v[56:57]
	s_waitcnt lgkmcnt(0)
	v_mul_f64 v[20:21], v[38:39], v[54:55]
	v_add_f64 v[58:59], v[58:59], v[22:23]
	v_fma_f64 v[60:61], v[36:37], v[52:53], -v[20:21]
	ds_read_b128 v[20:23], v31 offset:2048
	v_mul_f64 v[36:37], v[36:37], v[54:55]
	v_fmac_f64_e32 v[36:37], v[38:39], v[52:53]
	v_add_f64 v[38:39], v[16:17], v[60:61]
	v_add_f64 v[36:37], v[36:37], v[18:19]
	ds_read_b128 v[16:19], v31 offset:2064
	s_waitcnt lgkmcnt(1)
	v_mul_f64 v[60:61], v[22:23], v[34:35]
	v_fma_f64 v[60:61], v[20:21], v[32:33], -v[60:61]
	v_mul_f64 v[34:35], v[20:21], v[34:35]
	v_fmac_f64_e32 v[34:35], v[22:23], v[32:33]
	v_add_f64 v[32:33], v[12:13], v[60:61]
	v_mul_f64 v[12:13], v[22:23], v[54:55]
	v_add_f64 v[34:35], v[34:35], v[14:15]
	v_fma_f64 v[60:61], v[20:21], v[52:53], -v[12:13]
	v_mul_f64 v[20:21], v[20:21], v[54:55]
	ds_read_b128 v[12:15], v30 offset:512
	v_fmac_f64_e32 v[20:21], v[22:23], v[52:53]
	v_add_f64 v[22:23], v[10:11], v[60:61]
	v_add_f64 v[20:21], v[20:21], v[8:9]
	ds_read_b128 v[8:11], v30 offset:768
	s_waitcnt lgkmcnt(1)
	v_mul_f64 v[52:53], v[42:43], v[14:15]
	v_fma_f64 v[52:53], v[40:41], v[12:13], -v[52:53]
	v_add_f64 v[52:53], v[56:57], v[52:53]
	v_mul_f64 v[54:55], v[40:41], v[14:15]
	s_waitcnt lgkmcnt(0)
	v_mul_f64 v[56:57], v[42:43], v[10:11]
	v_fma_f64 v[56:57], v[40:41], v[8:9], -v[56:57]
	v_mul_f64 v[40:41], v[40:41], v[10:11]
	v_fmac_f64_e32 v[40:41], v[42:43], v[8:9]
	v_add_f64 v[36:37], v[40:41], v[36:37]
	v_mul_f64 v[40:41], v[18:19], v[14:15]
	v_mul_f64 v[14:15], v[16:17], v[14:15]
	v_fmac_f64_e32 v[54:55], v[42:43], v[12:13]
	v_fma_f64 v[40:41], v[16:17], v[12:13], -v[40:41]
	v_fmac_f64_e32 v[14:15], v[18:19], v[12:13]
	v_mul_f64 v[12:13], v[18:19], v[10:11]
	v_add_f64 v[42:43], v[14:15], v[34:35]
	v_fma_f64 v[14:15], v[16:17], v[8:9], -v[12:13]
	v_mul_f64 v[16:17], v[16:17], v[10:11]
	ds_read_b128 v[10:13], v30 offset:1024
	v_fmac_f64_e32 v[16:17], v[18:19], v[8:9]
	v_add_f64 v[38:39], v[38:39], v[56:57]
	v_add_f64 v[22:23], v[22:23], v[14:15]
	;; [unrolled: 1-line block ×3, first 2 shown]
	ds_read_b128 v[14:17], v30 offset:1280
	s_waitcnt lgkmcnt(1)
	v_mul_f64 v[18:19], v[44:45], v[12:13]
	v_add_f64 v[54:55], v[54:55], v[58:59]
	v_fmac_f64_e32 v[18:19], v[46:47], v[10:11]
	v_add_f64 v[54:55], v[18:19], v[54:55]
	ds_read_b128 v[18:21], v31 offset:2080
	v_mul_f64 v[8:9], v[46:47], v[12:13]
	v_fma_f64 v[8:9], v[44:45], v[10:11], -v[8:9]
	v_add_f64 v[40:41], v[32:33], v[40:41]
	v_add_f64 v[52:53], v[52:53], v[8:9]
	s_waitcnt lgkmcnt(1)
	v_mul_f64 v[8:9], v[46:47], v[16:17]
	v_mul_f64 v[32:33], v[44:45], v[16:17]
	v_fma_f64 v[8:9], v[44:45], v[14:15], -v[8:9]
	v_fmac_f64_e32 v[32:33], v[46:47], v[14:15]
	v_add_f64 v[38:39], v[38:39], v[8:9]
	v_add_f64 v[36:37], v[32:33], v[36:37]
	ds_read_b128 v[32:35], v31 offset:2096
	s_waitcnt lgkmcnt(1)
	v_mul_f64 v[8:9], v[20:21], v[12:13]
	v_fma_f64 v[8:9], v[18:19], v[10:11], -v[8:9]
	v_mul_f64 v[12:13], v[18:19], v[12:13]
	v_fmac_f64_e32 v[12:13], v[20:21], v[10:11]
	v_add_f64 v[40:41], v[40:41], v[8:9]
	v_mul_f64 v[8:9], v[20:21], v[16:17]
	v_add_f64 v[42:43], v[12:13], v[42:43]
	v_fma_f64 v[12:13], v[18:19], v[14:15], -v[8:9]
	ds_read_b128 v[8:11], v30 offset:1536
	v_mul_f64 v[16:17], v[18:19], v[16:17]
	v_fmac_f64_e32 v[16:17], v[20:21], v[14:15]
	v_add_f64 v[18:19], v[22:23], v[12:13]
	ds_read_b128 v[12:15], v30 offset:1792
	s_waitcnt lgkmcnt(1)
	v_mul_f64 v[20:21], v[50:51], v[10:11]
	v_fma_f64 v[20:21], v[48:49], v[8:9], -v[20:21]
	v_mul_f64 v[22:23], v[48:49], v[10:11]
	v_fmac_f64_e32 v[22:23], v[50:51], v[8:9]
	v_add_f64 v[44:45], v[52:53], v[20:21]
	s_waitcnt lgkmcnt(0)
	v_mul_f64 v[20:21], v[50:51], v[14:15]
	v_add_f64 v[46:47], v[22:23], v[54:55]
	v_fma_f64 v[20:21], v[48:49], v[12:13], -v[20:21]
	v_mul_f64 v[22:23], v[48:49], v[14:15]
	v_fmac_f64_e32 v[22:23], v[50:51], v[12:13]
	v_add_f64 v[38:39], v[38:39], v[20:21]
	v_mul_f64 v[20:21], v[34:35], v[10:11]
	v_mul_f64 v[10:11], v[32:33], v[10:11]
	v_add_f64 v[36:37], v[22:23], v[36:37]
	v_fma_f64 v[20:21], v[32:33], v[8:9], -v[20:21]
	v_fmac_f64_e32 v[10:11], v[34:35], v[8:9]
	v_mul_f64 v[8:9], v[34:35], v[14:15]
	v_mul_f64 v[22:23], v[32:33], v[14:15]
	v_add_f64 v[40:41], v[40:41], v[20:21]
	v_add_f64 v[42:43], v[10:11], v[42:43]
	v_fma_f64 v[20:21], v[32:33], v[12:13], -v[8:9]
	v_fmac_f64_e32 v[22:23], v[34:35], v[12:13]
	ds_read_b128 v[8:11], v31 offset:64
	ds_read_b128 v[12:15], v30 offset:2048
	v_add_f64 v[16:17], v[16:17], v[56:57]
	v_add_f64 v[48:49], v[18:19], v[20:21]
	;; [unrolled: 1-line block ×3, first 2 shown]
	ds_read_b128 v[16:19], v30 offset:2304
	ds_read_b128 v[20:23], v31 offset:80
	s_waitcnt lgkmcnt(2)
	v_mul_f64 v[32:33], v[10:11], v[14:15]
	v_fma_f64 v[32:33], v[8:9], v[12:13], -v[32:33]
	v_mul_f64 v[34:35], v[8:9], v[14:15]
	v_fmac_f64_e32 v[34:35], v[10:11], v[12:13]
	v_add_f64 v[44:45], v[44:45], v[32:33]
	s_waitcnt lgkmcnt(1)
	v_mul_f64 v[32:33], v[10:11], v[18:19]
	v_add_f64 v[46:47], v[34:35], v[46:47]
	v_fma_f64 v[52:53], v[8:9], v[16:17], -v[32:33]
	ds_read_b128 v[32:35], v31 offset:2112
	v_mul_f64 v[8:9], v[8:9], v[18:19]
	v_fmac_f64_e32 v[8:9], v[10:11], v[16:17]
	v_add_f64 v[38:39], v[38:39], v[52:53]
	v_add_f64 v[36:37], v[8:9], v[36:37]
	ds_read_b128 v[8:11], v31 offset:2128
	s_waitcnt lgkmcnt(1)
	v_mul_f64 v[52:53], v[34:35], v[14:15]
	v_mul_f64 v[14:15], v[32:33], v[14:15]
	v_fma_f64 v[52:53], v[32:33], v[12:13], -v[52:53]
	v_fmac_f64_e32 v[14:15], v[34:35], v[12:13]
	v_mul_f64 v[12:13], v[34:35], v[18:19]
	v_add_f64 v[40:41], v[40:41], v[52:53]
	v_add_f64 v[42:43], v[14:15], v[42:43]
	v_fma_f64 v[52:53], v[32:33], v[16:17], -v[12:13]
	v_mul_f64 v[18:19], v[32:33], v[18:19]
	ds_read_b128 v[12:15], v30 offset:2560
	v_fmac_f64_e32 v[18:19], v[34:35], v[16:17]
	v_add_f64 v[34:35], v[18:19], v[50:51]
	ds_read_b128 v[16:19], v30 offset:2816
	v_add_f64 v[32:33], v[48:49], v[52:53]
	s_waitcnt lgkmcnt(1)
	v_mul_f64 v[48:49], v[22:23], v[14:15]
	v_fma_f64 v[48:49], v[20:21], v[12:13], -v[48:49]
	v_add_f64 v[44:45], v[44:45], v[48:49]
	s_waitcnt lgkmcnt(0)
	v_mul_f64 v[48:49], v[22:23], v[18:19]
	v_mul_f64 v[50:51], v[20:21], v[14:15]
	v_fma_f64 v[48:49], v[20:21], v[16:17], -v[48:49]
	v_mul_f64 v[20:21], v[20:21], v[18:19]
	v_fmac_f64_e32 v[20:21], v[22:23], v[16:17]
	v_add_f64 v[36:37], v[20:21], v[36:37]
	v_mul_f64 v[20:21], v[10:11], v[14:15]
	v_mul_f64 v[14:15], v[8:9], v[14:15]
	v_fmac_f64_e32 v[50:51], v[22:23], v[12:13]
	v_fma_f64 v[20:21], v[8:9], v[12:13], -v[20:21]
	v_fmac_f64_e32 v[14:15], v[10:11], v[12:13]
	v_mul_f64 v[12:13], v[10:11], v[18:19]
	v_mul_f64 v[18:19], v[8:9], v[18:19]
	v_add_f64 v[40:41], v[40:41], v[20:21]
	v_add_f64 v[42:43], v[14:15], v[42:43]
	v_fma_f64 v[20:21], v[8:9], v[16:17], -v[12:13]
	v_fmac_f64_e32 v[18:19], v[10:11], v[16:17]
	ds_read_b128 v[8:11], v31 offset:96
	ds_read_b128 v[12:15], v30 offset:3072
	v_add_f64 v[46:47], v[50:51], v[46:47]
	v_add_f64 v[38:39], v[38:39], v[48:49]
	;; [unrolled: 1-line block ×4, first 2 shown]
	ds_read_b128 v[16:19], v30 offset:3328
	ds_read_b128 v[32:35], v31 offset:112
	s_waitcnt lgkmcnt(2)
	v_mul_f64 v[20:21], v[10:11], v[14:15]
	v_fma_f64 v[20:21], v[8:9], v[12:13], -v[20:21]
	v_mul_f64 v[22:23], v[8:9], v[14:15]
	v_fmac_f64_e32 v[22:23], v[10:11], v[12:13]
	v_add_f64 v[44:45], v[44:45], v[20:21]
	s_waitcnt lgkmcnt(1)
	v_mul_f64 v[20:21], v[10:11], v[18:19]
	v_add_f64 v[46:47], v[22:23], v[46:47]
	v_fma_f64 v[52:53], v[8:9], v[16:17], -v[20:21]
	ds_read_b128 v[20:23], v31 offset:2144
	v_mul_f64 v[8:9], v[8:9], v[18:19]
	v_fmac_f64_e32 v[8:9], v[10:11], v[16:17]
	v_add_f64 v[54:55], v[8:9], v[36:37]
	ds_read_b128 v[8:11], v31 offset:2160
	s_waitcnt lgkmcnt(1)
	v_mul_f64 v[36:37], v[22:23], v[14:15]
	v_mul_f64 v[14:15], v[20:21], v[14:15]
	v_fma_f64 v[36:37], v[20:21], v[12:13], -v[36:37]
	v_fmac_f64_e32 v[14:15], v[22:23], v[12:13]
	v_mul_f64 v[12:13], v[22:23], v[18:19]
	v_add_f64 v[40:41], v[40:41], v[36:37]
	v_add_f64 v[42:43], v[14:15], v[42:43]
	v_fma_f64 v[36:37], v[20:21], v[16:17], -v[12:13]
	ds_read_b128 v[12:15], v30 offset:3584
	v_add_f64 v[52:53], v[38:39], v[52:53]
	v_add_f64 v[48:49], v[48:49], v[36:37]
	ds_read_b128 v[36:39], v30 offset:3840
	v_mul_f64 v[18:19], v[20:21], v[18:19]
	v_fmac_f64_e32 v[18:19], v[22:23], v[16:17]
	s_waitcnt lgkmcnt(1)
	v_mul_f64 v[16:17], v[34:35], v[14:15]
	v_add_f64 v[50:51], v[18:19], v[50:51]
	v_fma_f64 v[16:17], v[32:33], v[12:13], -v[16:17]
	v_mul_f64 v[18:19], v[32:33], v[14:15]
	v_fmac_f64_e32 v[18:19], v[34:35], v[12:13]
	v_add_f64 v[20:21], v[44:45], v[16:17]
	s_waitcnt lgkmcnt(0)
	v_mul_f64 v[16:17], v[34:35], v[38:39]
	v_add_f64 v[22:23], v[18:19], v[46:47]
	v_fma_f64 v[16:17], v[32:33], v[36:37], -v[16:17]
	v_mul_f64 v[18:19], v[32:33], v[38:39]
	v_mul_f64 v[32:33], v[10:11], v[14:15]
	v_fma_f64 v[32:33], v[8:9], v[12:13], -v[32:33]
	v_mul_f64 v[14:15], v[8:9], v[14:15]
	v_fmac_f64_e32 v[14:15], v[10:11], v[12:13]
	v_add_f64 v[12:13], v[40:41], v[32:33]
	v_mul_f64 v[32:33], v[10:11], v[38:39]
	v_fma_f64 v[32:33], v[8:9], v[36:37], -v[32:33]
	v_mul_f64 v[8:9], v[8:9], v[38:39]
	v_fmac_f64_e32 v[18:19], v[34:35], v[36:37]
	v_fmac_f64_e32 v[8:9], v[10:11], v[36:37]
	s_add_i32 s5, s5, 8
	v_add_f64 v[16:17], v[52:53], v[16:17]
	v_add_f64 v[18:19], v[18:19], v[54:55]
	v_add_f64 v[14:15], v[14:15], v[42:43]
	v_add_f64 v[10:11], v[48:49], v[32:33]
	v_add_f64 v[8:9], v[8:9], v[50:51]
	v_lshl_add_u64 v[4:5], v[4:5], 0, s[22:23]
	s_cmp_lt_i32 s5, s7
	v_lshl_add_u64 v[6:7], v[6:7], 0, s[22:23]
	s_barrier
	s_cbranch_scc0 .LBB408_16
.LBB408_8:                              ; =>This Inner Loop Header: Depth=1
	v_add_u32_e32 v32, s5, v27
	v_cmp_le_i32_e32 vcc, s7, v32
	s_or_b64 s[24:25], s[16:17], vcc
	s_and_saveexec_b64 s[28:29], s[24:25]
	s_xor_b64 s[24:25], exec, s[28:29]
; %bb.9:                                ;   in Loop: Header=BB408_8 Depth=1
	ds_write_b128 v28, v[0:3]
; %bb.10:                               ;   in Loop: Header=BB408_8 Depth=1
	s_andn2_saveexec_b64 s[24:25], s[24:25]
	s_cbranch_execz .LBB408_12
; %bb.11:                               ;   in Loop: Header=BB408_8 Depth=1
	flat_load_dwordx4 v[32:35], v[4:5]
	s_waitcnt vmcnt(0) lgkmcnt(0)
	ds_write2_b64 v28, v[32:33], v[34:35] offset1:1
.LBB408_12:                             ;   in Loop: Header=BB408_8 Depth=1
	s_or_b64 exec, exec, s[24:25]
	v_add_u32_e32 v32, s5, v26
	v_cmp_le_i32_e32 vcc, s7, v32
	s_or_b64 s[24:25], vcc, s[2:3]
	s_and_saveexec_b64 s[28:29], s[24:25]
	s_xor_b64 s[24:25], exec, s[28:29]
; %bb.13:                               ;   in Loop: Header=BB408_8 Depth=1
	ds_write_b128 v29, v[0:3]
; %bb.14:                               ;   in Loop: Header=BB408_8 Depth=1
	s_andn2_saveexec_b64 s[24:25], s[24:25]
	s_cbranch_execz .LBB408_7
; %bb.15:                               ;   in Loop: Header=BB408_8 Depth=1
	flat_load_dwordx4 v[32:35], v[6:7]
	s_waitcnt vmcnt(0) lgkmcnt(0)
	ds_write2_b64 v29, v[32:33], v[34:35] offset1:1
	s_branch .LBB408_7
.LBB408_16:
	s_load_dwordx2 s[2:3], s[0:1], 0x58
	s_load_dword s22, s[0:1], 0x50
	v_add_u32_e32 v4, s4, v24
	v_add_u32_e32 v26, s26, v25
	v_cmp_neq_f64_e64 s[0:1], s[8:9], 0
	s_waitcnt lgkmcnt(0)
	s_lshl_b64 s[2:3], s[2:3], 4
	s_add_u32 s16, s20, s2
	s_addc_u32 s17, s21, s3
	s_xor_b64 s[4:5], s[18:19], -1
	v_mad_i64_i32 v[0:1], s[2:3], v26, s22, 0
	s_or_b64 s[0:1], s[0:1], s[4:5]
	v_lshl_add_u64 v[24:25], v[0:1], 4, s[16:17]
	v_cmp_le_i32_e32 vcc, v26, v4
	v_cmp_gt_i32_e64 s[2:3], s6, v4
	v_cndmask_b32_e64 v0, 0, 1, s[0:1]
	s_and_b64 s[18:19], vcc, s[2:3]
	v_ashrrev_i32_e32 v5, 31, v4
	v_cmp_ne_u32_e64 s[0:1], 1, v0
	s_and_saveexec_b64 s[4:5], s[18:19]
	s_cbranch_execz .LBB408_20
; %bb.17:
	v_mul_f64 v[0:1], s[14:15], v[22:23]
	v_mul_f64 v[2:3], s[12:13], v[22:23]
	v_fma_f64 v[0:1], s[12:13], v[20:21], -v[0:1]
	v_fmac_f64_e32 v[2:3], s[14:15], v[20:21]
	s_and_b64 vcc, exec, s[0:1]
	v_lshl_add_u64 v[6:7], v[4:5], 4, v[24:25]
	s_cbranch_vccnz .LBB408_19
; %bb.18:
	flat_load_dwordx4 v[20:23], v[6:7]
	s_waitcnt vmcnt(0) lgkmcnt(0)
	v_mul_f64 v[28:29], s[10:11], v[22:23]
	v_mul_f64 v[22:23], s[8:9], v[22:23]
	v_fma_f64 v[28:29], s[8:9], v[20:21], -v[28:29]
	v_fmac_f64_e32 v[22:23], s[10:11], v[20:21]
	v_add_f64 v[0:1], v[0:1], v[28:29]
	v_add_f64 v[2:3], v[2:3], v[22:23]
.LBB408_19:
	flat_store_dwordx4 v[6:7], v[0:3]
.LBB408_20:
	s_or_b64 exec, exec, s[4:5]
	v_add_u32_e32 v6, 16, v4
	v_cmp_le_i32_e32 vcc, v26, v6
	v_cmp_gt_i32_e64 s[4:5], s6, v6
	s_and_b64 s[18:19], vcc, s[4:5]
	v_ashrrev_i32_e32 v7, 31, v6
	s_and_saveexec_b64 s[6:7], s[18:19]
	s_cbranch_execz .LBB408_24
; %bb.21:
	v_mul_f64 v[0:1], s[14:15], v[18:19]
	v_mul_f64 v[2:3], s[12:13], v[18:19]
	v_fma_f64 v[0:1], s[12:13], v[16:17], -v[0:1]
	v_fmac_f64_e32 v[2:3], s[14:15], v[16:17]
	s_and_b64 vcc, exec, s[0:1]
	v_lshl_add_u64 v[16:17], v[6:7], 4, v[24:25]
	s_cbranch_vccnz .LBB408_23
; %bb.22:
	flat_load_dwordx4 v[18:21], v[16:17]
	s_waitcnt vmcnt(0) lgkmcnt(0)
	v_mul_f64 v[22:23], s[10:11], v[20:21]
	v_mul_f64 v[20:21], s[8:9], v[20:21]
	v_fma_f64 v[22:23], s[8:9], v[18:19], -v[22:23]
	v_fmac_f64_e32 v[20:21], s[10:11], v[18:19]
	v_add_f64 v[0:1], v[0:1], v[22:23]
	v_add_f64 v[2:3], v[2:3], v[20:21]
.LBB408_23:
	flat_store_dwordx4 v[16:17], v[0:3]
.LBB408_24:
	s_or_b64 exec, exec, s[6:7]
	v_add_u32_e32 v18, 16, v26
	v_mad_i64_i32 v[0:1], s[6:7], v18, s22, 0
	v_cmp_le_i32_e32 vcc, v18, v4
	v_lshl_add_u64 v[16:17], v[0:1], 4, s[16:17]
	s_and_b64 s[6:7], vcc, s[2:3]
	s_and_saveexec_b64 s[2:3], s[6:7]
	s_cbranch_execz .LBB408_28
; %bb.25:
	v_mul_f64 v[0:1], s[14:15], v[14:15]
	v_mul_f64 v[2:3], s[12:13], v[14:15]
	v_fma_f64 v[0:1], s[12:13], v[12:13], -v[0:1]
	v_fmac_f64_e32 v[2:3], s[14:15], v[12:13]
	s_and_b64 vcc, exec, s[0:1]
	v_lshl_add_u64 v[4:5], v[4:5], 4, v[16:17]
	s_cbranch_vccnz .LBB408_27
; %bb.26:
	flat_load_dwordx4 v[12:15], v[4:5]
	s_waitcnt vmcnt(0) lgkmcnt(0)
	v_mul_f64 v[20:21], s[10:11], v[14:15]
	v_mul_f64 v[14:15], s[8:9], v[14:15]
	v_fma_f64 v[20:21], s[8:9], v[12:13], -v[20:21]
	v_fmac_f64_e32 v[14:15], s[10:11], v[12:13]
	v_add_f64 v[0:1], v[0:1], v[20:21]
	v_add_f64 v[2:3], v[2:3], v[14:15]
.LBB408_27:
	flat_store_dwordx4 v[4:5], v[0:3]
.LBB408_28:
	s_or_b64 exec, exec, s[2:3]
	v_cmp_le_i32_e32 vcc, v18, v6
	s_and_b64 s[2:3], vcc, s[4:5]
	s_and_saveexec_b64 s[4:5], s[2:3]
	s_cbranch_execz .LBB408_32
; %bb.29:
	v_mul_f64 v[0:1], s[14:15], v[8:9]
	v_mul_f64 v[2:3], s[12:13], v[8:9]
	v_fma_f64 v[0:1], s[12:13], v[10:11], -v[0:1]
	v_fmac_f64_e32 v[2:3], s[14:15], v[10:11]
	s_and_b64 vcc, exec, s[0:1]
	v_lshl_add_u64 v[4:5], v[6:7], 4, v[16:17]
	s_cbranch_vccnz .LBB408_31
; %bb.30:
	flat_load_dwordx4 v[6:9], v[4:5]
	s_waitcnt vmcnt(0) lgkmcnt(0)
	v_mul_f64 v[10:11], s[10:11], v[8:9]
	v_mul_f64 v[8:9], s[8:9], v[8:9]
	v_fma_f64 v[10:11], s[8:9], v[6:7], -v[10:11]
	v_fmac_f64_e32 v[8:9], s[10:11], v[6:7]
	v_add_f64 v[0:1], v[0:1], v[10:11]
	v_add_f64 v[2:3], v[2:3], v[8:9]
.LBB408_31:
	flat_store_dwordx4 v[4:5], v[0:3]
.LBB408_32:
	s_endpgm
	.section	.rodata,"a",@progbits
	.p2align	6, 0x0
	.amdhsa_kernel _ZL29rocblas_internal_gemmt_kernelIiLi16ELi32ELi8ELc84ELc78ELc76ELb0ELb0E19rocblas_complex_numIdEPKS1_PKS3_PKPS1_EviT_T9_T10_S9_lSB_S9_lSA_T11_S9_li
		.amdhsa_group_segment_fixed_size 8192
		.amdhsa_private_segment_fixed_size 0
		.amdhsa_kernarg_size 100
		.amdhsa_user_sgpr_count 2
		.amdhsa_user_sgpr_dispatch_ptr 0
		.amdhsa_user_sgpr_queue_ptr 0
		.amdhsa_user_sgpr_kernarg_segment_ptr 1
		.amdhsa_user_sgpr_dispatch_id 0
		.amdhsa_user_sgpr_kernarg_preload_length 0
		.amdhsa_user_sgpr_kernarg_preload_offset 0
		.amdhsa_user_sgpr_private_segment_size 0
		.amdhsa_uses_dynamic_stack 0
		.amdhsa_enable_private_segment 0
		.amdhsa_system_sgpr_workgroup_id_x 1
		.amdhsa_system_sgpr_workgroup_id_y 1
		.amdhsa_system_sgpr_workgroup_id_z 1
		.amdhsa_system_sgpr_workgroup_info 0
		.amdhsa_system_vgpr_workitem_id 1
		.amdhsa_next_free_vgpr 62
		.amdhsa_next_free_sgpr 34
		.amdhsa_accum_offset 64
		.amdhsa_reserve_vcc 1
		.amdhsa_float_round_mode_32 0
		.amdhsa_float_round_mode_16_64 0
		.amdhsa_float_denorm_mode_32 3
		.amdhsa_float_denorm_mode_16_64 3
		.amdhsa_dx10_clamp 1
		.amdhsa_ieee_mode 1
		.amdhsa_fp16_overflow 0
		.amdhsa_tg_split 0
		.amdhsa_exception_fp_ieee_invalid_op 0
		.amdhsa_exception_fp_denorm_src 0
		.amdhsa_exception_fp_ieee_div_zero 0
		.amdhsa_exception_fp_ieee_overflow 0
		.amdhsa_exception_fp_ieee_underflow 0
		.amdhsa_exception_fp_ieee_inexact 0
		.amdhsa_exception_int_div_zero 0
	.end_amdhsa_kernel
	.section	.text._ZL29rocblas_internal_gemmt_kernelIiLi16ELi32ELi8ELc84ELc78ELc76ELb0ELb0E19rocblas_complex_numIdEPKS1_PKS3_PKPS1_EviT_T9_T10_S9_lSB_S9_lSA_T11_S9_li,"axG",@progbits,_ZL29rocblas_internal_gemmt_kernelIiLi16ELi32ELi8ELc84ELc78ELc76ELb0ELb0E19rocblas_complex_numIdEPKS1_PKS3_PKPS1_EviT_T9_T10_S9_lSB_S9_lSA_T11_S9_li,comdat
.Lfunc_end408:
	.size	_ZL29rocblas_internal_gemmt_kernelIiLi16ELi32ELi8ELc84ELc78ELc76ELb0ELb0E19rocblas_complex_numIdEPKS1_PKS3_PKPS1_EviT_T9_T10_S9_lSB_S9_lSA_T11_S9_li, .Lfunc_end408-_ZL29rocblas_internal_gemmt_kernelIiLi16ELi32ELi8ELc84ELc78ELc76ELb0ELb0E19rocblas_complex_numIdEPKS1_PKS3_PKPS1_EviT_T9_T10_S9_lSB_S9_lSA_T11_S9_li
                                        ; -- End function
	.set _ZL29rocblas_internal_gemmt_kernelIiLi16ELi32ELi8ELc84ELc78ELc76ELb0ELb0E19rocblas_complex_numIdEPKS1_PKS3_PKPS1_EviT_T9_T10_S9_lSB_S9_lSA_T11_S9_li.num_vgpr, 62
	.set _ZL29rocblas_internal_gemmt_kernelIiLi16ELi32ELi8ELc84ELc78ELc76ELb0ELb0E19rocblas_complex_numIdEPKS1_PKS3_PKPS1_EviT_T9_T10_S9_lSB_S9_lSA_T11_S9_li.num_agpr, 0
	.set _ZL29rocblas_internal_gemmt_kernelIiLi16ELi32ELi8ELc84ELc78ELc76ELb0ELb0E19rocblas_complex_numIdEPKS1_PKS3_PKPS1_EviT_T9_T10_S9_lSB_S9_lSA_T11_S9_li.numbered_sgpr, 34
	.set _ZL29rocblas_internal_gemmt_kernelIiLi16ELi32ELi8ELc84ELc78ELc76ELb0ELb0E19rocblas_complex_numIdEPKS1_PKS3_PKPS1_EviT_T9_T10_S9_lSB_S9_lSA_T11_S9_li.num_named_barrier, 0
	.set _ZL29rocblas_internal_gemmt_kernelIiLi16ELi32ELi8ELc84ELc78ELc76ELb0ELb0E19rocblas_complex_numIdEPKS1_PKS3_PKPS1_EviT_T9_T10_S9_lSB_S9_lSA_T11_S9_li.private_seg_size, 0
	.set _ZL29rocblas_internal_gemmt_kernelIiLi16ELi32ELi8ELc84ELc78ELc76ELb0ELb0E19rocblas_complex_numIdEPKS1_PKS3_PKPS1_EviT_T9_T10_S9_lSB_S9_lSA_T11_S9_li.uses_vcc, 1
	.set _ZL29rocblas_internal_gemmt_kernelIiLi16ELi32ELi8ELc84ELc78ELc76ELb0ELb0E19rocblas_complex_numIdEPKS1_PKS3_PKPS1_EviT_T9_T10_S9_lSB_S9_lSA_T11_S9_li.uses_flat_scratch, 0
	.set _ZL29rocblas_internal_gemmt_kernelIiLi16ELi32ELi8ELc84ELc78ELc76ELb0ELb0E19rocblas_complex_numIdEPKS1_PKS3_PKPS1_EviT_T9_T10_S9_lSB_S9_lSA_T11_S9_li.has_dyn_sized_stack, 0
	.set _ZL29rocblas_internal_gemmt_kernelIiLi16ELi32ELi8ELc84ELc78ELc76ELb0ELb0E19rocblas_complex_numIdEPKS1_PKS3_PKPS1_EviT_T9_T10_S9_lSB_S9_lSA_T11_S9_li.has_recursion, 0
	.set _ZL29rocblas_internal_gemmt_kernelIiLi16ELi32ELi8ELc84ELc78ELc76ELb0ELb0E19rocblas_complex_numIdEPKS1_PKS3_PKPS1_EviT_T9_T10_S9_lSB_S9_lSA_T11_S9_li.has_indirect_call, 0
	.section	.AMDGPU.csdata,"",@progbits
; Kernel info:
; codeLenInByte = 3128
; TotalNumSgprs: 40
; NumVgprs: 62
; NumAgprs: 0
; TotalNumVgprs: 62
; ScratchSize: 0
; MemoryBound: 0
; FloatMode: 240
; IeeeMode: 1
; LDSByteSize: 8192 bytes/workgroup (compile time only)
; SGPRBlocks: 4
; VGPRBlocks: 7
; NumSGPRsForWavesPerEU: 40
; NumVGPRsForWavesPerEU: 62
; AccumOffset: 64
; Occupancy: 8
; WaveLimiterHint : 1
; COMPUTE_PGM_RSRC2:SCRATCH_EN: 0
; COMPUTE_PGM_RSRC2:USER_SGPR: 2
; COMPUTE_PGM_RSRC2:TRAP_HANDLER: 0
; COMPUTE_PGM_RSRC2:TGID_X_EN: 1
; COMPUTE_PGM_RSRC2:TGID_Y_EN: 1
; COMPUTE_PGM_RSRC2:TGID_Z_EN: 1
; COMPUTE_PGM_RSRC2:TIDIG_COMP_CNT: 1
; COMPUTE_PGM_RSRC3_GFX90A:ACCUM_OFFSET: 15
; COMPUTE_PGM_RSRC3_GFX90A:TG_SPLIT: 0
	.section	.text._ZL29rocblas_internal_gemmt_kernelIiLi16ELi32ELi8ELc84ELc84ELc76ELb0ELb0E19rocblas_complex_numIdEPKS1_PKS3_PKPS1_EviT_T9_T10_S9_lSB_S9_lSA_T11_S9_li,"axG",@progbits,_ZL29rocblas_internal_gemmt_kernelIiLi16ELi32ELi8ELc84ELc84ELc76ELb0ELb0E19rocblas_complex_numIdEPKS1_PKS3_PKPS1_EviT_T9_T10_S9_lSB_S9_lSA_T11_S9_li,comdat
	.globl	_ZL29rocblas_internal_gemmt_kernelIiLi16ELi32ELi8ELc84ELc84ELc76ELb0ELb0E19rocblas_complex_numIdEPKS1_PKS3_PKPS1_EviT_T9_T10_S9_lSB_S9_lSA_T11_S9_li ; -- Begin function _ZL29rocblas_internal_gemmt_kernelIiLi16ELi32ELi8ELc84ELc84ELc76ELb0ELb0E19rocblas_complex_numIdEPKS1_PKS3_PKPS1_EviT_T9_T10_S9_lSB_S9_lSA_T11_S9_li
	.p2align	8
	.type	_ZL29rocblas_internal_gemmt_kernelIiLi16ELi32ELi8ELc84ELc84ELc76ELb0ELb0E19rocblas_complex_numIdEPKS1_PKS3_PKPS1_EviT_T9_T10_S9_lSB_S9_lSA_T11_S9_li,@function
_ZL29rocblas_internal_gemmt_kernelIiLi16ELi32ELi8ELc84ELc84ELc76ELb0ELb0E19rocblas_complex_numIdEPKS1_PKS3_PKPS1_EviT_T9_T10_S9_lSB_S9_lSA_T11_S9_li: ; @_ZL29rocblas_internal_gemmt_kernelIiLi16ELi32ELi8ELc84ELc84ELc76ELb0ELb0E19rocblas_complex_numIdEPKS1_PKS3_PKPS1_EviT_T9_T10_S9_lSB_S9_lSA_T11_S9_li
; %bb.0:
	s_load_dwordx4 s[16:19], s[0:1], 0x38
	s_load_dwordx4 s[20:23], s[0:1], 0x8
	s_mov_b64 s[24:25], 0
	s_waitcnt lgkmcnt(0)
	s_load_dwordx4 s[8:11], s[18:19], 0x0
	s_load_dwordx2 s[6:7], s[0:1], 0x0
	s_load_dwordx4 s[12:15], s[20:21], 0x0
	s_waitcnt lgkmcnt(0)
	v_cmp_eq_f64_e64 s[20:21], s[8:9], 1.0
	v_cmp_eq_f64_e64 s[18:19], s[10:11], 0
	s_and_b64 s[20:21], s[20:21], s[18:19]
	s_andn2_b64 vcc, exec, s[20:21]
	s_mov_b64 s[20:21], -1
	s_cbranch_vccnz .LBB409_4
; %bb.1:
	s_cmp_lg_u32 s7, 0
	s_cbranch_scc0 .LBB409_3
; %bb.2:
	v_cmp_neq_f64_e64 s[20:21], s[12:13], 0
	v_cmp_neq_f64_e64 s[24:25], s[14:15], 0
	s_or_b64 s[24:25], s[20:21], s[24:25]
.LBB409_3:
	s_mov_b64 s[20:21], s[24:25]
.LBB409_4:
	s_and_b64 vcc, exec, s[20:21]
	s_cbranch_vccz .LBB409_32
; %bb.5:
	s_load_dwordx2 s[20:21], s[0:1], 0x48
	s_mov_b32 s5, 0
	s_lshl_b64 s[24:25], s[4:5], 3
	v_cmp_eq_f64_e64 s[26:27], s[14:15], 0
	v_and_b32_e32 v24, 0x3ff, v0
	s_waitcnt lgkmcnt(0)
	s_add_u32 s20, s20, s24
	s_addc_u32 s21, s21, s25
	s_lshl_b32 s4, s2, 5
	s_lshl_b32 s28, s3, 5
	v_cmp_eq_f64_e64 s[2:3], s[12:13], 0
	s_load_dwordx2 s[20:21], s[20:21], 0x0
	s_and_b64 s[2:3], s[2:3], s[26:27]
	s_cmp_lt_i32 s7, 1
	s_cselect_b64 s[26:27], -1, 0
	s_or_b64 s[2:3], s[2:3], s[26:27]
	v_bfe_u32 v25, v0, 10, 10
	v_mov_b64_e32 v[20:21], 0
	s_and_b64 vcc, exec, s[2:3]
	v_mov_b64_e32 v[22:23], 0
	v_mov_b64_e32 v[16:17], 0
	;; [unrolled: 1-line block ×7, first 2 shown]
	s_cbranch_vccnz .LBB409_16
; %bb.6:
	s_load_dword s29, s[0:1], 0x18
	s_load_dword s26, s[0:1], 0x30
	s_load_dwordx4 s[36:39], s[0:1], 0x20
	v_lshl_add_u32 v0, v25, 4, v24
	v_lshrrev_b32_e32 v27, 5, v0
	v_lshrrev_b32_e32 v1, 3, v0
	s_waitcnt lgkmcnt(0)
	s_ashr_i32 s27, s26, 31
	v_and_b32_e32 v0, 31, v0
	v_or_b32_e32 v3, s4, v0
	s_add_u32 s2, s38, s24
	v_and_b32_e32 v26, 7, v24
	s_addc_u32 s3, s39, s25
	v_cmp_gt_i32_e32 vcc, s6, v3
	v_lshlrev_b32_e32 v3, 4, v0
	s_load_dwordx2 s[30:31], s[2:3], 0x0
	s_add_u32 s2, s22, s24
	v_lshl_or_b32 v28, v27, 9, v3
	v_lshlrev_b32_e32 v3, 4, v26
	v_add_u32_e32 v2, s28, v1
	s_addc_u32 s3, s23, s25
	v_lshl_or_b32 v1, v1, 7, v3
	s_load_dwordx2 s[22:23], s[2:3], 0x0
	v_add_u32_e32 v29, 0x1000, v1
	v_mov_b32_e32 v1, 0x1000
	v_add_u32_e32 v0, s4, v0
	v_lshl_add_u32 v31, v25, 7, v1
	v_mad_i64_i32 v[0:1], s[24:25], s29, v0, 0
	s_lshl_b64 s[24:25], s[36:37], 4
	s_nop 0
	v_lshl_add_u64 v[4:5], v[0:1], 4, s[24:25]
	v_lshlrev_b32_e32 v0, 4, v27
	v_mov_b32_e32 v1, 0
	v_lshl_add_u64 v[4:5], v[4:5], 0, v[0:1]
	s_waitcnt lgkmcnt(0)
	v_lshl_add_u64 v[4:5], s[22:23], 0, v[4:5]
	v_mad_i64_i32 v[6:7], s[22:23], s26, v26, 0
	s_lshl_b64 s[16:17], s[16:17], 4
	v_ashrrev_i32_e32 v3, 31, v2
	v_lshl_add_u64 v[6:7], v[6:7], 4, s[16:17]
	v_cmp_gt_i32_e64 s[2:3], s6, v2
	v_lshl_add_u64 v[2:3], v[2:3], 4, v[6:7]
	v_lshlrev_b32_e32 v30, 4, v24
	v_lshl_add_u64 v[6:7], s[30:31], 0, v[2:3]
	s_lshl_b64 s[16:17], s[26:27], 7
	v_mov_b64_e32 v[8:9], 0
	s_xor_b64 s[22:23], vcc, -1
	s_xor_b64 s[2:3], s[2:3], -1
	s_mov_b64 s[24:25], 0x80
	v_mov_b32_e32 v0, v1
	v_mov_b32_e32 v2, v1
	;; [unrolled: 1-line block ×3, first 2 shown]
	v_mov_b64_e32 v[10:11], 0
	v_mov_b64_e32 v[14:15], 0
	;; [unrolled: 1-line block ×7, first 2 shown]
	s_branch .LBB409_8
.LBB409_7:                              ;   in Loop: Header=BB409_8 Depth=1
	s_or_b64 exec, exec, s[26:27]
	s_waitcnt lgkmcnt(0)
	s_barrier
	ds_read_b128 v[32:35], v30
	ds_read_b128 v[36:39], v31
	ds_read_b128 v[40:43], v31 offset:16
	ds_read_b128 v[44:47], v31 offset:32
	ds_read_b128 v[48:51], v31 offset:48
	ds_read_b128 v[52:55], v30 offset:256
	s_waitcnt lgkmcnt(4)
	v_mul_f64 v[56:57], v[38:39], v[34:35]
	v_fma_f64 v[56:57], v[36:37], v[32:33], -v[56:57]
	v_mul_f64 v[58:59], v[36:37], v[34:35]
	v_fmac_f64_e32 v[58:59], v[38:39], v[32:33]
	v_add_f64 v[56:57], v[20:21], v[56:57]
	s_waitcnt lgkmcnt(0)
	v_mul_f64 v[20:21], v[38:39], v[54:55]
	v_add_f64 v[58:59], v[58:59], v[22:23]
	v_fma_f64 v[60:61], v[36:37], v[52:53], -v[20:21]
	ds_read_b128 v[20:23], v31 offset:2048
	v_mul_f64 v[36:37], v[36:37], v[54:55]
	v_fmac_f64_e32 v[36:37], v[38:39], v[52:53]
	v_add_f64 v[38:39], v[16:17], v[60:61]
	v_add_f64 v[36:37], v[36:37], v[18:19]
	ds_read_b128 v[16:19], v31 offset:2064
	s_waitcnt lgkmcnt(1)
	v_mul_f64 v[60:61], v[22:23], v[34:35]
	v_fma_f64 v[60:61], v[20:21], v[32:33], -v[60:61]
	v_mul_f64 v[34:35], v[20:21], v[34:35]
	v_fmac_f64_e32 v[34:35], v[22:23], v[32:33]
	v_add_f64 v[32:33], v[12:13], v[60:61]
	v_mul_f64 v[12:13], v[22:23], v[54:55]
	v_add_f64 v[34:35], v[34:35], v[14:15]
	v_fma_f64 v[60:61], v[20:21], v[52:53], -v[12:13]
	v_mul_f64 v[20:21], v[20:21], v[54:55]
	ds_read_b128 v[12:15], v30 offset:512
	v_fmac_f64_e32 v[20:21], v[22:23], v[52:53]
	v_add_f64 v[22:23], v[10:11], v[60:61]
	v_add_f64 v[20:21], v[20:21], v[8:9]
	ds_read_b128 v[8:11], v30 offset:768
	s_waitcnt lgkmcnt(1)
	v_mul_f64 v[52:53], v[42:43], v[14:15]
	v_fma_f64 v[52:53], v[40:41], v[12:13], -v[52:53]
	v_add_f64 v[52:53], v[56:57], v[52:53]
	v_mul_f64 v[54:55], v[40:41], v[14:15]
	s_waitcnt lgkmcnt(0)
	v_mul_f64 v[56:57], v[42:43], v[10:11]
	v_fma_f64 v[56:57], v[40:41], v[8:9], -v[56:57]
	v_mul_f64 v[40:41], v[40:41], v[10:11]
	v_fmac_f64_e32 v[40:41], v[42:43], v[8:9]
	v_add_f64 v[36:37], v[40:41], v[36:37]
	v_mul_f64 v[40:41], v[18:19], v[14:15]
	v_mul_f64 v[14:15], v[16:17], v[14:15]
	v_fmac_f64_e32 v[54:55], v[42:43], v[12:13]
	v_fma_f64 v[40:41], v[16:17], v[12:13], -v[40:41]
	v_fmac_f64_e32 v[14:15], v[18:19], v[12:13]
	v_mul_f64 v[12:13], v[18:19], v[10:11]
	v_add_f64 v[42:43], v[14:15], v[34:35]
	v_fma_f64 v[14:15], v[16:17], v[8:9], -v[12:13]
	v_mul_f64 v[16:17], v[16:17], v[10:11]
	ds_read_b128 v[10:13], v30 offset:1024
	v_fmac_f64_e32 v[16:17], v[18:19], v[8:9]
	v_add_f64 v[38:39], v[38:39], v[56:57]
	v_add_f64 v[22:23], v[22:23], v[14:15]
	;; [unrolled: 1-line block ×3, first 2 shown]
	ds_read_b128 v[14:17], v30 offset:1280
	s_waitcnt lgkmcnt(1)
	v_mul_f64 v[18:19], v[44:45], v[12:13]
	v_add_f64 v[54:55], v[54:55], v[58:59]
	v_fmac_f64_e32 v[18:19], v[46:47], v[10:11]
	v_add_f64 v[54:55], v[18:19], v[54:55]
	ds_read_b128 v[18:21], v31 offset:2080
	v_mul_f64 v[8:9], v[46:47], v[12:13]
	v_fma_f64 v[8:9], v[44:45], v[10:11], -v[8:9]
	v_add_f64 v[40:41], v[32:33], v[40:41]
	v_add_f64 v[52:53], v[52:53], v[8:9]
	s_waitcnt lgkmcnt(1)
	v_mul_f64 v[8:9], v[46:47], v[16:17]
	v_mul_f64 v[32:33], v[44:45], v[16:17]
	v_fma_f64 v[8:9], v[44:45], v[14:15], -v[8:9]
	v_fmac_f64_e32 v[32:33], v[46:47], v[14:15]
	v_add_f64 v[38:39], v[38:39], v[8:9]
	v_add_f64 v[36:37], v[32:33], v[36:37]
	ds_read_b128 v[32:35], v31 offset:2096
	s_waitcnt lgkmcnt(1)
	v_mul_f64 v[8:9], v[20:21], v[12:13]
	v_fma_f64 v[8:9], v[18:19], v[10:11], -v[8:9]
	v_mul_f64 v[12:13], v[18:19], v[12:13]
	v_fmac_f64_e32 v[12:13], v[20:21], v[10:11]
	v_add_f64 v[40:41], v[40:41], v[8:9]
	v_mul_f64 v[8:9], v[20:21], v[16:17]
	v_add_f64 v[42:43], v[12:13], v[42:43]
	v_fma_f64 v[12:13], v[18:19], v[14:15], -v[8:9]
	ds_read_b128 v[8:11], v30 offset:1536
	v_mul_f64 v[16:17], v[18:19], v[16:17]
	v_fmac_f64_e32 v[16:17], v[20:21], v[14:15]
	v_add_f64 v[18:19], v[22:23], v[12:13]
	ds_read_b128 v[12:15], v30 offset:1792
	s_waitcnt lgkmcnt(1)
	v_mul_f64 v[20:21], v[50:51], v[10:11]
	v_fma_f64 v[20:21], v[48:49], v[8:9], -v[20:21]
	v_mul_f64 v[22:23], v[48:49], v[10:11]
	v_fmac_f64_e32 v[22:23], v[50:51], v[8:9]
	v_add_f64 v[44:45], v[52:53], v[20:21]
	s_waitcnt lgkmcnt(0)
	v_mul_f64 v[20:21], v[50:51], v[14:15]
	v_add_f64 v[46:47], v[22:23], v[54:55]
	v_fma_f64 v[20:21], v[48:49], v[12:13], -v[20:21]
	v_mul_f64 v[22:23], v[48:49], v[14:15]
	v_fmac_f64_e32 v[22:23], v[50:51], v[12:13]
	v_add_f64 v[38:39], v[38:39], v[20:21]
	v_mul_f64 v[20:21], v[34:35], v[10:11]
	v_mul_f64 v[10:11], v[32:33], v[10:11]
	v_add_f64 v[36:37], v[22:23], v[36:37]
	v_fma_f64 v[20:21], v[32:33], v[8:9], -v[20:21]
	v_fmac_f64_e32 v[10:11], v[34:35], v[8:9]
	v_mul_f64 v[8:9], v[34:35], v[14:15]
	v_mul_f64 v[22:23], v[32:33], v[14:15]
	v_add_f64 v[40:41], v[40:41], v[20:21]
	v_add_f64 v[42:43], v[10:11], v[42:43]
	v_fma_f64 v[20:21], v[32:33], v[12:13], -v[8:9]
	v_fmac_f64_e32 v[22:23], v[34:35], v[12:13]
	ds_read_b128 v[8:11], v31 offset:64
	ds_read_b128 v[12:15], v30 offset:2048
	v_add_f64 v[16:17], v[16:17], v[56:57]
	v_add_f64 v[48:49], v[18:19], v[20:21]
	;; [unrolled: 1-line block ×3, first 2 shown]
	ds_read_b128 v[16:19], v30 offset:2304
	ds_read_b128 v[20:23], v31 offset:80
	s_waitcnt lgkmcnt(2)
	v_mul_f64 v[32:33], v[10:11], v[14:15]
	v_fma_f64 v[32:33], v[8:9], v[12:13], -v[32:33]
	v_mul_f64 v[34:35], v[8:9], v[14:15]
	v_fmac_f64_e32 v[34:35], v[10:11], v[12:13]
	v_add_f64 v[44:45], v[44:45], v[32:33]
	s_waitcnt lgkmcnt(1)
	v_mul_f64 v[32:33], v[10:11], v[18:19]
	v_add_f64 v[46:47], v[34:35], v[46:47]
	v_fma_f64 v[52:53], v[8:9], v[16:17], -v[32:33]
	ds_read_b128 v[32:35], v31 offset:2112
	v_mul_f64 v[8:9], v[8:9], v[18:19]
	v_fmac_f64_e32 v[8:9], v[10:11], v[16:17]
	v_add_f64 v[38:39], v[38:39], v[52:53]
	v_add_f64 v[36:37], v[8:9], v[36:37]
	ds_read_b128 v[8:11], v31 offset:2128
	s_waitcnt lgkmcnt(1)
	v_mul_f64 v[52:53], v[34:35], v[14:15]
	v_mul_f64 v[14:15], v[32:33], v[14:15]
	v_fma_f64 v[52:53], v[32:33], v[12:13], -v[52:53]
	v_fmac_f64_e32 v[14:15], v[34:35], v[12:13]
	v_mul_f64 v[12:13], v[34:35], v[18:19]
	v_add_f64 v[40:41], v[40:41], v[52:53]
	v_add_f64 v[42:43], v[14:15], v[42:43]
	v_fma_f64 v[52:53], v[32:33], v[16:17], -v[12:13]
	v_mul_f64 v[18:19], v[32:33], v[18:19]
	ds_read_b128 v[12:15], v30 offset:2560
	v_fmac_f64_e32 v[18:19], v[34:35], v[16:17]
	v_add_f64 v[34:35], v[18:19], v[50:51]
	ds_read_b128 v[16:19], v30 offset:2816
	v_add_f64 v[32:33], v[48:49], v[52:53]
	s_waitcnt lgkmcnt(1)
	v_mul_f64 v[48:49], v[22:23], v[14:15]
	v_fma_f64 v[48:49], v[20:21], v[12:13], -v[48:49]
	v_add_f64 v[44:45], v[44:45], v[48:49]
	s_waitcnt lgkmcnt(0)
	v_mul_f64 v[48:49], v[22:23], v[18:19]
	v_mul_f64 v[50:51], v[20:21], v[14:15]
	v_fma_f64 v[48:49], v[20:21], v[16:17], -v[48:49]
	v_mul_f64 v[20:21], v[20:21], v[18:19]
	v_fmac_f64_e32 v[20:21], v[22:23], v[16:17]
	v_add_f64 v[36:37], v[20:21], v[36:37]
	v_mul_f64 v[20:21], v[10:11], v[14:15]
	v_mul_f64 v[14:15], v[8:9], v[14:15]
	v_fmac_f64_e32 v[50:51], v[22:23], v[12:13]
	v_fma_f64 v[20:21], v[8:9], v[12:13], -v[20:21]
	v_fmac_f64_e32 v[14:15], v[10:11], v[12:13]
	v_mul_f64 v[12:13], v[10:11], v[18:19]
	v_mul_f64 v[18:19], v[8:9], v[18:19]
	v_add_f64 v[40:41], v[40:41], v[20:21]
	v_add_f64 v[42:43], v[14:15], v[42:43]
	v_fma_f64 v[20:21], v[8:9], v[16:17], -v[12:13]
	v_fmac_f64_e32 v[18:19], v[10:11], v[16:17]
	ds_read_b128 v[8:11], v31 offset:96
	ds_read_b128 v[12:15], v30 offset:3072
	v_add_f64 v[46:47], v[50:51], v[46:47]
	v_add_f64 v[38:39], v[38:39], v[48:49]
	;; [unrolled: 1-line block ×4, first 2 shown]
	ds_read_b128 v[16:19], v30 offset:3328
	ds_read_b128 v[32:35], v31 offset:112
	s_waitcnt lgkmcnt(2)
	v_mul_f64 v[20:21], v[10:11], v[14:15]
	v_fma_f64 v[20:21], v[8:9], v[12:13], -v[20:21]
	v_mul_f64 v[22:23], v[8:9], v[14:15]
	v_fmac_f64_e32 v[22:23], v[10:11], v[12:13]
	v_add_f64 v[44:45], v[44:45], v[20:21]
	s_waitcnt lgkmcnt(1)
	v_mul_f64 v[20:21], v[10:11], v[18:19]
	v_add_f64 v[46:47], v[22:23], v[46:47]
	v_fma_f64 v[52:53], v[8:9], v[16:17], -v[20:21]
	ds_read_b128 v[20:23], v31 offset:2144
	v_mul_f64 v[8:9], v[8:9], v[18:19]
	v_fmac_f64_e32 v[8:9], v[10:11], v[16:17]
	v_add_f64 v[54:55], v[8:9], v[36:37]
	ds_read_b128 v[8:11], v31 offset:2160
	s_waitcnt lgkmcnt(1)
	v_mul_f64 v[36:37], v[22:23], v[14:15]
	v_mul_f64 v[14:15], v[20:21], v[14:15]
	v_fma_f64 v[36:37], v[20:21], v[12:13], -v[36:37]
	v_fmac_f64_e32 v[14:15], v[22:23], v[12:13]
	v_mul_f64 v[12:13], v[22:23], v[18:19]
	v_add_f64 v[40:41], v[40:41], v[36:37]
	v_add_f64 v[42:43], v[14:15], v[42:43]
	v_fma_f64 v[36:37], v[20:21], v[16:17], -v[12:13]
	ds_read_b128 v[12:15], v30 offset:3584
	v_add_f64 v[52:53], v[38:39], v[52:53]
	v_add_f64 v[48:49], v[48:49], v[36:37]
	ds_read_b128 v[36:39], v30 offset:3840
	v_mul_f64 v[18:19], v[20:21], v[18:19]
	v_fmac_f64_e32 v[18:19], v[22:23], v[16:17]
	s_waitcnt lgkmcnt(1)
	v_mul_f64 v[16:17], v[34:35], v[14:15]
	v_add_f64 v[50:51], v[18:19], v[50:51]
	v_fma_f64 v[16:17], v[32:33], v[12:13], -v[16:17]
	v_mul_f64 v[18:19], v[32:33], v[14:15]
	v_fmac_f64_e32 v[18:19], v[34:35], v[12:13]
	v_add_f64 v[20:21], v[44:45], v[16:17]
	s_waitcnt lgkmcnt(0)
	v_mul_f64 v[16:17], v[34:35], v[38:39]
	v_add_f64 v[22:23], v[18:19], v[46:47]
	v_fma_f64 v[16:17], v[32:33], v[36:37], -v[16:17]
	v_mul_f64 v[18:19], v[32:33], v[38:39]
	v_mul_f64 v[32:33], v[10:11], v[14:15]
	v_fma_f64 v[32:33], v[8:9], v[12:13], -v[32:33]
	v_mul_f64 v[14:15], v[8:9], v[14:15]
	v_fmac_f64_e32 v[14:15], v[10:11], v[12:13]
	v_add_f64 v[12:13], v[40:41], v[32:33]
	v_mul_f64 v[32:33], v[10:11], v[38:39]
	v_fma_f64 v[32:33], v[8:9], v[36:37], -v[32:33]
	v_mul_f64 v[8:9], v[8:9], v[38:39]
	v_fmac_f64_e32 v[18:19], v[34:35], v[36:37]
	v_fmac_f64_e32 v[8:9], v[10:11], v[36:37]
	s_add_i32 s5, s5, 8
	v_add_f64 v[16:17], v[52:53], v[16:17]
	v_add_f64 v[18:19], v[18:19], v[54:55]
	;; [unrolled: 1-line block ×5, first 2 shown]
	v_lshl_add_u64 v[4:5], v[4:5], 0, s[24:25]
	s_cmp_lt_i32 s5, s7
	v_lshl_add_u64 v[6:7], v[6:7], 0, s[16:17]
	s_barrier
	s_cbranch_scc0 .LBB409_16
.LBB409_8:                              ; =>This Inner Loop Header: Depth=1
	v_add_u32_e32 v32, s5, v27
	v_cmp_le_i32_e32 vcc, s7, v32
	s_or_b64 s[26:27], s[22:23], vcc
	s_and_saveexec_b64 s[30:31], s[26:27]
	s_xor_b64 s[26:27], exec, s[30:31]
; %bb.9:                                ;   in Loop: Header=BB409_8 Depth=1
	ds_write_b128 v28, v[0:3]
; %bb.10:                               ;   in Loop: Header=BB409_8 Depth=1
	s_andn2_saveexec_b64 s[26:27], s[26:27]
	s_cbranch_execz .LBB409_12
; %bb.11:                               ;   in Loop: Header=BB409_8 Depth=1
	flat_load_dwordx4 v[32:35], v[4:5]
	s_waitcnt vmcnt(0) lgkmcnt(0)
	ds_write2_b64 v28, v[32:33], v[34:35] offset1:1
.LBB409_12:                             ;   in Loop: Header=BB409_8 Depth=1
	s_or_b64 exec, exec, s[26:27]
	v_add_u32_e32 v32, s5, v26
	v_cmp_le_i32_e32 vcc, s7, v32
	s_or_b64 s[26:27], vcc, s[2:3]
	s_and_saveexec_b64 s[30:31], s[26:27]
	s_xor_b64 s[26:27], exec, s[30:31]
; %bb.13:                               ;   in Loop: Header=BB409_8 Depth=1
	ds_write_b128 v29, v[0:3]
; %bb.14:                               ;   in Loop: Header=BB409_8 Depth=1
	s_andn2_saveexec_b64 s[26:27], s[26:27]
	s_cbranch_execz .LBB409_7
; %bb.15:                               ;   in Loop: Header=BB409_8 Depth=1
	flat_load_dwordx4 v[32:35], v[6:7]
	s_waitcnt vmcnt(0) lgkmcnt(0)
	ds_write2_b64 v29, v[32:33], v[34:35] offset1:1
	s_branch .LBB409_7
.LBB409_16:
	s_load_dwordx2 s[2:3], s[0:1], 0x58
	s_load_dword s22, s[0:1], 0x50
	v_add_u32_e32 v4, s4, v24
	v_add_u32_e32 v26, s28, v25
	v_cmp_neq_f64_e64 s[0:1], s[8:9], 0
	s_waitcnt lgkmcnt(0)
	s_lshl_b64 s[2:3], s[2:3], 4
	s_add_u32 s16, s20, s2
	s_addc_u32 s17, s21, s3
	s_xor_b64 s[4:5], s[18:19], -1
	v_mad_i64_i32 v[0:1], s[2:3], v26, s22, 0
	s_or_b64 s[0:1], s[0:1], s[4:5]
	v_lshl_add_u64 v[24:25], v[0:1], 4, s[16:17]
	v_cmp_le_i32_e32 vcc, v26, v4
	v_cmp_gt_i32_e64 s[2:3], s6, v4
	v_cndmask_b32_e64 v0, 0, 1, s[0:1]
	s_and_b64 s[18:19], vcc, s[2:3]
	v_ashrrev_i32_e32 v5, 31, v4
	v_cmp_ne_u32_e64 s[0:1], 1, v0
	s_and_saveexec_b64 s[4:5], s[18:19]
	s_cbranch_execz .LBB409_20
; %bb.17:
	v_mul_f64 v[0:1], s[14:15], v[22:23]
	v_mul_f64 v[2:3], s[12:13], v[22:23]
	v_fma_f64 v[0:1], s[12:13], v[20:21], -v[0:1]
	v_fmac_f64_e32 v[2:3], s[14:15], v[20:21]
	s_and_b64 vcc, exec, s[0:1]
	v_lshl_add_u64 v[6:7], v[4:5], 4, v[24:25]
	s_cbranch_vccnz .LBB409_19
; %bb.18:
	flat_load_dwordx4 v[20:23], v[6:7]
	s_waitcnt vmcnt(0) lgkmcnt(0)
	v_mul_f64 v[28:29], s[10:11], v[22:23]
	v_mul_f64 v[22:23], s[8:9], v[22:23]
	v_fma_f64 v[28:29], s[8:9], v[20:21], -v[28:29]
	v_fmac_f64_e32 v[22:23], s[10:11], v[20:21]
	v_add_f64 v[0:1], v[0:1], v[28:29]
	v_add_f64 v[2:3], v[2:3], v[22:23]
.LBB409_19:
	flat_store_dwordx4 v[6:7], v[0:3]
.LBB409_20:
	s_or_b64 exec, exec, s[4:5]
	v_add_u32_e32 v6, 16, v4
	v_cmp_le_i32_e32 vcc, v26, v6
	v_cmp_gt_i32_e64 s[4:5], s6, v6
	s_and_b64 s[18:19], vcc, s[4:5]
	v_ashrrev_i32_e32 v7, 31, v6
	s_and_saveexec_b64 s[6:7], s[18:19]
	s_cbranch_execz .LBB409_24
; %bb.21:
	v_mul_f64 v[0:1], s[14:15], v[18:19]
	v_mul_f64 v[2:3], s[12:13], v[18:19]
	v_fma_f64 v[0:1], s[12:13], v[16:17], -v[0:1]
	v_fmac_f64_e32 v[2:3], s[14:15], v[16:17]
	s_and_b64 vcc, exec, s[0:1]
	v_lshl_add_u64 v[16:17], v[6:7], 4, v[24:25]
	s_cbranch_vccnz .LBB409_23
; %bb.22:
	flat_load_dwordx4 v[18:21], v[16:17]
	s_waitcnt vmcnt(0) lgkmcnt(0)
	v_mul_f64 v[22:23], s[10:11], v[20:21]
	v_mul_f64 v[20:21], s[8:9], v[20:21]
	v_fma_f64 v[22:23], s[8:9], v[18:19], -v[22:23]
	v_fmac_f64_e32 v[20:21], s[10:11], v[18:19]
	v_add_f64 v[0:1], v[0:1], v[22:23]
	v_add_f64 v[2:3], v[2:3], v[20:21]
.LBB409_23:
	flat_store_dwordx4 v[16:17], v[0:3]
.LBB409_24:
	s_or_b64 exec, exec, s[6:7]
	v_add_u32_e32 v18, 16, v26
	v_mad_i64_i32 v[0:1], s[6:7], v18, s22, 0
	v_cmp_le_i32_e32 vcc, v18, v4
	v_lshl_add_u64 v[16:17], v[0:1], 4, s[16:17]
	s_and_b64 s[6:7], vcc, s[2:3]
	s_and_saveexec_b64 s[2:3], s[6:7]
	s_cbranch_execz .LBB409_28
; %bb.25:
	v_mul_f64 v[0:1], s[14:15], v[14:15]
	v_mul_f64 v[2:3], s[12:13], v[14:15]
	v_fma_f64 v[0:1], s[12:13], v[12:13], -v[0:1]
	v_fmac_f64_e32 v[2:3], s[14:15], v[12:13]
	s_and_b64 vcc, exec, s[0:1]
	v_lshl_add_u64 v[4:5], v[4:5], 4, v[16:17]
	s_cbranch_vccnz .LBB409_27
; %bb.26:
	flat_load_dwordx4 v[12:15], v[4:5]
	s_waitcnt vmcnt(0) lgkmcnt(0)
	v_mul_f64 v[20:21], s[10:11], v[14:15]
	v_mul_f64 v[14:15], s[8:9], v[14:15]
	v_fma_f64 v[20:21], s[8:9], v[12:13], -v[20:21]
	v_fmac_f64_e32 v[14:15], s[10:11], v[12:13]
	v_add_f64 v[0:1], v[0:1], v[20:21]
	v_add_f64 v[2:3], v[2:3], v[14:15]
.LBB409_27:
	flat_store_dwordx4 v[4:5], v[0:3]
.LBB409_28:
	s_or_b64 exec, exec, s[2:3]
	v_cmp_le_i32_e32 vcc, v18, v6
	s_and_b64 s[2:3], vcc, s[4:5]
	s_and_saveexec_b64 s[4:5], s[2:3]
	s_cbranch_execz .LBB409_32
; %bb.29:
	v_mul_f64 v[0:1], s[14:15], v[8:9]
	v_mul_f64 v[2:3], s[12:13], v[8:9]
	v_fma_f64 v[0:1], s[12:13], v[10:11], -v[0:1]
	v_fmac_f64_e32 v[2:3], s[14:15], v[10:11]
	s_and_b64 vcc, exec, s[0:1]
	v_lshl_add_u64 v[4:5], v[6:7], 4, v[16:17]
	s_cbranch_vccnz .LBB409_31
; %bb.30:
	flat_load_dwordx4 v[6:9], v[4:5]
	s_waitcnt vmcnt(0) lgkmcnt(0)
	v_mul_f64 v[10:11], s[10:11], v[8:9]
	v_mul_f64 v[8:9], s[8:9], v[8:9]
	v_fma_f64 v[10:11], s[8:9], v[6:7], -v[10:11]
	v_fmac_f64_e32 v[8:9], s[10:11], v[6:7]
	v_add_f64 v[0:1], v[0:1], v[10:11]
	v_add_f64 v[2:3], v[2:3], v[8:9]
.LBB409_31:
	flat_store_dwordx4 v[4:5], v[0:3]
.LBB409_32:
	s_endpgm
	.section	.rodata,"a",@progbits
	.p2align	6, 0x0
	.amdhsa_kernel _ZL29rocblas_internal_gemmt_kernelIiLi16ELi32ELi8ELc84ELc84ELc76ELb0ELb0E19rocblas_complex_numIdEPKS1_PKS3_PKPS1_EviT_T9_T10_S9_lSB_S9_lSA_T11_S9_li
		.amdhsa_group_segment_fixed_size 8192
		.amdhsa_private_segment_fixed_size 0
		.amdhsa_kernarg_size 100
		.amdhsa_user_sgpr_count 2
		.amdhsa_user_sgpr_dispatch_ptr 0
		.amdhsa_user_sgpr_queue_ptr 0
		.amdhsa_user_sgpr_kernarg_segment_ptr 1
		.amdhsa_user_sgpr_dispatch_id 0
		.amdhsa_user_sgpr_kernarg_preload_length 0
		.amdhsa_user_sgpr_kernarg_preload_offset 0
		.amdhsa_user_sgpr_private_segment_size 0
		.amdhsa_uses_dynamic_stack 0
		.amdhsa_enable_private_segment 0
		.amdhsa_system_sgpr_workgroup_id_x 1
		.amdhsa_system_sgpr_workgroup_id_y 1
		.amdhsa_system_sgpr_workgroup_id_z 1
		.amdhsa_system_sgpr_workgroup_info 0
		.amdhsa_system_vgpr_workitem_id 1
		.amdhsa_next_free_vgpr 62
		.amdhsa_next_free_sgpr 40
		.amdhsa_accum_offset 64
		.amdhsa_reserve_vcc 1
		.amdhsa_float_round_mode_32 0
		.amdhsa_float_round_mode_16_64 0
		.amdhsa_float_denorm_mode_32 3
		.amdhsa_float_denorm_mode_16_64 3
		.amdhsa_dx10_clamp 1
		.amdhsa_ieee_mode 1
		.amdhsa_fp16_overflow 0
		.amdhsa_tg_split 0
		.amdhsa_exception_fp_ieee_invalid_op 0
		.amdhsa_exception_fp_denorm_src 0
		.amdhsa_exception_fp_ieee_div_zero 0
		.amdhsa_exception_fp_ieee_overflow 0
		.amdhsa_exception_fp_ieee_underflow 0
		.amdhsa_exception_fp_ieee_inexact 0
		.amdhsa_exception_int_div_zero 0
	.end_amdhsa_kernel
	.section	.text._ZL29rocblas_internal_gemmt_kernelIiLi16ELi32ELi8ELc84ELc84ELc76ELb0ELb0E19rocblas_complex_numIdEPKS1_PKS3_PKPS1_EviT_T9_T10_S9_lSB_S9_lSA_T11_S9_li,"axG",@progbits,_ZL29rocblas_internal_gemmt_kernelIiLi16ELi32ELi8ELc84ELc84ELc76ELb0ELb0E19rocblas_complex_numIdEPKS1_PKS3_PKPS1_EviT_T9_T10_S9_lSB_S9_lSA_T11_S9_li,comdat
.Lfunc_end409:
	.size	_ZL29rocblas_internal_gemmt_kernelIiLi16ELi32ELi8ELc84ELc84ELc76ELb0ELb0E19rocblas_complex_numIdEPKS1_PKS3_PKPS1_EviT_T9_T10_S9_lSB_S9_lSA_T11_S9_li, .Lfunc_end409-_ZL29rocblas_internal_gemmt_kernelIiLi16ELi32ELi8ELc84ELc84ELc76ELb0ELb0E19rocblas_complex_numIdEPKS1_PKS3_PKPS1_EviT_T9_T10_S9_lSB_S9_lSA_T11_S9_li
                                        ; -- End function
	.set _ZL29rocblas_internal_gemmt_kernelIiLi16ELi32ELi8ELc84ELc84ELc76ELb0ELb0E19rocblas_complex_numIdEPKS1_PKS3_PKPS1_EviT_T9_T10_S9_lSB_S9_lSA_T11_S9_li.num_vgpr, 62
	.set _ZL29rocblas_internal_gemmt_kernelIiLi16ELi32ELi8ELc84ELc84ELc76ELb0ELb0E19rocblas_complex_numIdEPKS1_PKS3_PKPS1_EviT_T9_T10_S9_lSB_S9_lSA_T11_S9_li.num_agpr, 0
	.set _ZL29rocblas_internal_gemmt_kernelIiLi16ELi32ELi8ELc84ELc84ELc76ELb0ELb0E19rocblas_complex_numIdEPKS1_PKS3_PKPS1_EviT_T9_T10_S9_lSB_S9_lSA_T11_S9_li.numbered_sgpr, 40
	.set _ZL29rocblas_internal_gemmt_kernelIiLi16ELi32ELi8ELc84ELc84ELc76ELb0ELb0E19rocblas_complex_numIdEPKS1_PKS3_PKPS1_EviT_T9_T10_S9_lSB_S9_lSA_T11_S9_li.num_named_barrier, 0
	.set _ZL29rocblas_internal_gemmt_kernelIiLi16ELi32ELi8ELc84ELc84ELc76ELb0ELb0E19rocblas_complex_numIdEPKS1_PKS3_PKPS1_EviT_T9_T10_S9_lSB_S9_lSA_T11_S9_li.private_seg_size, 0
	.set _ZL29rocblas_internal_gemmt_kernelIiLi16ELi32ELi8ELc84ELc84ELc76ELb0ELb0E19rocblas_complex_numIdEPKS1_PKS3_PKPS1_EviT_T9_T10_S9_lSB_S9_lSA_T11_S9_li.uses_vcc, 1
	.set _ZL29rocblas_internal_gemmt_kernelIiLi16ELi32ELi8ELc84ELc84ELc76ELb0ELb0E19rocblas_complex_numIdEPKS1_PKS3_PKPS1_EviT_T9_T10_S9_lSB_S9_lSA_T11_S9_li.uses_flat_scratch, 0
	.set _ZL29rocblas_internal_gemmt_kernelIiLi16ELi32ELi8ELc84ELc84ELc76ELb0ELb0E19rocblas_complex_numIdEPKS1_PKS3_PKPS1_EviT_T9_T10_S9_lSB_S9_lSA_T11_S9_li.has_dyn_sized_stack, 0
	.set _ZL29rocblas_internal_gemmt_kernelIiLi16ELi32ELi8ELc84ELc84ELc76ELb0ELb0E19rocblas_complex_numIdEPKS1_PKS3_PKPS1_EviT_T9_T10_S9_lSB_S9_lSA_T11_S9_li.has_recursion, 0
	.set _ZL29rocblas_internal_gemmt_kernelIiLi16ELi32ELi8ELc84ELc84ELc76ELb0ELb0E19rocblas_complex_numIdEPKS1_PKS3_PKPS1_EviT_T9_T10_S9_lSB_S9_lSA_T11_S9_li.has_indirect_call, 0
	.section	.AMDGPU.csdata,"",@progbits
; Kernel info:
; codeLenInByte = 3136
; TotalNumSgprs: 46
; NumVgprs: 62
; NumAgprs: 0
; TotalNumVgprs: 62
; ScratchSize: 0
; MemoryBound: 0
; FloatMode: 240
; IeeeMode: 1
; LDSByteSize: 8192 bytes/workgroup (compile time only)
; SGPRBlocks: 5
; VGPRBlocks: 7
; NumSGPRsForWavesPerEU: 46
; NumVGPRsForWavesPerEU: 62
; AccumOffset: 64
; Occupancy: 8
; WaveLimiterHint : 1
; COMPUTE_PGM_RSRC2:SCRATCH_EN: 0
; COMPUTE_PGM_RSRC2:USER_SGPR: 2
; COMPUTE_PGM_RSRC2:TRAP_HANDLER: 0
; COMPUTE_PGM_RSRC2:TGID_X_EN: 1
; COMPUTE_PGM_RSRC2:TGID_Y_EN: 1
; COMPUTE_PGM_RSRC2:TGID_Z_EN: 1
; COMPUTE_PGM_RSRC2:TIDIG_COMP_CNT: 1
; COMPUTE_PGM_RSRC3_GFX90A:ACCUM_OFFSET: 15
; COMPUTE_PGM_RSRC3_GFX90A:TG_SPLIT: 0
	.section	.text._ZL29rocblas_internal_gemmt_kernelIiLi16ELi32ELi8ELc84ELc67ELc76ELb0ELb1E19rocblas_complex_numIdEPKS1_PKS3_PKPS1_EviT_T9_T10_S9_lSB_S9_lSA_T11_S9_li,"axG",@progbits,_ZL29rocblas_internal_gemmt_kernelIiLi16ELi32ELi8ELc84ELc67ELc76ELb0ELb1E19rocblas_complex_numIdEPKS1_PKS3_PKPS1_EviT_T9_T10_S9_lSB_S9_lSA_T11_S9_li,comdat
	.globl	_ZL29rocblas_internal_gemmt_kernelIiLi16ELi32ELi8ELc84ELc67ELc76ELb0ELb1E19rocblas_complex_numIdEPKS1_PKS3_PKPS1_EviT_T9_T10_S9_lSB_S9_lSA_T11_S9_li ; -- Begin function _ZL29rocblas_internal_gemmt_kernelIiLi16ELi32ELi8ELc84ELc67ELc76ELb0ELb1E19rocblas_complex_numIdEPKS1_PKS3_PKPS1_EviT_T9_T10_S9_lSB_S9_lSA_T11_S9_li
	.p2align	8
	.type	_ZL29rocblas_internal_gemmt_kernelIiLi16ELi32ELi8ELc84ELc67ELc76ELb0ELb1E19rocblas_complex_numIdEPKS1_PKS3_PKPS1_EviT_T9_T10_S9_lSB_S9_lSA_T11_S9_li,@function
_ZL29rocblas_internal_gemmt_kernelIiLi16ELi32ELi8ELc84ELc67ELc76ELb0ELb1E19rocblas_complex_numIdEPKS1_PKS3_PKPS1_EviT_T9_T10_S9_lSB_S9_lSA_T11_S9_li: ; @_ZL29rocblas_internal_gemmt_kernelIiLi16ELi32ELi8ELc84ELc67ELc76ELb0ELb1E19rocblas_complex_numIdEPKS1_PKS3_PKPS1_EviT_T9_T10_S9_lSB_S9_lSA_T11_S9_li
; %bb.0:
	s_load_dwordx4 s[16:19], s[0:1], 0x38
	s_load_dwordx4 s[20:23], s[0:1], 0x8
	s_mov_b64 s[24:25], 0
	s_waitcnt lgkmcnt(0)
	s_load_dwordx4 s[8:11], s[18:19], 0x0
	s_load_dwordx2 s[6:7], s[0:1], 0x0
	s_load_dwordx4 s[12:15], s[20:21], 0x0
	s_waitcnt lgkmcnt(0)
	v_cmp_eq_f64_e64 s[20:21], s[8:9], 1.0
	v_cmp_eq_f64_e64 s[18:19], s[10:11], 0
	s_and_b64 s[20:21], s[20:21], s[18:19]
	s_andn2_b64 vcc, exec, s[20:21]
	s_mov_b64 s[20:21], -1
	s_cbranch_vccnz .LBB410_4
; %bb.1:
	s_cmp_lg_u32 s7, 0
	s_cbranch_scc0 .LBB410_3
; %bb.2:
	v_cmp_neq_f64_e64 s[20:21], s[12:13], 0
	v_cmp_neq_f64_e64 s[24:25], s[14:15], 0
	s_or_b64 s[24:25], s[20:21], s[24:25]
.LBB410_3:
	s_mov_b64 s[20:21], s[24:25]
.LBB410_4:
	s_and_b64 vcc, exec, s[20:21]
	s_cbranch_vccz .LBB410_30
; %bb.5:
	s_load_dwordx2 s[20:21], s[0:1], 0x48
	s_mov_b32 s5, 0
	s_lshl_b64 s[24:25], s[4:5], 3
	v_cmp_eq_f64_e64 s[28:29], s[14:15], 0
	v_and_b32_e32 v28, 0x3ff, v0
	s_waitcnt lgkmcnt(0)
	s_add_u32 s20, s20, s24
	s_addc_u32 s21, s21, s25
	s_lshl_b32 s4, s2, 5
	s_lshl_b32 s26, s3, 5
	v_cmp_eq_f64_e64 s[2:3], s[12:13], 0
	s_load_dwordx2 s[20:21], s[20:21], 0x0
	s_and_b64 s[2:3], s[2:3], s[28:29]
	s_cmp_lt_i32 s7, 1
	s_cselect_b64 s[28:29], -1, 0
	s_or_b64 s[2:3], s[2:3], s[28:29]
	v_bfe_u32 v29, v0, 10, 10
	v_mov_b64_e32 v[24:25], 0
	s_and_b64 vcc, exec, s[2:3]
	v_mov_b64_e32 v[26:27], 0
	v_mov_b64_e32 v[20:21], 0
	;; [unrolled: 1-line block ×7, first 2 shown]
	s_cbranch_vccnz .LBB410_14
; %bb.6:
	s_load_dword s27, s[0:1], 0x18
	s_load_dword s34, s[0:1], 0x30
	s_load_dwordx4 s[28:31], s[0:1], 0x20
	v_lshl_add_u32 v0, v29, 4, v28
	v_lshrrev_b32_e32 v31, 5, v0
	v_lshrrev_b32_e32 v1, 3, v0
	s_waitcnt lgkmcnt(0)
	s_ashr_i32 s35, s34, 31
	s_add_u32 s2, s30, s24
	s_addc_u32 s3, s31, s25
	v_and_b32_e32 v0, 31, v0
	s_load_dwordx2 s[30:31], s[2:3], 0x0
	s_add_u32 s2, s22, s24
	v_or_b32_e32 v3, s4, v0
	s_addc_u32 s3, s23, s25
	v_and_b32_e32 v30, 7, v28
	s_load_dwordx2 s[22:23], s[2:3], 0x0
	v_cmp_gt_i32_e64 s[2:3], s6, v3
	v_lshlrev_b32_e32 v3, 4, v0
	v_lshl_or_b32 v32, v31, 9, v3
	v_lshlrev_b32_e32 v3, 4, v30
	v_add_u32_e32 v2, s26, v1
	v_lshl_or_b32 v1, v1, 7, v3
	v_add_u32_e32 v33, 0x1000, v1
	v_mov_b32_e32 v1, 0x1000
	v_add_u32_e32 v0, s4, v0
	v_lshl_add_u32 v35, v29, 7, v1
	v_mad_i64_i32 v[0:1], s[24:25], s27, v0, 0
	s_lshl_b64 s[24:25], s[28:29], 4
	s_nop 0
	v_lshl_add_u64 v[4:5], v[0:1], 4, s[24:25]
	v_lshlrev_b32_e32 v0, 4, v31
	v_mov_b32_e32 v1, 0
	v_lshl_add_u64 v[4:5], v[4:5], 0, v[0:1]
	s_waitcnt lgkmcnt(0)
	v_lshl_add_u64 v[8:9], s[22:23], 0, v[4:5]
	v_mad_i64_i32 v[4:5], s[22:23], s34, v30, 0
	s_lshl_b64 s[16:17], s[16:17], 4
	v_ashrrev_i32_e32 v3, 31, v2
	v_lshl_add_u64 v[4:5], v[4:5], 4, s[16:17]
	v_cmp_gt_i32_e32 vcc, s6, v2
	v_lshl_add_u64 v[2:3], v[2:3], 4, v[4:5]
	v_lshlrev_b32_e32 v34, 4, v28
	v_lshl_add_u64 v[10:11], s[30:31], 0, v[2:3]
	s_lshl_b64 s[16:17], s[34:35], 7
	v_mov_b64_e32 v[12:13], 0
	s_xor_b64 s[22:23], s[2:3], -1
	s_mov_b64 s[24:25], 0x80
	v_mov_b32_e32 v0, v1
	v_mov_b32_e32 v2, v1
	;; [unrolled: 1-line block ×3, first 2 shown]
	v_mov_b64_e32 v[14:15], 0
	v_mov_b64_e32 v[18:19], 0
	;; [unrolled: 1-line block ×7, first 2 shown]
	s_branch .LBB410_8
.LBB410_7:                              ;   in Loop: Header=BB410_8 Depth=1
	s_or_b64 exec, exec, s[2:3]
	ds_write_b128 v33, v[4:7]
	s_waitcnt lgkmcnt(0)
	s_barrier
	ds_read_b128 v[4:7], v34
	ds_read_b128 v[36:39], v35
	ds_read_b128 v[40:43], v35 offset:16
	ds_read_b128 v[44:47], v35 offset:32
	ds_read_b128 v[48:51], v35 offset:48
	ds_read_b128 v[52:55], v34 offset:256
	s_waitcnt lgkmcnt(4)
	v_mul_f64 v[56:57], v[38:39], v[6:7]
	v_fma_f64 v[56:57], v[36:37], v[4:5], -v[56:57]
	v_mul_f64 v[58:59], v[36:37], v[6:7]
	v_fmac_f64_e32 v[58:59], v[38:39], v[4:5]
	v_add_f64 v[56:57], v[24:25], v[56:57]
	s_waitcnt lgkmcnt(0)
	v_mul_f64 v[24:25], v[38:39], v[54:55]
	v_add_f64 v[58:59], v[58:59], v[26:27]
	v_fma_f64 v[60:61], v[36:37], v[52:53], -v[24:25]
	ds_read_b128 v[24:27], v35 offset:2048
	v_mul_f64 v[36:37], v[36:37], v[54:55]
	v_fmac_f64_e32 v[36:37], v[38:39], v[52:53]
	v_add_f64 v[38:39], v[20:21], v[60:61]
	v_add_f64 v[36:37], v[36:37], v[22:23]
	ds_read_b128 v[20:23], v35 offset:2064
	s_waitcnt lgkmcnt(1)
	v_mul_f64 v[60:61], v[26:27], v[6:7]
	v_mul_f64 v[6:7], v[24:25], v[6:7]
	v_fma_f64 v[60:61], v[24:25], v[4:5], -v[60:61]
	v_fmac_f64_e32 v[6:7], v[26:27], v[4:5]
	v_mul_f64 v[4:5], v[26:27], v[54:55]
	v_add_f64 v[16:17], v[16:17], v[60:61]
	v_add_f64 v[18:19], v[6:7], v[18:19]
	v_fma_f64 v[60:61], v[24:25], v[52:53], -v[4:5]
	v_mul_f64 v[24:25], v[24:25], v[54:55]
	ds_read_b128 v[4:7], v34 offset:512
	v_fmac_f64_e32 v[24:25], v[26:27], v[52:53]
	v_add_f64 v[26:27], v[14:15], v[60:61]
	v_add_f64 v[24:25], v[24:25], v[12:13]
	ds_read_b128 v[12:15], v34 offset:768
	s_waitcnt lgkmcnt(1)
	v_mul_f64 v[52:53], v[42:43], v[6:7]
	v_fma_f64 v[52:53], v[40:41], v[4:5], -v[52:53]
	v_add_f64 v[52:53], v[56:57], v[52:53]
	v_mul_f64 v[54:55], v[40:41], v[6:7]
	s_waitcnt lgkmcnt(0)
	v_mul_f64 v[56:57], v[42:43], v[14:15]
	v_fma_f64 v[56:57], v[40:41], v[12:13], -v[56:57]
	v_mul_f64 v[40:41], v[40:41], v[14:15]
	v_fmac_f64_e32 v[40:41], v[42:43], v[12:13]
	v_add_f64 v[36:37], v[40:41], v[36:37]
	v_mul_f64 v[40:41], v[22:23], v[6:7]
	v_mul_f64 v[6:7], v[20:21], v[6:7]
	v_fmac_f64_e32 v[54:55], v[42:43], v[4:5]
	v_fma_f64 v[40:41], v[20:21], v[4:5], -v[40:41]
	v_fmac_f64_e32 v[6:7], v[22:23], v[4:5]
	v_mul_f64 v[4:5], v[22:23], v[14:15]
	v_add_f64 v[40:41], v[16:17], v[40:41]
	v_add_f64 v[42:43], v[6:7], v[18:19]
	v_fma_f64 v[16:17], v[20:21], v[12:13], -v[4:5]
	v_mul_f64 v[14:15], v[20:21], v[14:15]
	ds_read_b128 v[4:7], v34 offset:1024
	v_fmac_f64_e32 v[14:15], v[22:23], v[12:13]
	v_add_f64 v[24:25], v[14:15], v[24:25]
	ds_read_b128 v[12:15], v34 offset:1280
	v_add_f64 v[26:27], v[26:27], v[16:17]
	s_waitcnt lgkmcnt(1)
	v_mul_f64 v[16:17], v[46:47], v[6:7]
	v_fma_f64 v[16:17], v[44:45], v[4:5], -v[16:17]
	v_mul_f64 v[18:19], v[44:45], v[6:7]
	v_add_f64 v[54:55], v[54:55], v[58:59]
	v_fmac_f64_e32 v[18:19], v[46:47], v[4:5]
	v_add_f64 v[52:53], v[52:53], v[16:17]
	s_waitcnt lgkmcnt(0)
	v_mul_f64 v[16:17], v[46:47], v[14:15]
	v_add_f64 v[54:55], v[18:19], v[54:55]
	v_fma_f64 v[20:21], v[44:45], v[12:13], -v[16:17]
	ds_read_b128 v[16:19], v35 offset:2080
	v_mul_f64 v[22:23], v[44:45], v[14:15]
	v_add_f64 v[38:39], v[38:39], v[56:57]
	v_fmac_f64_e32 v[22:23], v[46:47], v[12:13]
	v_add_f64 v[38:39], v[38:39], v[20:21]
	v_add_f64 v[36:37], v[22:23], v[36:37]
	ds_read_b128 v[20:23], v35 offset:2096
	s_waitcnt lgkmcnt(1)
	v_mul_f64 v[44:45], v[18:19], v[6:7]
	v_mul_f64 v[6:7], v[16:17], v[6:7]
	v_fma_f64 v[44:45], v[16:17], v[4:5], -v[44:45]
	v_fmac_f64_e32 v[6:7], v[18:19], v[4:5]
	v_mul_f64 v[4:5], v[18:19], v[14:15]
	v_mul_f64 v[14:15], v[16:17], v[14:15]
	v_fmac_f64_e32 v[14:15], v[18:19], v[12:13]
	v_add_f64 v[40:41], v[40:41], v[44:45]
	v_add_f64 v[42:43], v[6:7], v[42:43]
	v_fma_f64 v[44:45], v[16:17], v[12:13], -v[4:5]
	ds_read_b128 v[4:7], v34 offset:1536
	v_add_f64 v[18:19], v[14:15], v[24:25]
	ds_read_b128 v[12:15], v34 offset:1792
	v_add_f64 v[16:17], v[26:27], v[44:45]
	s_add_i32 s5, s5, 8
	s_waitcnt lgkmcnt(1)
	v_mul_f64 v[24:25], v[50:51], v[6:7]
	v_mul_f64 v[26:27], v[48:49], v[6:7]
	s_waitcnt lgkmcnt(0)
	v_mul_f64 v[44:45], v[50:51], v[14:15]
	v_fma_f64 v[44:45], v[48:49], v[12:13], -v[44:45]
	v_add_f64 v[38:39], v[38:39], v[44:45]
	v_mul_f64 v[44:45], v[22:23], v[6:7]
	v_mul_f64 v[6:7], v[20:21], v[6:7]
	v_fma_f64 v[24:25], v[48:49], v[4:5], -v[24:25]
	v_fmac_f64_e32 v[26:27], v[50:51], v[4:5]
	v_fma_f64 v[44:45], v[20:21], v[4:5], -v[44:45]
	v_fmac_f64_e32 v[6:7], v[22:23], v[4:5]
	v_mul_f64 v[4:5], v[22:23], v[14:15]
	v_mul_f64 v[46:47], v[48:49], v[14:15]
	v_add_f64 v[40:41], v[40:41], v[44:45]
	v_fma_f64 v[44:45], v[20:21], v[12:13], -v[4:5]
	v_mul_f64 v[20:21], v[20:21], v[14:15]
	v_fmac_f64_e32 v[46:47], v[50:51], v[12:13]
	v_add_f64 v[42:43], v[6:7], v[42:43]
	v_fmac_f64_e32 v[20:21], v[22:23], v[12:13]
	ds_read_b128 v[4:7], v35 offset:64
	ds_read_b128 v[12:15], v34 offset:2048
	v_add_f64 v[36:37], v[46:47], v[36:37]
	v_add_f64 v[44:45], v[16:17], v[44:45]
	;; [unrolled: 1-line block ×3, first 2 shown]
	ds_read_b128 v[16:19], v34 offset:2304
	ds_read_b128 v[20:23], v35 offset:80
	s_waitcnt lgkmcnt(2)
	v_mul_f64 v[48:49], v[6:7], v[14:15]
	v_add_f64 v[24:25], v[52:53], v[24:25]
	v_fma_f64 v[48:49], v[4:5], v[12:13], -v[48:49]
	v_mul_f64 v[50:51], v[4:5], v[14:15]
	v_add_f64 v[26:27], v[26:27], v[54:55]
	v_fmac_f64_e32 v[50:51], v[6:7], v[12:13]
	v_add_f64 v[48:49], v[24:25], v[48:49]
	s_waitcnt lgkmcnt(1)
	v_mul_f64 v[24:25], v[6:7], v[18:19]
	v_add_f64 v[50:51], v[50:51], v[26:27]
	v_fma_f64 v[52:53], v[4:5], v[16:17], -v[24:25]
	ds_read_b128 v[24:27], v35 offset:2112
	v_mul_f64 v[4:5], v[4:5], v[18:19]
	v_fmac_f64_e32 v[4:5], v[6:7], v[16:17]
	v_add_f64 v[38:39], v[38:39], v[52:53]
	v_add_f64 v[36:37], v[4:5], v[36:37]
	ds_read_b128 v[4:7], v35 offset:2128
	s_waitcnt lgkmcnt(1)
	v_mul_f64 v[52:53], v[26:27], v[14:15]
	v_mul_f64 v[14:15], v[24:25], v[14:15]
	v_fma_f64 v[52:53], v[24:25], v[12:13], -v[52:53]
	v_fmac_f64_e32 v[14:15], v[26:27], v[12:13]
	v_mul_f64 v[12:13], v[26:27], v[18:19]
	v_add_f64 v[40:41], v[40:41], v[52:53]
	v_add_f64 v[42:43], v[14:15], v[42:43]
	v_fma_f64 v[52:53], v[24:25], v[16:17], -v[12:13]
	v_mul_f64 v[18:19], v[24:25], v[18:19]
	ds_read_b128 v[12:15], v34 offset:2560
	v_fmac_f64_e32 v[18:19], v[26:27], v[16:17]
	v_add_f64 v[26:27], v[18:19], v[46:47]
	ds_read_b128 v[16:19], v34 offset:2816
	v_add_f64 v[24:25], v[44:45], v[52:53]
	s_waitcnt lgkmcnt(1)
	v_mul_f64 v[44:45], v[22:23], v[14:15]
	v_fma_f64 v[44:45], v[20:21], v[12:13], -v[44:45]
	v_add_f64 v[44:45], v[48:49], v[44:45]
	s_waitcnt lgkmcnt(0)
	v_mul_f64 v[48:49], v[22:23], v[18:19]
	v_mul_f64 v[46:47], v[20:21], v[14:15]
	v_fma_f64 v[48:49], v[20:21], v[16:17], -v[48:49]
	v_mul_f64 v[20:21], v[20:21], v[18:19]
	v_fmac_f64_e32 v[20:21], v[22:23], v[16:17]
	v_add_f64 v[36:37], v[20:21], v[36:37]
	v_mul_f64 v[20:21], v[6:7], v[14:15]
	v_mul_f64 v[14:15], v[4:5], v[14:15]
	v_fmac_f64_e32 v[46:47], v[22:23], v[12:13]
	v_fma_f64 v[20:21], v[4:5], v[12:13], -v[20:21]
	v_fmac_f64_e32 v[14:15], v[6:7], v[12:13]
	v_mul_f64 v[12:13], v[6:7], v[18:19]
	v_mul_f64 v[18:19], v[4:5], v[18:19]
	v_add_f64 v[40:41], v[40:41], v[20:21]
	v_add_f64 v[42:43], v[14:15], v[42:43]
	v_fma_f64 v[20:21], v[4:5], v[16:17], -v[12:13]
	v_fmac_f64_e32 v[18:19], v[6:7], v[16:17]
	ds_read_b128 v[4:7], v35 offset:96
	ds_read_b128 v[12:15], v34 offset:3072
	v_add_f64 v[46:47], v[46:47], v[50:51]
	v_add_f64 v[38:39], v[38:39], v[48:49]
	;; [unrolled: 1-line block ×4, first 2 shown]
	ds_read_b128 v[16:19], v34 offset:3328
	ds_read_b128 v[20:23], v35 offset:112
	s_waitcnt lgkmcnt(2)
	v_mul_f64 v[24:25], v[6:7], v[14:15]
	v_fma_f64 v[24:25], v[4:5], v[12:13], -v[24:25]
	v_mul_f64 v[26:27], v[4:5], v[14:15]
	v_fmac_f64_e32 v[26:27], v[6:7], v[12:13]
	v_add_f64 v[44:45], v[44:45], v[24:25]
	s_waitcnt lgkmcnt(1)
	v_mul_f64 v[24:25], v[6:7], v[18:19]
	v_add_f64 v[46:47], v[26:27], v[46:47]
	v_fma_f64 v[52:53], v[4:5], v[16:17], -v[24:25]
	ds_read_b128 v[24:27], v35 offset:2144
	v_mul_f64 v[4:5], v[4:5], v[18:19]
	v_fmac_f64_e32 v[4:5], v[6:7], v[16:17]
	v_add_f64 v[54:55], v[4:5], v[36:37]
	ds_read_b128 v[4:7], v35 offset:2160
	s_waitcnt lgkmcnt(1)
	v_mul_f64 v[36:37], v[26:27], v[14:15]
	v_mul_f64 v[14:15], v[24:25], v[14:15]
	v_fma_f64 v[36:37], v[24:25], v[12:13], -v[36:37]
	v_fmac_f64_e32 v[14:15], v[26:27], v[12:13]
	v_mul_f64 v[12:13], v[26:27], v[18:19]
	v_add_f64 v[40:41], v[40:41], v[36:37]
	v_add_f64 v[42:43], v[14:15], v[42:43]
	v_fma_f64 v[36:37], v[24:25], v[16:17], -v[12:13]
	ds_read_b128 v[12:15], v34 offset:3584
	v_add_f64 v[52:53], v[38:39], v[52:53]
	v_add_f64 v[48:49], v[48:49], v[36:37]
	ds_read_b128 v[36:39], v34 offset:3840
	v_mul_f64 v[18:19], v[24:25], v[18:19]
	v_fmac_f64_e32 v[18:19], v[26:27], v[16:17]
	s_waitcnt lgkmcnt(1)
	v_mul_f64 v[16:17], v[22:23], v[14:15]
	v_fma_f64 v[16:17], v[20:21], v[12:13], -v[16:17]
	v_add_f64 v[50:51], v[18:19], v[50:51]
	v_mul_f64 v[18:19], v[20:21], v[14:15]
	v_add_f64 v[24:25], v[44:45], v[16:17]
	s_waitcnt lgkmcnt(0)
	v_mul_f64 v[16:17], v[22:23], v[38:39]
	v_fmac_f64_e32 v[18:19], v[22:23], v[12:13]
	v_fma_f64 v[16:17], v[20:21], v[36:37], -v[16:17]
	v_add_f64 v[26:27], v[18:19], v[46:47]
	v_mul_f64 v[18:19], v[20:21], v[38:39]
	v_add_f64 v[20:21], v[52:53], v[16:17]
	v_mul_f64 v[16:17], v[6:7], v[14:15]
	v_mul_f64 v[14:15], v[4:5], v[14:15]
	v_fma_f64 v[16:17], v[4:5], v[12:13], -v[16:17]
	v_fmac_f64_e32 v[14:15], v[6:7], v[12:13]
	v_mul_f64 v[12:13], v[6:7], v[38:39]
	v_fma_f64 v[12:13], v[4:5], v[36:37], -v[12:13]
	v_mul_f64 v[4:5], v[4:5], v[38:39]
	v_fmac_f64_e32 v[18:19], v[22:23], v[36:37]
	v_fmac_f64_e32 v[4:5], v[6:7], v[36:37]
	v_add_f64 v[22:23], v[18:19], v[54:55]
	v_add_f64 v[16:17], v[40:41], v[16:17]
	;; [unrolled: 1-line block ×5, first 2 shown]
	v_lshl_add_u64 v[8:9], v[8:9], 0, s[24:25]
	s_cmp_lt_i32 s5, s7
	v_lshl_add_u64 v[10:11], v[10:11], 0, s[16:17]
	s_barrier
	s_cbranch_scc0 .LBB410_14
.LBB410_8:                              ; =>This Inner Loop Header: Depth=1
	v_add_u32_e32 v4, s5, v31
	v_cmp_le_i32_e64 s[2:3], s7, v4
	s_or_b64 s[2:3], s[22:23], s[2:3]
	s_and_saveexec_b64 s[28:29], s[2:3]
	s_xor_b64 s[2:3], exec, s[28:29]
; %bb.9:                                ;   in Loop: Header=BB410_8 Depth=1
	ds_write_b128 v32, v[0:3]
; %bb.10:                               ;   in Loop: Header=BB410_8 Depth=1
	s_andn2_saveexec_b64 s[2:3], s[2:3]
	s_cbranch_execz .LBB410_12
; %bb.11:                               ;   in Loop: Header=BB410_8 Depth=1
	flat_load_dwordx4 v[4:7], v[8:9]
	s_waitcnt vmcnt(0) lgkmcnt(0)
	ds_write2_b64 v32, v[4:5], v[6:7] offset1:1
.LBB410_12:                             ;   in Loop: Header=BB410_8 Depth=1
	s_or_b64 exec, exec, s[2:3]
	v_add_u32_e32 v4, s5, v30
	v_cmp_gt_i32_e64 s[2:3], s7, v4
	s_and_b64 s[28:29], s[2:3], vcc
	v_mov_b64_e32 v[4:5], 0
	v_mov_b64_e32 v[6:7], 0
	s_and_saveexec_b64 s[2:3], s[28:29]
	s_cbranch_execz .LBB410_7
; %bb.13:                               ;   in Loop: Header=BB410_8 Depth=1
	flat_load_dwordx4 v[4:7], v[10:11]
	s_waitcnt vmcnt(0) lgkmcnt(0)
	v_xor_b32_e32 v7, 0x80000000, v7
	s_branch .LBB410_7
.LBB410_14:
	s_load_dwordx2 s[2:3], s[0:1], 0x58
	s_load_dword s22, s[0:1], 0x50
	v_add_u32_e32 v4, s4, v28
	v_add_u32_e32 v10, s26, v29
	v_cmp_neq_f64_e64 s[0:1], s[8:9], 0
	s_waitcnt lgkmcnt(0)
	s_lshl_b64 s[2:3], s[2:3], 4
	s_add_u32 s16, s20, s2
	s_addc_u32 s17, s21, s3
	s_xor_b64 s[4:5], s[18:19], -1
	v_mad_i64_i32 v[0:1], s[2:3], v10, s22, 0
	s_or_b64 s[0:1], s[0:1], s[4:5]
	v_lshl_add_u64 v[8:9], v[0:1], 4, s[16:17]
	v_cmp_le_i32_e32 vcc, v10, v4
	v_cmp_gt_i32_e64 s[2:3], s6, v4
	v_cndmask_b32_e64 v0, 0, 1, s[0:1]
	s_and_b64 s[18:19], vcc, s[2:3]
	v_ashrrev_i32_e32 v5, 31, v4
	v_cmp_ne_u32_e64 s[0:1], 1, v0
	s_and_saveexec_b64 s[4:5], s[18:19]
	s_cbranch_execz .LBB410_18
; %bb.15:
	v_mul_f64 v[0:1], s[14:15], v[26:27]
	v_mul_f64 v[2:3], s[12:13], v[26:27]
	v_fma_f64 v[0:1], s[12:13], v[24:25], -v[0:1]
	v_fmac_f64_e32 v[2:3], s[14:15], v[24:25]
	s_and_b64 vcc, exec, s[0:1]
	v_lshl_add_u64 v[6:7], v[4:5], 4, v[8:9]
	s_cbranch_vccnz .LBB410_17
; %bb.16:
	flat_load_dwordx4 v[24:27], v[6:7]
	s_waitcnt vmcnt(0) lgkmcnt(0)
	v_mul_f64 v[28:29], s[10:11], v[26:27]
	v_mul_f64 v[26:27], s[8:9], v[26:27]
	v_fma_f64 v[28:29], s[8:9], v[24:25], -v[28:29]
	v_fmac_f64_e32 v[26:27], s[10:11], v[24:25]
	v_add_f64 v[0:1], v[0:1], v[28:29]
	v_add_f64 v[2:3], v[2:3], v[26:27]
.LBB410_17:
	flat_store_dwordx4 v[6:7], v[0:3]
.LBB410_18:
	s_or_b64 exec, exec, s[4:5]
	v_add_u32_e32 v6, 16, v4
	v_cmp_le_i32_e32 vcc, v10, v6
	v_cmp_gt_i32_e64 s[4:5], s6, v6
	s_and_b64 s[18:19], vcc, s[4:5]
	v_ashrrev_i32_e32 v7, 31, v6
	s_and_saveexec_b64 s[6:7], s[18:19]
	s_cbranch_execz .LBB410_22
; %bb.19:
	v_mul_f64 v[0:1], s[14:15], v[22:23]
	v_mul_f64 v[2:3], s[12:13], v[22:23]
	v_fma_f64 v[0:1], s[12:13], v[20:21], -v[0:1]
	v_fmac_f64_e32 v[2:3], s[14:15], v[20:21]
	s_and_b64 vcc, exec, s[0:1]
	v_lshl_add_u64 v[8:9], v[6:7], 4, v[8:9]
	s_cbranch_vccnz .LBB410_21
; %bb.20:
	flat_load_dwordx4 v[20:23], v[8:9]
	s_waitcnt vmcnt(0) lgkmcnt(0)
	v_mul_f64 v[24:25], s[10:11], v[22:23]
	v_mul_f64 v[22:23], s[8:9], v[22:23]
	v_fma_f64 v[24:25], s[8:9], v[20:21], -v[24:25]
	v_fmac_f64_e32 v[22:23], s[10:11], v[20:21]
	v_add_f64 v[0:1], v[0:1], v[24:25]
	v_add_f64 v[2:3], v[2:3], v[22:23]
.LBB410_21:
	flat_store_dwordx4 v[8:9], v[0:3]
.LBB410_22:
	s_or_b64 exec, exec, s[6:7]
	v_add_u32_e32 v10, 16, v10
	v_mad_i64_i32 v[0:1], s[6:7], v10, s22, 0
	v_cmp_le_i32_e32 vcc, v10, v4
	v_lshl_add_u64 v[8:9], v[0:1], 4, s[16:17]
	s_and_b64 s[6:7], vcc, s[2:3]
	s_and_saveexec_b64 s[2:3], s[6:7]
	s_cbranch_execz .LBB410_26
; %bb.23:
	v_mul_f64 v[0:1], s[14:15], v[18:19]
	v_mul_f64 v[2:3], s[12:13], v[18:19]
	v_fma_f64 v[0:1], s[12:13], v[16:17], -v[0:1]
	v_fmac_f64_e32 v[2:3], s[14:15], v[16:17]
	s_and_b64 vcc, exec, s[0:1]
	v_lshl_add_u64 v[4:5], v[4:5], 4, v[8:9]
	s_cbranch_vccnz .LBB410_25
; %bb.24:
	flat_load_dwordx4 v[16:19], v[4:5]
	s_waitcnt vmcnt(0) lgkmcnt(0)
	v_mul_f64 v[20:21], s[10:11], v[18:19]
	v_mul_f64 v[18:19], s[8:9], v[18:19]
	v_fma_f64 v[20:21], s[8:9], v[16:17], -v[20:21]
	v_fmac_f64_e32 v[18:19], s[10:11], v[16:17]
	v_add_f64 v[0:1], v[0:1], v[20:21]
	v_add_f64 v[2:3], v[2:3], v[18:19]
.LBB410_25:
	flat_store_dwordx4 v[4:5], v[0:3]
.LBB410_26:
	s_or_b64 exec, exec, s[2:3]
	v_cmp_le_i32_e32 vcc, v10, v6
	s_and_b64 s[2:3], vcc, s[4:5]
	s_and_saveexec_b64 s[4:5], s[2:3]
	s_cbranch_execz .LBB410_30
; %bb.27:
	v_mul_f64 v[0:1], s[14:15], v[12:13]
	v_mul_f64 v[2:3], s[12:13], v[12:13]
	v_fma_f64 v[0:1], s[12:13], v[14:15], -v[0:1]
	v_fmac_f64_e32 v[2:3], s[14:15], v[14:15]
	s_and_b64 vcc, exec, s[0:1]
	v_lshl_add_u64 v[4:5], v[6:7], 4, v[8:9]
	s_cbranch_vccnz .LBB410_29
; %bb.28:
	flat_load_dwordx4 v[6:9], v[4:5]
	s_waitcnt vmcnt(0) lgkmcnt(0)
	v_mul_f64 v[10:11], s[10:11], v[8:9]
	v_mul_f64 v[8:9], s[8:9], v[8:9]
	v_fma_f64 v[10:11], s[8:9], v[6:7], -v[10:11]
	v_fmac_f64_e32 v[8:9], s[10:11], v[6:7]
	v_add_f64 v[0:1], v[0:1], v[10:11]
	v_add_f64 v[2:3], v[2:3], v[8:9]
.LBB410_29:
	flat_store_dwordx4 v[4:5], v[0:3]
.LBB410_30:
	s_endpgm
	.section	.rodata,"a",@progbits
	.p2align	6, 0x0
	.amdhsa_kernel _ZL29rocblas_internal_gemmt_kernelIiLi16ELi32ELi8ELc84ELc67ELc76ELb0ELb1E19rocblas_complex_numIdEPKS1_PKS3_PKPS1_EviT_T9_T10_S9_lSB_S9_lSA_T11_S9_li
		.amdhsa_group_segment_fixed_size 8192
		.amdhsa_private_segment_fixed_size 0
		.amdhsa_kernarg_size 100
		.amdhsa_user_sgpr_count 2
		.amdhsa_user_sgpr_dispatch_ptr 0
		.amdhsa_user_sgpr_queue_ptr 0
		.amdhsa_user_sgpr_kernarg_segment_ptr 1
		.amdhsa_user_sgpr_dispatch_id 0
		.amdhsa_user_sgpr_kernarg_preload_length 0
		.amdhsa_user_sgpr_kernarg_preload_offset 0
		.amdhsa_user_sgpr_private_segment_size 0
		.amdhsa_uses_dynamic_stack 0
		.amdhsa_enable_private_segment 0
		.amdhsa_system_sgpr_workgroup_id_x 1
		.amdhsa_system_sgpr_workgroup_id_y 1
		.amdhsa_system_sgpr_workgroup_id_z 1
		.amdhsa_system_sgpr_workgroup_info 0
		.amdhsa_system_vgpr_workitem_id 1
		.amdhsa_next_free_vgpr 62
		.amdhsa_next_free_sgpr 36
		.amdhsa_accum_offset 64
		.amdhsa_reserve_vcc 1
		.amdhsa_float_round_mode_32 0
		.amdhsa_float_round_mode_16_64 0
		.amdhsa_float_denorm_mode_32 3
		.amdhsa_float_denorm_mode_16_64 3
		.amdhsa_dx10_clamp 1
		.amdhsa_ieee_mode 1
		.amdhsa_fp16_overflow 0
		.amdhsa_tg_split 0
		.amdhsa_exception_fp_ieee_invalid_op 0
		.amdhsa_exception_fp_denorm_src 0
		.amdhsa_exception_fp_ieee_div_zero 0
		.amdhsa_exception_fp_ieee_overflow 0
		.amdhsa_exception_fp_ieee_underflow 0
		.amdhsa_exception_fp_ieee_inexact 0
		.amdhsa_exception_int_div_zero 0
	.end_amdhsa_kernel
	.section	.text._ZL29rocblas_internal_gemmt_kernelIiLi16ELi32ELi8ELc84ELc67ELc76ELb0ELb1E19rocblas_complex_numIdEPKS1_PKS3_PKPS1_EviT_T9_T10_S9_lSB_S9_lSA_T11_S9_li,"axG",@progbits,_ZL29rocblas_internal_gemmt_kernelIiLi16ELi32ELi8ELc84ELc67ELc76ELb0ELb1E19rocblas_complex_numIdEPKS1_PKS3_PKPS1_EviT_T9_T10_S9_lSB_S9_lSA_T11_S9_li,comdat
.Lfunc_end410:
	.size	_ZL29rocblas_internal_gemmt_kernelIiLi16ELi32ELi8ELc84ELc67ELc76ELb0ELb1E19rocblas_complex_numIdEPKS1_PKS3_PKPS1_EviT_T9_T10_S9_lSB_S9_lSA_T11_S9_li, .Lfunc_end410-_ZL29rocblas_internal_gemmt_kernelIiLi16ELi32ELi8ELc84ELc67ELc76ELb0ELb1E19rocblas_complex_numIdEPKS1_PKS3_PKPS1_EviT_T9_T10_S9_lSB_S9_lSA_T11_S9_li
                                        ; -- End function
	.set _ZL29rocblas_internal_gemmt_kernelIiLi16ELi32ELi8ELc84ELc67ELc76ELb0ELb1E19rocblas_complex_numIdEPKS1_PKS3_PKPS1_EviT_T9_T10_S9_lSB_S9_lSA_T11_S9_li.num_vgpr, 62
	.set _ZL29rocblas_internal_gemmt_kernelIiLi16ELi32ELi8ELc84ELc67ELc76ELb0ELb1E19rocblas_complex_numIdEPKS1_PKS3_PKPS1_EviT_T9_T10_S9_lSB_S9_lSA_T11_S9_li.num_agpr, 0
	.set _ZL29rocblas_internal_gemmt_kernelIiLi16ELi32ELi8ELc84ELc67ELc76ELb0ELb1E19rocblas_complex_numIdEPKS1_PKS3_PKPS1_EviT_T9_T10_S9_lSB_S9_lSA_T11_S9_li.numbered_sgpr, 36
	.set _ZL29rocblas_internal_gemmt_kernelIiLi16ELi32ELi8ELc84ELc67ELc76ELb0ELb1E19rocblas_complex_numIdEPKS1_PKS3_PKPS1_EviT_T9_T10_S9_lSB_S9_lSA_T11_S9_li.num_named_barrier, 0
	.set _ZL29rocblas_internal_gemmt_kernelIiLi16ELi32ELi8ELc84ELc67ELc76ELb0ELb1E19rocblas_complex_numIdEPKS1_PKS3_PKPS1_EviT_T9_T10_S9_lSB_S9_lSA_T11_S9_li.private_seg_size, 0
	.set _ZL29rocblas_internal_gemmt_kernelIiLi16ELi32ELi8ELc84ELc67ELc76ELb0ELb1E19rocblas_complex_numIdEPKS1_PKS3_PKPS1_EviT_T9_T10_S9_lSB_S9_lSA_T11_S9_li.uses_vcc, 1
	.set _ZL29rocblas_internal_gemmt_kernelIiLi16ELi32ELi8ELc84ELc67ELc76ELb0ELb1E19rocblas_complex_numIdEPKS1_PKS3_PKPS1_EviT_T9_T10_S9_lSB_S9_lSA_T11_S9_li.uses_flat_scratch, 0
	.set _ZL29rocblas_internal_gemmt_kernelIiLi16ELi32ELi8ELc84ELc67ELc76ELb0ELb1E19rocblas_complex_numIdEPKS1_PKS3_PKPS1_EviT_T9_T10_S9_lSB_S9_lSA_T11_S9_li.has_dyn_sized_stack, 0
	.set _ZL29rocblas_internal_gemmt_kernelIiLi16ELi32ELi8ELc84ELc67ELc76ELb0ELb1E19rocblas_complex_numIdEPKS1_PKS3_PKPS1_EviT_T9_T10_S9_lSB_S9_lSA_T11_S9_li.has_recursion, 0
	.set _ZL29rocblas_internal_gemmt_kernelIiLi16ELi32ELi8ELc84ELc67ELc76ELb0ELb1E19rocblas_complex_numIdEPKS1_PKS3_PKPS1_EviT_T9_T10_S9_lSB_S9_lSA_T11_S9_li.has_indirect_call, 0
	.section	.AMDGPU.csdata,"",@progbits
; Kernel info:
; codeLenInByte = 3140
; TotalNumSgprs: 42
; NumVgprs: 62
; NumAgprs: 0
; TotalNumVgprs: 62
; ScratchSize: 0
; MemoryBound: 1
; FloatMode: 240
; IeeeMode: 1
; LDSByteSize: 8192 bytes/workgroup (compile time only)
; SGPRBlocks: 5
; VGPRBlocks: 7
; NumSGPRsForWavesPerEU: 42
; NumVGPRsForWavesPerEU: 62
; AccumOffset: 64
; Occupancy: 8
; WaveLimiterHint : 1
; COMPUTE_PGM_RSRC2:SCRATCH_EN: 0
; COMPUTE_PGM_RSRC2:USER_SGPR: 2
; COMPUTE_PGM_RSRC2:TRAP_HANDLER: 0
; COMPUTE_PGM_RSRC2:TGID_X_EN: 1
; COMPUTE_PGM_RSRC2:TGID_Y_EN: 1
; COMPUTE_PGM_RSRC2:TGID_Z_EN: 1
; COMPUTE_PGM_RSRC2:TIDIG_COMP_CNT: 1
; COMPUTE_PGM_RSRC3_GFX90A:ACCUM_OFFSET: 15
; COMPUTE_PGM_RSRC3_GFX90A:TG_SPLIT: 0
	.section	.text._ZL29rocblas_internal_gemmt_kernelIiLi16ELi32ELi8ELc67ELc78ELc76ELb1ELb0E19rocblas_complex_numIdEPKS1_PKS3_PKPS1_EviT_T9_T10_S9_lSB_S9_lSA_T11_S9_li,"axG",@progbits,_ZL29rocblas_internal_gemmt_kernelIiLi16ELi32ELi8ELc67ELc78ELc76ELb1ELb0E19rocblas_complex_numIdEPKS1_PKS3_PKPS1_EviT_T9_T10_S9_lSB_S9_lSA_T11_S9_li,comdat
	.globl	_ZL29rocblas_internal_gemmt_kernelIiLi16ELi32ELi8ELc67ELc78ELc76ELb1ELb0E19rocblas_complex_numIdEPKS1_PKS3_PKPS1_EviT_T9_T10_S9_lSB_S9_lSA_T11_S9_li ; -- Begin function _ZL29rocblas_internal_gemmt_kernelIiLi16ELi32ELi8ELc67ELc78ELc76ELb1ELb0E19rocblas_complex_numIdEPKS1_PKS3_PKPS1_EviT_T9_T10_S9_lSB_S9_lSA_T11_S9_li
	.p2align	8
	.type	_ZL29rocblas_internal_gemmt_kernelIiLi16ELi32ELi8ELc67ELc78ELc76ELb1ELb0E19rocblas_complex_numIdEPKS1_PKS3_PKPS1_EviT_T9_T10_S9_lSB_S9_lSA_T11_S9_li,@function
_ZL29rocblas_internal_gemmt_kernelIiLi16ELi32ELi8ELc67ELc78ELc76ELb1ELb0E19rocblas_complex_numIdEPKS1_PKS3_PKPS1_EviT_T9_T10_S9_lSB_S9_lSA_T11_S9_li: ; @_ZL29rocblas_internal_gemmt_kernelIiLi16ELi32ELi8ELc67ELc78ELc76ELb1ELb0E19rocblas_complex_numIdEPKS1_PKS3_PKPS1_EviT_T9_T10_S9_lSB_S9_lSA_T11_S9_li
; %bb.0:
	s_load_dwordx4 s[16:19], s[0:1], 0x38
	s_load_dwordx4 s[20:23], s[0:1], 0x8
	s_mov_b64 s[24:25], 0
	s_waitcnt lgkmcnt(0)
	s_load_dwordx4 s[8:11], s[18:19], 0x0
	s_load_dwordx2 s[6:7], s[0:1], 0x0
	s_load_dwordx4 s[12:15], s[20:21], 0x0
	s_waitcnt lgkmcnt(0)
	v_cmp_eq_f64_e64 s[20:21], s[8:9], 1.0
	v_cmp_eq_f64_e64 s[18:19], s[10:11], 0
	s_and_b64 s[20:21], s[20:21], s[18:19]
	s_andn2_b64 vcc, exec, s[20:21]
	s_mov_b64 s[20:21], -1
	s_cbranch_vccnz .LBB411_4
; %bb.1:
	s_cmp_lg_u32 s7, 0
	s_cbranch_scc0 .LBB411_3
; %bb.2:
	v_cmp_neq_f64_e64 s[20:21], s[12:13], 0
	v_cmp_neq_f64_e64 s[24:25], s[14:15], 0
	s_or_b64 s[24:25], s[20:21], s[24:25]
.LBB411_3:
	s_mov_b64 s[20:21], s[24:25]
.LBB411_4:
	s_and_b64 vcc, exec, s[20:21]
	s_cbranch_vccz .LBB411_30
; %bb.5:
	s_load_dwordx2 s[20:21], s[0:1], 0x48
	s_mov_b32 s5, 0
	s_lshl_b64 s[24:25], s[4:5], 3
	v_cmp_eq_f64_e64 s[28:29], s[14:15], 0
	v_and_b32_e32 v28, 0x3ff, v0
	s_waitcnt lgkmcnt(0)
	s_add_u32 s20, s20, s24
	s_addc_u32 s21, s21, s25
	s_lshl_b32 s4, s2, 5
	s_lshl_b32 s26, s3, 5
	v_cmp_eq_f64_e64 s[2:3], s[12:13], 0
	s_load_dwordx2 s[20:21], s[20:21], 0x0
	s_and_b64 s[2:3], s[2:3], s[28:29]
	s_cmp_lt_i32 s7, 1
	s_cselect_b64 s[28:29], -1, 0
	s_or_b64 s[2:3], s[2:3], s[28:29]
	v_bfe_u32 v29, v0, 10, 10
	v_mov_b64_e32 v[24:25], 0
	s_and_b64 vcc, exec, s[2:3]
	v_mov_b64_e32 v[26:27], 0
	v_mov_b64_e32 v[20:21], 0
	;; [unrolled: 1-line block ×7, first 2 shown]
	s_cbranch_vccnz .LBB411_14
; %bb.6:
	s_load_dword s27, s[0:1], 0x18
	s_load_dwordx4 s[28:31], s[0:1], 0x20
	s_load_dword s33, s[0:1], 0x30
	v_lshl_add_u32 v0, v29, 4, v28
	v_lshrrev_b32_e32 v31, 5, v0
	v_lshrrev_b32_e32 v1, 3, v0
	v_and_b32_e32 v0, 31, v0
	v_or_b32_e32 v2, s4, v0
	s_waitcnt lgkmcnt(0)
	s_add_u32 s2, s30, s24
	v_and_b32_e32 v30, 7, v28
	s_addc_u32 s3, s31, s25
	v_cmp_gt_i32_e32 vcc, s6, v2
	v_lshlrev_b32_e32 v2, 4, v0
	s_load_dwordx2 s[30:31], s[2:3], 0x0
	s_add_u32 s2, s22, s24
	v_lshl_or_b32 v32, v31, 9, v2
	v_lshlrev_b32_e32 v2, 4, v30
	v_add_u32_e32 v3, s26, v1
	s_addc_u32 s3, s23, s25
	v_lshl_or_b32 v1, v1, 7, v2
	s_load_dwordx2 s[22:23], s[2:3], 0x0
	v_add_u32_e32 v33, 0x1000, v1
	v_mov_b32_e32 v1, 0x1000
	v_add_u32_e32 v0, s4, v0
	v_lshl_add_u32 v35, v29, 7, v1
	v_mad_i64_i32 v[0:1], s[24:25], s27, v0, 0
	s_lshl_b64 s[24:25], s[28:29], 4
	s_nop 0
	v_lshl_add_u64 v[4:5], v[0:1], 4, s[24:25]
	v_lshlrev_b32_e32 v0, 4, v31
	v_mov_b32_e32 v1, 0
	v_lshl_add_u64 v[4:5], v[4:5], 0, v[0:1]
	s_waitcnt lgkmcnt(0)
	v_lshl_add_u64 v[8:9], s[22:23], 0, v[4:5]
	v_mad_i64_i32 v[4:5], s[22:23], s33, v3, 0
	s_lshl_b64 s[16:17], s[16:17], 4
	v_cmp_gt_i32_e64 s[2:3], s6, v3
	v_lshl_add_u64 v[4:5], v[4:5], 4, s[16:17]
	v_mov_b32_e32 v3, v1
	v_lshl_add_u64 v[2:3], v[4:5], 0, v[2:3]
	v_lshlrev_b32_e32 v34, 4, v28
	v_lshl_add_u64 v[10:11], s[30:31], 0, v[2:3]
	v_mov_b64_e32 v[12:13], 0
	s_xor_b64 s[16:17], s[2:3], -1
	s_mov_b64 s[22:23], 0x80
	v_mov_b32_e32 v0, v1
	v_mov_b32_e32 v2, v1
	;; [unrolled: 1-line block ×3, first 2 shown]
	v_mov_b64_e32 v[14:15], 0
	v_mov_b64_e32 v[18:19], 0
	;; [unrolled: 1-line block ×7, first 2 shown]
	s_branch .LBB411_8
.LBB411_7:                              ;   in Loop: Header=BB411_8 Depth=1
	s_or_b64 exec, exec, s[2:3]
	s_waitcnt lgkmcnt(0)
	s_barrier
	ds_read_b128 v[4:7], v34
	ds_read_b128 v[36:39], v35
	ds_read_b128 v[40:43], v35 offset:16
	ds_read_b128 v[44:47], v35 offset:32
	ds_read_b128 v[48:51], v35 offset:48
	ds_read_b128 v[52:55], v34 offset:256
	s_waitcnt lgkmcnt(4)
	v_mul_f64 v[56:57], v[38:39], v[6:7]
	v_fma_f64 v[56:57], v[36:37], v[4:5], -v[56:57]
	v_mul_f64 v[58:59], v[36:37], v[6:7]
	v_fmac_f64_e32 v[58:59], v[38:39], v[4:5]
	v_add_f64 v[56:57], v[24:25], v[56:57]
	s_waitcnt lgkmcnt(0)
	v_mul_f64 v[24:25], v[38:39], v[54:55]
	v_add_f64 v[58:59], v[58:59], v[26:27]
	v_fma_f64 v[60:61], v[36:37], v[52:53], -v[24:25]
	ds_read_b128 v[24:27], v35 offset:2048
	v_mul_f64 v[36:37], v[36:37], v[54:55]
	v_fmac_f64_e32 v[36:37], v[38:39], v[52:53]
	v_add_f64 v[38:39], v[20:21], v[60:61]
	v_add_f64 v[36:37], v[36:37], v[22:23]
	ds_read_b128 v[20:23], v35 offset:2064
	s_waitcnt lgkmcnt(1)
	v_mul_f64 v[60:61], v[26:27], v[6:7]
	v_mul_f64 v[6:7], v[24:25], v[6:7]
	v_fma_f64 v[60:61], v[24:25], v[4:5], -v[60:61]
	v_fmac_f64_e32 v[6:7], v[26:27], v[4:5]
	v_mul_f64 v[4:5], v[26:27], v[54:55]
	v_add_f64 v[16:17], v[16:17], v[60:61]
	v_add_f64 v[18:19], v[6:7], v[18:19]
	v_fma_f64 v[60:61], v[24:25], v[52:53], -v[4:5]
	v_mul_f64 v[24:25], v[24:25], v[54:55]
	ds_read_b128 v[4:7], v34 offset:512
	v_fmac_f64_e32 v[24:25], v[26:27], v[52:53]
	v_add_f64 v[26:27], v[14:15], v[60:61]
	v_add_f64 v[24:25], v[24:25], v[12:13]
	ds_read_b128 v[12:15], v34 offset:768
	s_waitcnt lgkmcnt(1)
	v_mul_f64 v[52:53], v[42:43], v[6:7]
	v_fma_f64 v[52:53], v[40:41], v[4:5], -v[52:53]
	v_add_f64 v[52:53], v[56:57], v[52:53]
	v_mul_f64 v[54:55], v[40:41], v[6:7]
	s_waitcnt lgkmcnt(0)
	v_mul_f64 v[56:57], v[42:43], v[14:15]
	v_fma_f64 v[56:57], v[40:41], v[12:13], -v[56:57]
	v_mul_f64 v[40:41], v[40:41], v[14:15]
	v_fmac_f64_e32 v[40:41], v[42:43], v[12:13]
	v_add_f64 v[36:37], v[40:41], v[36:37]
	v_mul_f64 v[40:41], v[22:23], v[6:7]
	v_mul_f64 v[6:7], v[20:21], v[6:7]
	v_fmac_f64_e32 v[54:55], v[42:43], v[4:5]
	v_fma_f64 v[40:41], v[20:21], v[4:5], -v[40:41]
	v_fmac_f64_e32 v[6:7], v[22:23], v[4:5]
	v_mul_f64 v[4:5], v[22:23], v[14:15]
	v_add_f64 v[40:41], v[16:17], v[40:41]
	v_add_f64 v[42:43], v[6:7], v[18:19]
	v_fma_f64 v[16:17], v[20:21], v[12:13], -v[4:5]
	v_mul_f64 v[14:15], v[20:21], v[14:15]
	ds_read_b128 v[4:7], v34 offset:1024
	v_fmac_f64_e32 v[14:15], v[22:23], v[12:13]
	v_add_f64 v[24:25], v[14:15], v[24:25]
	ds_read_b128 v[12:15], v34 offset:1280
	v_add_f64 v[26:27], v[26:27], v[16:17]
	s_waitcnt lgkmcnt(1)
	v_mul_f64 v[16:17], v[46:47], v[6:7]
	v_fma_f64 v[16:17], v[44:45], v[4:5], -v[16:17]
	v_mul_f64 v[18:19], v[44:45], v[6:7]
	v_add_f64 v[54:55], v[54:55], v[58:59]
	v_fmac_f64_e32 v[18:19], v[46:47], v[4:5]
	v_add_f64 v[52:53], v[52:53], v[16:17]
	s_waitcnt lgkmcnt(0)
	v_mul_f64 v[16:17], v[46:47], v[14:15]
	v_add_f64 v[54:55], v[18:19], v[54:55]
	v_fma_f64 v[20:21], v[44:45], v[12:13], -v[16:17]
	ds_read_b128 v[16:19], v35 offset:2080
	v_mul_f64 v[22:23], v[44:45], v[14:15]
	v_add_f64 v[38:39], v[38:39], v[56:57]
	v_fmac_f64_e32 v[22:23], v[46:47], v[12:13]
	v_add_f64 v[38:39], v[38:39], v[20:21]
	v_add_f64 v[36:37], v[22:23], v[36:37]
	ds_read_b128 v[20:23], v35 offset:2096
	s_waitcnt lgkmcnt(1)
	v_mul_f64 v[44:45], v[18:19], v[6:7]
	v_mul_f64 v[6:7], v[16:17], v[6:7]
	v_fma_f64 v[44:45], v[16:17], v[4:5], -v[44:45]
	v_fmac_f64_e32 v[6:7], v[18:19], v[4:5]
	v_mul_f64 v[4:5], v[18:19], v[14:15]
	v_mul_f64 v[14:15], v[16:17], v[14:15]
	v_fmac_f64_e32 v[14:15], v[18:19], v[12:13]
	v_add_f64 v[40:41], v[40:41], v[44:45]
	v_add_f64 v[42:43], v[6:7], v[42:43]
	v_fma_f64 v[44:45], v[16:17], v[12:13], -v[4:5]
	ds_read_b128 v[4:7], v34 offset:1536
	v_add_f64 v[18:19], v[14:15], v[24:25]
	ds_read_b128 v[12:15], v34 offset:1792
	v_add_f64 v[16:17], v[26:27], v[44:45]
	s_add_i32 s5, s5, 8
	s_waitcnt lgkmcnt(1)
	v_mul_f64 v[24:25], v[50:51], v[6:7]
	v_mul_f64 v[26:27], v[48:49], v[6:7]
	s_waitcnt lgkmcnt(0)
	v_mul_f64 v[44:45], v[50:51], v[14:15]
	v_fma_f64 v[44:45], v[48:49], v[12:13], -v[44:45]
	v_add_f64 v[38:39], v[38:39], v[44:45]
	v_mul_f64 v[44:45], v[22:23], v[6:7]
	v_mul_f64 v[6:7], v[20:21], v[6:7]
	v_fma_f64 v[24:25], v[48:49], v[4:5], -v[24:25]
	v_fmac_f64_e32 v[26:27], v[50:51], v[4:5]
	v_fma_f64 v[44:45], v[20:21], v[4:5], -v[44:45]
	v_fmac_f64_e32 v[6:7], v[22:23], v[4:5]
	v_mul_f64 v[4:5], v[22:23], v[14:15]
	v_mul_f64 v[46:47], v[48:49], v[14:15]
	v_add_f64 v[40:41], v[40:41], v[44:45]
	v_fma_f64 v[44:45], v[20:21], v[12:13], -v[4:5]
	v_mul_f64 v[20:21], v[20:21], v[14:15]
	v_fmac_f64_e32 v[46:47], v[50:51], v[12:13]
	v_add_f64 v[42:43], v[6:7], v[42:43]
	v_fmac_f64_e32 v[20:21], v[22:23], v[12:13]
	ds_read_b128 v[4:7], v35 offset:64
	ds_read_b128 v[12:15], v34 offset:2048
	v_add_f64 v[36:37], v[46:47], v[36:37]
	v_add_f64 v[44:45], v[16:17], v[44:45]
	;; [unrolled: 1-line block ×3, first 2 shown]
	ds_read_b128 v[16:19], v34 offset:2304
	ds_read_b128 v[20:23], v35 offset:80
	s_waitcnt lgkmcnt(2)
	v_mul_f64 v[48:49], v[6:7], v[14:15]
	v_add_f64 v[24:25], v[52:53], v[24:25]
	v_fma_f64 v[48:49], v[4:5], v[12:13], -v[48:49]
	v_mul_f64 v[50:51], v[4:5], v[14:15]
	v_add_f64 v[26:27], v[26:27], v[54:55]
	v_fmac_f64_e32 v[50:51], v[6:7], v[12:13]
	v_add_f64 v[48:49], v[24:25], v[48:49]
	s_waitcnt lgkmcnt(1)
	v_mul_f64 v[24:25], v[6:7], v[18:19]
	v_add_f64 v[50:51], v[50:51], v[26:27]
	v_fma_f64 v[52:53], v[4:5], v[16:17], -v[24:25]
	ds_read_b128 v[24:27], v35 offset:2112
	v_mul_f64 v[4:5], v[4:5], v[18:19]
	v_fmac_f64_e32 v[4:5], v[6:7], v[16:17]
	v_add_f64 v[38:39], v[38:39], v[52:53]
	v_add_f64 v[36:37], v[4:5], v[36:37]
	ds_read_b128 v[4:7], v35 offset:2128
	s_waitcnt lgkmcnt(1)
	v_mul_f64 v[52:53], v[26:27], v[14:15]
	v_mul_f64 v[14:15], v[24:25], v[14:15]
	v_fma_f64 v[52:53], v[24:25], v[12:13], -v[52:53]
	v_fmac_f64_e32 v[14:15], v[26:27], v[12:13]
	v_mul_f64 v[12:13], v[26:27], v[18:19]
	v_add_f64 v[40:41], v[40:41], v[52:53]
	v_add_f64 v[42:43], v[14:15], v[42:43]
	v_fma_f64 v[52:53], v[24:25], v[16:17], -v[12:13]
	v_mul_f64 v[18:19], v[24:25], v[18:19]
	ds_read_b128 v[12:15], v34 offset:2560
	v_fmac_f64_e32 v[18:19], v[26:27], v[16:17]
	v_add_f64 v[26:27], v[18:19], v[46:47]
	ds_read_b128 v[16:19], v34 offset:2816
	v_add_f64 v[24:25], v[44:45], v[52:53]
	s_waitcnt lgkmcnt(1)
	v_mul_f64 v[44:45], v[22:23], v[14:15]
	v_fma_f64 v[44:45], v[20:21], v[12:13], -v[44:45]
	v_add_f64 v[44:45], v[48:49], v[44:45]
	s_waitcnt lgkmcnt(0)
	v_mul_f64 v[48:49], v[22:23], v[18:19]
	v_mul_f64 v[46:47], v[20:21], v[14:15]
	v_fma_f64 v[48:49], v[20:21], v[16:17], -v[48:49]
	v_mul_f64 v[20:21], v[20:21], v[18:19]
	v_fmac_f64_e32 v[20:21], v[22:23], v[16:17]
	v_add_f64 v[36:37], v[20:21], v[36:37]
	v_mul_f64 v[20:21], v[6:7], v[14:15]
	v_mul_f64 v[14:15], v[4:5], v[14:15]
	v_fmac_f64_e32 v[46:47], v[22:23], v[12:13]
	v_fma_f64 v[20:21], v[4:5], v[12:13], -v[20:21]
	v_fmac_f64_e32 v[14:15], v[6:7], v[12:13]
	v_mul_f64 v[12:13], v[6:7], v[18:19]
	v_mul_f64 v[18:19], v[4:5], v[18:19]
	v_add_f64 v[40:41], v[40:41], v[20:21]
	v_add_f64 v[42:43], v[14:15], v[42:43]
	v_fma_f64 v[20:21], v[4:5], v[16:17], -v[12:13]
	v_fmac_f64_e32 v[18:19], v[6:7], v[16:17]
	ds_read_b128 v[4:7], v35 offset:96
	ds_read_b128 v[12:15], v34 offset:3072
	v_add_f64 v[46:47], v[46:47], v[50:51]
	v_add_f64 v[38:39], v[38:39], v[48:49]
	;; [unrolled: 1-line block ×4, first 2 shown]
	ds_read_b128 v[16:19], v34 offset:3328
	ds_read_b128 v[20:23], v35 offset:112
	s_waitcnt lgkmcnt(2)
	v_mul_f64 v[24:25], v[6:7], v[14:15]
	v_fma_f64 v[24:25], v[4:5], v[12:13], -v[24:25]
	v_mul_f64 v[26:27], v[4:5], v[14:15]
	v_fmac_f64_e32 v[26:27], v[6:7], v[12:13]
	v_add_f64 v[44:45], v[44:45], v[24:25]
	s_waitcnt lgkmcnt(1)
	v_mul_f64 v[24:25], v[6:7], v[18:19]
	v_add_f64 v[46:47], v[26:27], v[46:47]
	v_fma_f64 v[52:53], v[4:5], v[16:17], -v[24:25]
	ds_read_b128 v[24:27], v35 offset:2144
	v_mul_f64 v[4:5], v[4:5], v[18:19]
	v_fmac_f64_e32 v[4:5], v[6:7], v[16:17]
	v_add_f64 v[54:55], v[4:5], v[36:37]
	ds_read_b128 v[4:7], v35 offset:2160
	s_waitcnt lgkmcnt(1)
	v_mul_f64 v[36:37], v[26:27], v[14:15]
	v_mul_f64 v[14:15], v[24:25], v[14:15]
	v_fma_f64 v[36:37], v[24:25], v[12:13], -v[36:37]
	v_fmac_f64_e32 v[14:15], v[26:27], v[12:13]
	v_mul_f64 v[12:13], v[26:27], v[18:19]
	v_add_f64 v[40:41], v[40:41], v[36:37]
	v_add_f64 v[42:43], v[14:15], v[42:43]
	v_fma_f64 v[36:37], v[24:25], v[16:17], -v[12:13]
	ds_read_b128 v[12:15], v34 offset:3584
	v_add_f64 v[52:53], v[38:39], v[52:53]
	v_add_f64 v[48:49], v[48:49], v[36:37]
	ds_read_b128 v[36:39], v34 offset:3840
	v_mul_f64 v[18:19], v[24:25], v[18:19]
	v_fmac_f64_e32 v[18:19], v[26:27], v[16:17]
	s_waitcnt lgkmcnt(1)
	v_mul_f64 v[16:17], v[22:23], v[14:15]
	v_fma_f64 v[16:17], v[20:21], v[12:13], -v[16:17]
	v_add_f64 v[50:51], v[18:19], v[50:51]
	v_mul_f64 v[18:19], v[20:21], v[14:15]
	v_add_f64 v[24:25], v[44:45], v[16:17]
	s_waitcnt lgkmcnt(0)
	v_mul_f64 v[16:17], v[22:23], v[38:39]
	v_fmac_f64_e32 v[18:19], v[22:23], v[12:13]
	v_fma_f64 v[16:17], v[20:21], v[36:37], -v[16:17]
	v_add_f64 v[26:27], v[18:19], v[46:47]
	v_mul_f64 v[18:19], v[20:21], v[38:39]
	v_add_f64 v[20:21], v[52:53], v[16:17]
	v_mul_f64 v[16:17], v[6:7], v[14:15]
	v_mul_f64 v[14:15], v[4:5], v[14:15]
	v_fma_f64 v[16:17], v[4:5], v[12:13], -v[16:17]
	v_fmac_f64_e32 v[14:15], v[6:7], v[12:13]
	v_mul_f64 v[12:13], v[6:7], v[38:39]
	v_fma_f64 v[12:13], v[4:5], v[36:37], -v[12:13]
	v_mul_f64 v[4:5], v[4:5], v[38:39]
	v_fmac_f64_e32 v[18:19], v[22:23], v[36:37]
	v_fmac_f64_e32 v[4:5], v[6:7], v[36:37]
	v_add_f64 v[22:23], v[18:19], v[54:55]
	v_add_f64 v[16:17], v[40:41], v[16:17]
	;; [unrolled: 1-line block ×5, first 2 shown]
	v_lshl_add_u64 v[8:9], v[8:9], 0, s[22:23]
	s_cmp_lt_i32 s5, s7
	v_lshl_add_u64 v[10:11], v[10:11], 0, s[22:23]
	s_barrier
	s_cbranch_scc0 .LBB411_14
.LBB411_8:                              ; =>This Inner Loop Header: Depth=1
	v_add_u32_e32 v4, s5, v31
	v_cmp_gt_i32_e64 s[2:3], s7, v4
	s_and_b64 s[24:25], vcc, s[2:3]
	v_mov_b64_e32 v[4:5], 0
	v_mov_b64_e32 v[6:7], 0
	s_and_saveexec_b64 s[2:3], s[24:25]
	s_cbranch_execz .LBB411_10
; %bb.9:                                ;   in Loop: Header=BB411_8 Depth=1
	flat_load_dwordx4 v[4:7], v[8:9]
	s_waitcnt vmcnt(0) lgkmcnt(0)
	v_xor_b32_e32 v7, 0x80000000, v7
.LBB411_10:                             ;   in Loop: Header=BB411_8 Depth=1
	s_or_b64 exec, exec, s[2:3]
	ds_write_b128 v32, v[4:7]
	v_add_u32_e32 v4, s5, v30
	v_cmp_le_i32_e64 s[2:3], s7, v4
	s_or_b64 s[2:3], s[2:3], s[16:17]
	s_and_saveexec_b64 s[24:25], s[2:3]
	s_xor_b64 s[2:3], exec, s[24:25]
; %bb.11:                               ;   in Loop: Header=BB411_8 Depth=1
	ds_write_b128 v33, v[0:3]
; %bb.12:                               ;   in Loop: Header=BB411_8 Depth=1
	s_andn2_saveexec_b64 s[2:3], s[2:3]
	s_cbranch_execz .LBB411_7
; %bb.13:                               ;   in Loop: Header=BB411_8 Depth=1
	flat_load_dwordx4 v[4:7], v[10:11]
	s_waitcnt vmcnt(0) lgkmcnt(0)
	ds_write2_b64 v33, v[4:5], v[6:7] offset1:1
	s_branch .LBB411_7
.LBB411_14:
	s_load_dwordx2 s[2:3], s[0:1], 0x58
	s_load_dword s22, s[0:1], 0x50
	v_add_u32_e32 v4, s4, v28
	v_add_u32_e32 v10, s26, v29
	v_cmp_neq_f64_e64 s[0:1], s[8:9], 0
	s_waitcnt lgkmcnt(0)
	s_lshl_b64 s[2:3], s[2:3], 4
	s_add_u32 s16, s20, s2
	s_addc_u32 s17, s21, s3
	s_xor_b64 s[4:5], s[18:19], -1
	v_mad_i64_i32 v[0:1], s[2:3], v10, s22, 0
	s_or_b64 s[0:1], s[0:1], s[4:5]
	v_lshl_add_u64 v[8:9], v[0:1], 4, s[16:17]
	v_cmp_le_i32_e32 vcc, v10, v4
	v_cmp_gt_i32_e64 s[2:3], s6, v4
	v_cndmask_b32_e64 v0, 0, 1, s[0:1]
	s_and_b64 s[18:19], vcc, s[2:3]
	v_ashrrev_i32_e32 v5, 31, v4
	v_cmp_ne_u32_e64 s[0:1], 1, v0
	s_and_saveexec_b64 s[4:5], s[18:19]
	s_cbranch_execz .LBB411_18
; %bb.15:
	v_mul_f64 v[0:1], s[14:15], v[26:27]
	v_mul_f64 v[2:3], s[12:13], v[26:27]
	v_fma_f64 v[0:1], s[12:13], v[24:25], -v[0:1]
	v_fmac_f64_e32 v[2:3], s[14:15], v[24:25]
	s_and_b64 vcc, exec, s[0:1]
	v_lshl_add_u64 v[6:7], v[4:5], 4, v[8:9]
	s_cbranch_vccnz .LBB411_17
; %bb.16:
	flat_load_dwordx4 v[24:27], v[6:7]
	s_waitcnt vmcnt(0) lgkmcnt(0)
	v_mul_f64 v[28:29], s[10:11], v[26:27]
	v_mul_f64 v[26:27], s[8:9], v[26:27]
	v_fma_f64 v[28:29], s[8:9], v[24:25], -v[28:29]
	v_fmac_f64_e32 v[26:27], s[10:11], v[24:25]
	v_add_f64 v[0:1], v[0:1], v[28:29]
	v_add_f64 v[2:3], v[2:3], v[26:27]
.LBB411_17:
	flat_store_dwordx4 v[6:7], v[0:3]
.LBB411_18:
	s_or_b64 exec, exec, s[4:5]
	v_add_u32_e32 v6, 16, v4
	v_cmp_le_i32_e32 vcc, v10, v6
	v_cmp_gt_i32_e64 s[4:5], s6, v6
	s_and_b64 s[18:19], vcc, s[4:5]
	v_ashrrev_i32_e32 v7, 31, v6
	s_and_saveexec_b64 s[6:7], s[18:19]
	s_cbranch_execz .LBB411_22
; %bb.19:
	v_mul_f64 v[0:1], s[14:15], v[22:23]
	v_mul_f64 v[2:3], s[12:13], v[22:23]
	v_fma_f64 v[0:1], s[12:13], v[20:21], -v[0:1]
	v_fmac_f64_e32 v[2:3], s[14:15], v[20:21]
	s_and_b64 vcc, exec, s[0:1]
	v_lshl_add_u64 v[8:9], v[6:7], 4, v[8:9]
	s_cbranch_vccnz .LBB411_21
; %bb.20:
	flat_load_dwordx4 v[20:23], v[8:9]
	s_waitcnt vmcnt(0) lgkmcnt(0)
	v_mul_f64 v[24:25], s[10:11], v[22:23]
	v_mul_f64 v[22:23], s[8:9], v[22:23]
	v_fma_f64 v[24:25], s[8:9], v[20:21], -v[24:25]
	v_fmac_f64_e32 v[22:23], s[10:11], v[20:21]
	v_add_f64 v[0:1], v[0:1], v[24:25]
	v_add_f64 v[2:3], v[2:3], v[22:23]
.LBB411_21:
	flat_store_dwordx4 v[8:9], v[0:3]
.LBB411_22:
	s_or_b64 exec, exec, s[6:7]
	v_add_u32_e32 v10, 16, v10
	v_mad_i64_i32 v[0:1], s[6:7], v10, s22, 0
	v_cmp_le_i32_e32 vcc, v10, v4
	v_lshl_add_u64 v[8:9], v[0:1], 4, s[16:17]
	s_and_b64 s[6:7], vcc, s[2:3]
	s_and_saveexec_b64 s[2:3], s[6:7]
	s_cbranch_execz .LBB411_26
; %bb.23:
	v_mul_f64 v[0:1], s[14:15], v[18:19]
	v_mul_f64 v[2:3], s[12:13], v[18:19]
	v_fma_f64 v[0:1], s[12:13], v[16:17], -v[0:1]
	v_fmac_f64_e32 v[2:3], s[14:15], v[16:17]
	s_and_b64 vcc, exec, s[0:1]
	v_lshl_add_u64 v[4:5], v[4:5], 4, v[8:9]
	s_cbranch_vccnz .LBB411_25
; %bb.24:
	flat_load_dwordx4 v[16:19], v[4:5]
	s_waitcnt vmcnt(0) lgkmcnt(0)
	v_mul_f64 v[20:21], s[10:11], v[18:19]
	v_mul_f64 v[18:19], s[8:9], v[18:19]
	v_fma_f64 v[20:21], s[8:9], v[16:17], -v[20:21]
	v_fmac_f64_e32 v[18:19], s[10:11], v[16:17]
	v_add_f64 v[0:1], v[0:1], v[20:21]
	v_add_f64 v[2:3], v[2:3], v[18:19]
.LBB411_25:
	flat_store_dwordx4 v[4:5], v[0:3]
.LBB411_26:
	s_or_b64 exec, exec, s[2:3]
	v_cmp_le_i32_e32 vcc, v10, v6
	s_and_b64 s[2:3], vcc, s[4:5]
	s_and_saveexec_b64 s[4:5], s[2:3]
	s_cbranch_execz .LBB411_30
; %bb.27:
	v_mul_f64 v[0:1], s[14:15], v[12:13]
	v_mul_f64 v[2:3], s[12:13], v[12:13]
	v_fma_f64 v[0:1], s[12:13], v[14:15], -v[0:1]
	v_fmac_f64_e32 v[2:3], s[14:15], v[14:15]
	s_and_b64 vcc, exec, s[0:1]
	v_lshl_add_u64 v[4:5], v[6:7], 4, v[8:9]
	s_cbranch_vccnz .LBB411_29
; %bb.28:
	flat_load_dwordx4 v[6:9], v[4:5]
	s_waitcnt vmcnt(0) lgkmcnt(0)
	v_mul_f64 v[10:11], s[10:11], v[8:9]
	v_mul_f64 v[8:9], s[8:9], v[8:9]
	v_fma_f64 v[10:11], s[8:9], v[6:7], -v[10:11]
	v_fmac_f64_e32 v[8:9], s[10:11], v[6:7]
	v_add_f64 v[0:1], v[0:1], v[10:11]
	v_add_f64 v[2:3], v[2:3], v[8:9]
.LBB411_29:
	flat_store_dwordx4 v[4:5], v[0:3]
.LBB411_30:
	s_endpgm
	.section	.rodata,"a",@progbits
	.p2align	6, 0x0
	.amdhsa_kernel _ZL29rocblas_internal_gemmt_kernelIiLi16ELi32ELi8ELc67ELc78ELc76ELb1ELb0E19rocblas_complex_numIdEPKS1_PKS3_PKPS1_EviT_T9_T10_S9_lSB_S9_lSA_T11_S9_li
		.amdhsa_group_segment_fixed_size 8192
		.amdhsa_private_segment_fixed_size 0
		.amdhsa_kernarg_size 100
		.amdhsa_user_sgpr_count 2
		.amdhsa_user_sgpr_dispatch_ptr 0
		.amdhsa_user_sgpr_queue_ptr 0
		.amdhsa_user_sgpr_kernarg_segment_ptr 1
		.amdhsa_user_sgpr_dispatch_id 0
		.amdhsa_user_sgpr_kernarg_preload_length 0
		.amdhsa_user_sgpr_kernarg_preload_offset 0
		.amdhsa_user_sgpr_private_segment_size 0
		.amdhsa_uses_dynamic_stack 0
		.amdhsa_enable_private_segment 0
		.amdhsa_system_sgpr_workgroup_id_x 1
		.amdhsa_system_sgpr_workgroup_id_y 1
		.amdhsa_system_sgpr_workgroup_id_z 1
		.amdhsa_system_sgpr_workgroup_info 0
		.amdhsa_system_vgpr_workitem_id 1
		.amdhsa_next_free_vgpr 62
		.amdhsa_next_free_sgpr 34
		.amdhsa_accum_offset 64
		.amdhsa_reserve_vcc 1
		.amdhsa_float_round_mode_32 0
		.amdhsa_float_round_mode_16_64 0
		.amdhsa_float_denorm_mode_32 3
		.amdhsa_float_denorm_mode_16_64 3
		.amdhsa_dx10_clamp 1
		.amdhsa_ieee_mode 1
		.amdhsa_fp16_overflow 0
		.amdhsa_tg_split 0
		.amdhsa_exception_fp_ieee_invalid_op 0
		.amdhsa_exception_fp_denorm_src 0
		.amdhsa_exception_fp_ieee_div_zero 0
		.amdhsa_exception_fp_ieee_overflow 0
		.amdhsa_exception_fp_ieee_underflow 0
		.amdhsa_exception_fp_ieee_inexact 0
		.amdhsa_exception_int_div_zero 0
	.end_amdhsa_kernel
	.section	.text._ZL29rocblas_internal_gemmt_kernelIiLi16ELi32ELi8ELc67ELc78ELc76ELb1ELb0E19rocblas_complex_numIdEPKS1_PKS3_PKPS1_EviT_T9_T10_S9_lSB_S9_lSA_T11_S9_li,"axG",@progbits,_ZL29rocblas_internal_gemmt_kernelIiLi16ELi32ELi8ELc67ELc78ELc76ELb1ELb0E19rocblas_complex_numIdEPKS1_PKS3_PKPS1_EviT_T9_T10_S9_lSB_S9_lSA_T11_S9_li,comdat
.Lfunc_end411:
	.size	_ZL29rocblas_internal_gemmt_kernelIiLi16ELi32ELi8ELc67ELc78ELc76ELb1ELb0E19rocblas_complex_numIdEPKS1_PKS3_PKPS1_EviT_T9_T10_S9_lSB_S9_lSA_T11_S9_li, .Lfunc_end411-_ZL29rocblas_internal_gemmt_kernelIiLi16ELi32ELi8ELc67ELc78ELc76ELb1ELb0E19rocblas_complex_numIdEPKS1_PKS3_PKPS1_EviT_T9_T10_S9_lSB_S9_lSA_T11_S9_li
                                        ; -- End function
	.set _ZL29rocblas_internal_gemmt_kernelIiLi16ELi32ELi8ELc67ELc78ELc76ELb1ELb0E19rocblas_complex_numIdEPKS1_PKS3_PKPS1_EviT_T9_T10_S9_lSB_S9_lSA_T11_S9_li.num_vgpr, 62
	.set _ZL29rocblas_internal_gemmt_kernelIiLi16ELi32ELi8ELc67ELc78ELc76ELb1ELb0E19rocblas_complex_numIdEPKS1_PKS3_PKPS1_EviT_T9_T10_S9_lSB_S9_lSA_T11_S9_li.num_agpr, 0
	.set _ZL29rocblas_internal_gemmt_kernelIiLi16ELi32ELi8ELc67ELc78ELc76ELb1ELb0E19rocblas_complex_numIdEPKS1_PKS3_PKPS1_EviT_T9_T10_S9_lSB_S9_lSA_T11_S9_li.numbered_sgpr, 34
	.set _ZL29rocblas_internal_gemmt_kernelIiLi16ELi32ELi8ELc67ELc78ELc76ELb1ELb0E19rocblas_complex_numIdEPKS1_PKS3_PKPS1_EviT_T9_T10_S9_lSB_S9_lSA_T11_S9_li.num_named_barrier, 0
	.set _ZL29rocblas_internal_gemmt_kernelIiLi16ELi32ELi8ELc67ELc78ELc76ELb1ELb0E19rocblas_complex_numIdEPKS1_PKS3_PKPS1_EviT_T9_T10_S9_lSB_S9_lSA_T11_S9_li.private_seg_size, 0
	.set _ZL29rocblas_internal_gemmt_kernelIiLi16ELi32ELi8ELc67ELc78ELc76ELb1ELb0E19rocblas_complex_numIdEPKS1_PKS3_PKPS1_EviT_T9_T10_S9_lSB_S9_lSA_T11_S9_li.uses_vcc, 1
	.set _ZL29rocblas_internal_gemmt_kernelIiLi16ELi32ELi8ELc67ELc78ELc76ELb1ELb0E19rocblas_complex_numIdEPKS1_PKS3_PKPS1_EviT_T9_T10_S9_lSB_S9_lSA_T11_S9_li.uses_flat_scratch, 0
	.set _ZL29rocblas_internal_gemmt_kernelIiLi16ELi32ELi8ELc67ELc78ELc76ELb1ELb0E19rocblas_complex_numIdEPKS1_PKS3_PKPS1_EviT_T9_T10_S9_lSB_S9_lSA_T11_S9_li.has_dyn_sized_stack, 0
	.set _ZL29rocblas_internal_gemmt_kernelIiLi16ELi32ELi8ELc67ELc78ELc76ELb1ELb0E19rocblas_complex_numIdEPKS1_PKS3_PKPS1_EviT_T9_T10_S9_lSB_S9_lSA_T11_S9_li.has_recursion, 0
	.set _ZL29rocblas_internal_gemmt_kernelIiLi16ELi32ELi8ELc67ELc78ELc76ELb1ELb0E19rocblas_complex_numIdEPKS1_PKS3_PKPS1_EviT_T9_T10_S9_lSB_S9_lSA_T11_S9_li.has_indirect_call, 0
	.section	.AMDGPU.csdata,"",@progbits
; Kernel info:
; codeLenInByte = 3132
; TotalNumSgprs: 40
; NumVgprs: 62
; NumAgprs: 0
; TotalNumVgprs: 62
; ScratchSize: 0
; MemoryBound: 1
; FloatMode: 240
; IeeeMode: 1
; LDSByteSize: 8192 bytes/workgroup (compile time only)
; SGPRBlocks: 4
; VGPRBlocks: 7
; NumSGPRsForWavesPerEU: 40
; NumVGPRsForWavesPerEU: 62
; AccumOffset: 64
; Occupancy: 8
; WaveLimiterHint : 1
; COMPUTE_PGM_RSRC2:SCRATCH_EN: 0
; COMPUTE_PGM_RSRC2:USER_SGPR: 2
; COMPUTE_PGM_RSRC2:TRAP_HANDLER: 0
; COMPUTE_PGM_RSRC2:TGID_X_EN: 1
; COMPUTE_PGM_RSRC2:TGID_Y_EN: 1
; COMPUTE_PGM_RSRC2:TGID_Z_EN: 1
; COMPUTE_PGM_RSRC2:TIDIG_COMP_CNT: 1
; COMPUTE_PGM_RSRC3_GFX90A:ACCUM_OFFSET: 15
; COMPUTE_PGM_RSRC3_GFX90A:TG_SPLIT: 0
	.section	.text._ZL29rocblas_internal_gemmt_kernelIiLi16ELi32ELi8ELc67ELc84ELc76ELb1ELb0E19rocblas_complex_numIdEPKS1_PKS3_PKPS1_EviT_T9_T10_S9_lSB_S9_lSA_T11_S9_li,"axG",@progbits,_ZL29rocblas_internal_gemmt_kernelIiLi16ELi32ELi8ELc67ELc84ELc76ELb1ELb0E19rocblas_complex_numIdEPKS1_PKS3_PKPS1_EviT_T9_T10_S9_lSB_S9_lSA_T11_S9_li,comdat
	.globl	_ZL29rocblas_internal_gemmt_kernelIiLi16ELi32ELi8ELc67ELc84ELc76ELb1ELb0E19rocblas_complex_numIdEPKS1_PKS3_PKPS1_EviT_T9_T10_S9_lSB_S9_lSA_T11_S9_li ; -- Begin function _ZL29rocblas_internal_gemmt_kernelIiLi16ELi32ELi8ELc67ELc84ELc76ELb1ELb0E19rocblas_complex_numIdEPKS1_PKS3_PKPS1_EviT_T9_T10_S9_lSB_S9_lSA_T11_S9_li
	.p2align	8
	.type	_ZL29rocblas_internal_gemmt_kernelIiLi16ELi32ELi8ELc67ELc84ELc76ELb1ELb0E19rocblas_complex_numIdEPKS1_PKS3_PKPS1_EviT_T9_T10_S9_lSB_S9_lSA_T11_S9_li,@function
_ZL29rocblas_internal_gemmt_kernelIiLi16ELi32ELi8ELc67ELc84ELc76ELb1ELb0E19rocblas_complex_numIdEPKS1_PKS3_PKPS1_EviT_T9_T10_S9_lSB_S9_lSA_T11_S9_li: ; @_ZL29rocblas_internal_gemmt_kernelIiLi16ELi32ELi8ELc67ELc84ELc76ELb1ELb0E19rocblas_complex_numIdEPKS1_PKS3_PKPS1_EviT_T9_T10_S9_lSB_S9_lSA_T11_S9_li
; %bb.0:
	s_load_dwordx4 s[16:19], s[0:1], 0x38
	s_load_dwordx4 s[20:23], s[0:1], 0x8
	s_mov_b64 s[24:25], 0
	s_waitcnt lgkmcnt(0)
	s_load_dwordx4 s[8:11], s[18:19], 0x0
	s_load_dwordx2 s[6:7], s[0:1], 0x0
	s_load_dwordx4 s[12:15], s[20:21], 0x0
	s_waitcnt lgkmcnt(0)
	v_cmp_eq_f64_e64 s[20:21], s[8:9], 1.0
	v_cmp_eq_f64_e64 s[18:19], s[10:11], 0
	s_and_b64 s[20:21], s[20:21], s[18:19]
	s_andn2_b64 vcc, exec, s[20:21]
	s_mov_b64 s[20:21], -1
	s_cbranch_vccnz .LBB412_4
; %bb.1:
	s_cmp_lg_u32 s7, 0
	s_cbranch_scc0 .LBB412_3
; %bb.2:
	v_cmp_neq_f64_e64 s[20:21], s[12:13], 0
	v_cmp_neq_f64_e64 s[24:25], s[14:15], 0
	s_or_b64 s[24:25], s[20:21], s[24:25]
.LBB412_3:
	s_mov_b64 s[20:21], s[24:25]
.LBB412_4:
	s_and_b64 vcc, exec, s[20:21]
	s_cbranch_vccz .LBB412_30
; %bb.5:
	s_load_dwordx2 s[20:21], s[0:1], 0x48
	s_mov_b32 s5, 0
	s_lshl_b64 s[24:25], s[4:5], 3
	v_cmp_eq_f64_e64 s[28:29], s[14:15], 0
	v_and_b32_e32 v28, 0x3ff, v0
	s_waitcnt lgkmcnt(0)
	s_add_u32 s20, s20, s24
	s_addc_u32 s21, s21, s25
	s_lshl_b32 s4, s2, 5
	s_lshl_b32 s26, s3, 5
	v_cmp_eq_f64_e64 s[2:3], s[12:13], 0
	s_load_dwordx2 s[20:21], s[20:21], 0x0
	s_and_b64 s[2:3], s[2:3], s[28:29]
	s_cmp_lt_i32 s7, 1
	s_cselect_b64 s[28:29], -1, 0
	s_or_b64 s[2:3], s[2:3], s[28:29]
	v_bfe_u32 v29, v0, 10, 10
	v_mov_b64_e32 v[24:25], 0
	s_and_b64 vcc, exec, s[2:3]
	v_mov_b64_e32 v[26:27], 0
	v_mov_b64_e32 v[20:21], 0
	;; [unrolled: 1-line block ×7, first 2 shown]
	s_cbranch_vccnz .LBB412_14
; %bb.6:
	s_load_dword s27, s[0:1], 0x18
	s_load_dword s34, s[0:1], 0x30
	s_load_dwordx4 s[28:31], s[0:1], 0x20
	v_lshl_add_u32 v0, v29, 4, v28
	v_lshrrev_b32_e32 v31, 5, v0
	v_lshrrev_b32_e32 v1, 3, v0
	s_waitcnt lgkmcnt(0)
	s_ashr_i32 s35, s34, 31
	v_and_b32_e32 v0, 31, v0
	v_or_b32_e32 v3, s4, v0
	s_add_u32 s2, s30, s24
	v_and_b32_e32 v30, 7, v28
	s_addc_u32 s3, s31, s25
	v_cmp_gt_i32_e32 vcc, s6, v3
	v_lshlrev_b32_e32 v3, 4, v0
	s_load_dwordx2 s[30:31], s[2:3], 0x0
	s_add_u32 s2, s22, s24
	v_lshl_or_b32 v32, v31, 9, v3
	v_lshlrev_b32_e32 v3, 4, v30
	v_add_u32_e32 v2, s26, v1
	s_addc_u32 s3, s23, s25
	v_lshl_or_b32 v1, v1, 7, v3
	s_load_dwordx2 s[22:23], s[2:3], 0x0
	v_add_u32_e32 v33, 0x1000, v1
	v_mov_b32_e32 v1, 0x1000
	v_add_u32_e32 v0, s4, v0
	v_lshl_add_u32 v35, v29, 7, v1
	v_mad_i64_i32 v[0:1], s[24:25], s27, v0, 0
	s_lshl_b64 s[24:25], s[28:29], 4
	s_nop 0
	v_lshl_add_u64 v[4:5], v[0:1], 4, s[24:25]
	v_lshlrev_b32_e32 v0, 4, v31
	v_mov_b32_e32 v1, 0
	v_lshl_add_u64 v[4:5], v[4:5], 0, v[0:1]
	s_waitcnt lgkmcnt(0)
	v_lshl_add_u64 v[8:9], s[22:23], 0, v[4:5]
	v_mad_i64_i32 v[4:5], s[22:23], s34, v30, 0
	s_lshl_b64 s[16:17], s[16:17], 4
	v_ashrrev_i32_e32 v3, 31, v2
	v_lshl_add_u64 v[4:5], v[4:5], 4, s[16:17]
	v_cmp_gt_i32_e64 s[2:3], s6, v2
	v_lshl_add_u64 v[2:3], v[2:3], 4, v[4:5]
	v_lshlrev_b32_e32 v34, 4, v28
	v_lshl_add_u64 v[10:11], s[30:31], 0, v[2:3]
	s_lshl_b64 s[16:17], s[34:35], 7
	v_mov_b64_e32 v[12:13], 0
	s_xor_b64 s[22:23], s[2:3], -1
	s_mov_b64 s[24:25], 0x80
	v_mov_b32_e32 v0, v1
	v_mov_b32_e32 v2, v1
	v_mov_b32_e32 v3, v1
	v_mov_b64_e32 v[14:15], 0
	v_mov_b64_e32 v[18:19], 0
	;; [unrolled: 1-line block ×7, first 2 shown]
	s_branch .LBB412_8
.LBB412_7:                              ;   in Loop: Header=BB412_8 Depth=1
	s_or_b64 exec, exec, s[2:3]
	s_waitcnt lgkmcnt(0)
	s_barrier
	ds_read_b128 v[4:7], v34
	ds_read_b128 v[36:39], v35
	ds_read_b128 v[40:43], v35 offset:16
	ds_read_b128 v[44:47], v35 offset:32
	;; [unrolled: 1-line block ×4, first 2 shown]
	s_waitcnt lgkmcnt(4)
	v_mul_f64 v[56:57], v[38:39], v[6:7]
	v_fma_f64 v[56:57], v[36:37], v[4:5], -v[56:57]
	v_mul_f64 v[58:59], v[36:37], v[6:7]
	v_fmac_f64_e32 v[58:59], v[38:39], v[4:5]
	v_add_f64 v[56:57], v[24:25], v[56:57]
	s_waitcnt lgkmcnt(0)
	v_mul_f64 v[24:25], v[38:39], v[54:55]
	v_add_f64 v[58:59], v[58:59], v[26:27]
	v_fma_f64 v[60:61], v[36:37], v[52:53], -v[24:25]
	ds_read_b128 v[24:27], v35 offset:2048
	v_mul_f64 v[36:37], v[36:37], v[54:55]
	v_fmac_f64_e32 v[36:37], v[38:39], v[52:53]
	v_add_f64 v[38:39], v[20:21], v[60:61]
	v_add_f64 v[36:37], v[36:37], v[22:23]
	ds_read_b128 v[20:23], v35 offset:2064
	s_waitcnt lgkmcnt(1)
	v_mul_f64 v[60:61], v[26:27], v[6:7]
	v_mul_f64 v[6:7], v[24:25], v[6:7]
	v_fma_f64 v[60:61], v[24:25], v[4:5], -v[60:61]
	v_fmac_f64_e32 v[6:7], v[26:27], v[4:5]
	v_mul_f64 v[4:5], v[26:27], v[54:55]
	v_add_f64 v[16:17], v[16:17], v[60:61]
	v_add_f64 v[18:19], v[6:7], v[18:19]
	v_fma_f64 v[60:61], v[24:25], v[52:53], -v[4:5]
	v_mul_f64 v[24:25], v[24:25], v[54:55]
	ds_read_b128 v[4:7], v34 offset:512
	v_fmac_f64_e32 v[24:25], v[26:27], v[52:53]
	v_add_f64 v[26:27], v[14:15], v[60:61]
	v_add_f64 v[24:25], v[24:25], v[12:13]
	ds_read_b128 v[12:15], v34 offset:768
	s_waitcnt lgkmcnt(1)
	v_mul_f64 v[52:53], v[42:43], v[6:7]
	v_fma_f64 v[52:53], v[40:41], v[4:5], -v[52:53]
	v_add_f64 v[52:53], v[56:57], v[52:53]
	v_mul_f64 v[54:55], v[40:41], v[6:7]
	s_waitcnt lgkmcnt(0)
	v_mul_f64 v[56:57], v[42:43], v[14:15]
	v_fma_f64 v[56:57], v[40:41], v[12:13], -v[56:57]
	v_mul_f64 v[40:41], v[40:41], v[14:15]
	v_fmac_f64_e32 v[40:41], v[42:43], v[12:13]
	v_add_f64 v[36:37], v[40:41], v[36:37]
	v_mul_f64 v[40:41], v[22:23], v[6:7]
	v_mul_f64 v[6:7], v[20:21], v[6:7]
	v_fmac_f64_e32 v[54:55], v[42:43], v[4:5]
	v_fma_f64 v[40:41], v[20:21], v[4:5], -v[40:41]
	v_fmac_f64_e32 v[6:7], v[22:23], v[4:5]
	v_mul_f64 v[4:5], v[22:23], v[14:15]
	v_add_f64 v[40:41], v[16:17], v[40:41]
	v_add_f64 v[42:43], v[6:7], v[18:19]
	v_fma_f64 v[16:17], v[20:21], v[12:13], -v[4:5]
	v_mul_f64 v[14:15], v[20:21], v[14:15]
	ds_read_b128 v[4:7], v34 offset:1024
	v_fmac_f64_e32 v[14:15], v[22:23], v[12:13]
	v_add_f64 v[24:25], v[14:15], v[24:25]
	ds_read_b128 v[12:15], v34 offset:1280
	v_add_f64 v[26:27], v[26:27], v[16:17]
	s_waitcnt lgkmcnt(1)
	v_mul_f64 v[16:17], v[46:47], v[6:7]
	v_fma_f64 v[16:17], v[44:45], v[4:5], -v[16:17]
	v_mul_f64 v[18:19], v[44:45], v[6:7]
	v_add_f64 v[54:55], v[54:55], v[58:59]
	v_fmac_f64_e32 v[18:19], v[46:47], v[4:5]
	v_add_f64 v[52:53], v[52:53], v[16:17]
	s_waitcnt lgkmcnt(0)
	v_mul_f64 v[16:17], v[46:47], v[14:15]
	v_add_f64 v[54:55], v[18:19], v[54:55]
	v_fma_f64 v[20:21], v[44:45], v[12:13], -v[16:17]
	ds_read_b128 v[16:19], v35 offset:2080
	v_mul_f64 v[22:23], v[44:45], v[14:15]
	v_add_f64 v[38:39], v[38:39], v[56:57]
	v_fmac_f64_e32 v[22:23], v[46:47], v[12:13]
	v_add_f64 v[38:39], v[38:39], v[20:21]
	v_add_f64 v[36:37], v[22:23], v[36:37]
	ds_read_b128 v[20:23], v35 offset:2096
	s_waitcnt lgkmcnt(1)
	v_mul_f64 v[44:45], v[18:19], v[6:7]
	v_mul_f64 v[6:7], v[16:17], v[6:7]
	v_fma_f64 v[44:45], v[16:17], v[4:5], -v[44:45]
	v_fmac_f64_e32 v[6:7], v[18:19], v[4:5]
	v_mul_f64 v[4:5], v[18:19], v[14:15]
	v_mul_f64 v[14:15], v[16:17], v[14:15]
	v_fmac_f64_e32 v[14:15], v[18:19], v[12:13]
	v_add_f64 v[40:41], v[40:41], v[44:45]
	v_add_f64 v[42:43], v[6:7], v[42:43]
	v_fma_f64 v[44:45], v[16:17], v[12:13], -v[4:5]
	ds_read_b128 v[4:7], v34 offset:1536
	v_add_f64 v[18:19], v[14:15], v[24:25]
	ds_read_b128 v[12:15], v34 offset:1792
	v_add_f64 v[16:17], v[26:27], v[44:45]
	s_add_i32 s5, s5, 8
	s_waitcnt lgkmcnt(1)
	v_mul_f64 v[24:25], v[50:51], v[6:7]
	v_mul_f64 v[26:27], v[48:49], v[6:7]
	s_waitcnt lgkmcnt(0)
	v_mul_f64 v[44:45], v[50:51], v[14:15]
	v_fma_f64 v[44:45], v[48:49], v[12:13], -v[44:45]
	v_add_f64 v[38:39], v[38:39], v[44:45]
	v_mul_f64 v[44:45], v[22:23], v[6:7]
	v_mul_f64 v[6:7], v[20:21], v[6:7]
	v_fma_f64 v[24:25], v[48:49], v[4:5], -v[24:25]
	v_fmac_f64_e32 v[26:27], v[50:51], v[4:5]
	v_fma_f64 v[44:45], v[20:21], v[4:5], -v[44:45]
	v_fmac_f64_e32 v[6:7], v[22:23], v[4:5]
	v_mul_f64 v[4:5], v[22:23], v[14:15]
	v_mul_f64 v[46:47], v[48:49], v[14:15]
	v_add_f64 v[40:41], v[40:41], v[44:45]
	v_fma_f64 v[44:45], v[20:21], v[12:13], -v[4:5]
	v_mul_f64 v[20:21], v[20:21], v[14:15]
	v_fmac_f64_e32 v[46:47], v[50:51], v[12:13]
	v_add_f64 v[42:43], v[6:7], v[42:43]
	v_fmac_f64_e32 v[20:21], v[22:23], v[12:13]
	ds_read_b128 v[4:7], v35 offset:64
	ds_read_b128 v[12:15], v34 offset:2048
	v_add_f64 v[36:37], v[46:47], v[36:37]
	v_add_f64 v[44:45], v[16:17], v[44:45]
	;; [unrolled: 1-line block ×3, first 2 shown]
	ds_read_b128 v[16:19], v34 offset:2304
	ds_read_b128 v[20:23], v35 offset:80
	s_waitcnt lgkmcnt(2)
	v_mul_f64 v[48:49], v[6:7], v[14:15]
	v_add_f64 v[24:25], v[52:53], v[24:25]
	v_fma_f64 v[48:49], v[4:5], v[12:13], -v[48:49]
	v_mul_f64 v[50:51], v[4:5], v[14:15]
	v_add_f64 v[26:27], v[26:27], v[54:55]
	v_fmac_f64_e32 v[50:51], v[6:7], v[12:13]
	v_add_f64 v[48:49], v[24:25], v[48:49]
	s_waitcnt lgkmcnt(1)
	v_mul_f64 v[24:25], v[6:7], v[18:19]
	v_add_f64 v[50:51], v[50:51], v[26:27]
	v_fma_f64 v[52:53], v[4:5], v[16:17], -v[24:25]
	ds_read_b128 v[24:27], v35 offset:2112
	v_mul_f64 v[4:5], v[4:5], v[18:19]
	v_fmac_f64_e32 v[4:5], v[6:7], v[16:17]
	v_add_f64 v[38:39], v[38:39], v[52:53]
	v_add_f64 v[36:37], v[4:5], v[36:37]
	ds_read_b128 v[4:7], v35 offset:2128
	s_waitcnt lgkmcnt(1)
	v_mul_f64 v[52:53], v[26:27], v[14:15]
	v_mul_f64 v[14:15], v[24:25], v[14:15]
	v_fma_f64 v[52:53], v[24:25], v[12:13], -v[52:53]
	v_fmac_f64_e32 v[14:15], v[26:27], v[12:13]
	v_mul_f64 v[12:13], v[26:27], v[18:19]
	v_add_f64 v[40:41], v[40:41], v[52:53]
	v_add_f64 v[42:43], v[14:15], v[42:43]
	v_fma_f64 v[52:53], v[24:25], v[16:17], -v[12:13]
	v_mul_f64 v[18:19], v[24:25], v[18:19]
	ds_read_b128 v[12:15], v34 offset:2560
	v_fmac_f64_e32 v[18:19], v[26:27], v[16:17]
	v_add_f64 v[26:27], v[18:19], v[46:47]
	ds_read_b128 v[16:19], v34 offset:2816
	v_add_f64 v[24:25], v[44:45], v[52:53]
	s_waitcnt lgkmcnt(1)
	v_mul_f64 v[44:45], v[22:23], v[14:15]
	v_fma_f64 v[44:45], v[20:21], v[12:13], -v[44:45]
	v_add_f64 v[44:45], v[48:49], v[44:45]
	s_waitcnt lgkmcnt(0)
	v_mul_f64 v[48:49], v[22:23], v[18:19]
	v_mul_f64 v[46:47], v[20:21], v[14:15]
	v_fma_f64 v[48:49], v[20:21], v[16:17], -v[48:49]
	v_mul_f64 v[20:21], v[20:21], v[18:19]
	v_fmac_f64_e32 v[20:21], v[22:23], v[16:17]
	v_add_f64 v[36:37], v[20:21], v[36:37]
	v_mul_f64 v[20:21], v[6:7], v[14:15]
	v_mul_f64 v[14:15], v[4:5], v[14:15]
	v_fmac_f64_e32 v[46:47], v[22:23], v[12:13]
	v_fma_f64 v[20:21], v[4:5], v[12:13], -v[20:21]
	v_fmac_f64_e32 v[14:15], v[6:7], v[12:13]
	v_mul_f64 v[12:13], v[6:7], v[18:19]
	v_mul_f64 v[18:19], v[4:5], v[18:19]
	v_add_f64 v[40:41], v[40:41], v[20:21]
	v_add_f64 v[42:43], v[14:15], v[42:43]
	v_fma_f64 v[20:21], v[4:5], v[16:17], -v[12:13]
	v_fmac_f64_e32 v[18:19], v[6:7], v[16:17]
	ds_read_b128 v[4:7], v35 offset:96
	ds_read_b128 v[12:15], v34 offset:3072
	v_add_f64 v[46:47], v[46:47], v[50:51]
	v_add_f64 v[38:39], v[38:39], v[48:49]
	;; [unrolled: 1-line block ×4, first 2 shown]
	ds_read_b128 v[16:19], v34 offset:3328
	ds_read_b128 v[20:23], v35 offset:112
	s_waitcnt lgkmcnt(2)
	v_mul_f64 v[24:25], v[6:7], v[14:15]
	v_fma_f64 v[24:25], v[4:5], v[12:13], -v[24:25]
	v_mul_f64 v[26:27], v[4:5], v[14:15]
	v_fmac_f64_e32 v[26:27], v[6:7], v[12:13]
	v_add_f64 v[44:45], v[44:45], v[24:25]
	s_waitcnt lgkmcnt(1)
	v_mul_f64 v[24:25], v[6:7], v[18:19]
	v_add_f64 v[46:47], v[26:27], v[46:47]
	v_fma_f64 v[52:53], v[4:5], v[16:17], -v[24:25]
	ds_read_b128 v[24:27], v35 offset:2144
	v_mul_f64 v[4:5], v[4:5], v[18:19]
	v_fmac_f64_e32 v[4:5], v[6:7], v[16:17]
	v_add_f64 v[54:55], v[4:5], v[36:37]
	ds_read_b128 v[4:7], v35 offset:2160
	s_waitcnt lgkmcnt(1)
	v_mul_f64 v[36:37], v[26:27], v[14:15]
	v_mul_f64 v[14:15], v[24:25], v[14:15]
	v_fma_f64 v[36:37], v[24:25], v[12:13], -v[36:37]
	v_fmac_f64_e32 v[14:15], v[26:27], v[12:13]
	v_mul_f64 v[12:13], v[26:27], v[18:19]
	v_add_f64 v[40:41], v[40:41], v[36:37]
	v_add_f64 v[42:43], v[14:15], v[42:43]
	v_fma_f64 v[36:37], v[24:25], v[16:17], -v[12:13]
	ds_read_b128 v[12:15], v34 offset:3584
	v_add_f64 v[52:53], v[38:39], v[52:53]
	v_add_f64 v[48:49], v[48:49], v[36:37]
	ds_read_b128 v[36:39], v34 offset:3840
	v_mul_f64 v[18:19], v[24:25], v[18:19]
	v_fmac_f64_e32 v[18:19], v[26:27], v[16:17]
	s_waitcnt lgkmcnt(1)
	v_mul_f64 v[16:17], v[22:23], v[14:15]
	v_fma_f64 v[16:17], v[20:21], v[12:13], -v[16:17]
	v_add_f64 v[50:51], v[18:19], v[50:51]
	v_mul_f64 v[18:19], v[20:21], v[14:15]
	v_add_f64 v[24:25], v[44:45], v[16:17]
	s_waitcnt lgkmcnt(0)
	v_mul_f64 v[16:17], v[22:23], v[38:39]
	v_fmac_f64_e32 v[18:19], v[22:23], v[12:13]
	v_fma_f64 v[16:17], v[20:21], v[36:37], -v[16:17]
	v_add_f64 v[26:27], v[18:19], v[46:47]
	v_mul_f64 v[18:19], v[20:21], v[38:39]
	v_add_f64 v[20:21], v[52:53], v[16:17]
	v_mul_f64 v[16:17], v[6:7], v[14:15]
	v_mul_f64 v[14:15], v[4:5], v[14:15]
	v_fma_f64 v[16:17], v[4:5], v[12:13], -v[16:17]
	v_fmac_f64_e32 v[14:15], v[6:7], v[12:13]
	v_mul_f64 v[12:13], v[6:7], v[38:39]
	v_fma_f64 v[12:13], v[4:5], v[36:37], -v[12:13]
	v_mul_f64 v[4:5], v[4:5], v[38:39]
	v_fmac_f64_e32 v[18:19], v[22:23], v[36:37]
	v_fmac_f64_e32 v[4:5], v[6:7], v[36:37]
	v_add_f64 v[22:23], v[18:19], v[54:55]
	v_add_f64 v[16:17], v[40:41], v[16:17]
	;; [unrolled: 1-line block ×5, first 2 shown]
	v_lshl_add_u64 v[8:9], v[8:9], 0, s[24:25]
	s_cmp_lt_i32 s5, s7
	v_lshl_add_u64 v[10:11], v[10:11], 0, s[16:17]
	s_barrier
	s_cbranch_scc0 .LBB412_14
.LBB412_8:                              ; =>This Inner Loop Header: Depth=1
	v_add_u32_e32 v4, s5, v31
	v_cmp_gt_i32_e64 s[2:3], s7, v4
	s_and_b64 s[28:29], vcc, s[2:3]
	v_mov_b64_e32 v[4:5], 0
	v_mov_b64_e32 v[6:7], 0
	s_and_saveexec_b64 s[2:3], s[28:29]
	s_cbranch_execz .LBB412_10
; %bb.9:                                ;   in Loop: Header=BB412_8 Depth=1
	flat_load_dwordx4 v[4:7], v[8:9]
	s_waitcnt vmcnt(0) lgkmcnt(0)
	v_xor_b32_e32 v7, 0x80000000, v7
.LBB412_10:                             ;   in Loop: Header=BB412_8 Depth=1
	s_or_b64 exec, exec, s[2:3]
	ds_write_b128 v32, v[4:7]
	v_add_u32_e32 v4, s5, v30
	v_cmp_le_i32_e64 s[2:3], s7, v4
	s_or_b64 s[2:3], s[2:3], s[22:23]
	s_and_saveexec_b64 s[28:29], s[2:3]
	s_xor_b64 s[2:3], exec, s[28:29]
; %bb.11:                               ;   in Loop: Header=BB412_8 Depth=1
	ds_write_b128 v33, v[0:3]
; %bb.12:                               ;   in Loop: Header=BB412_8 Depth=1
	s_andn2_saveexec_b64 s[2:3], s[2:3]
	s_cbranch_execz .LBB412_7
; %bb.13:                               ;   in Loop: Header=BB412_8 Depth=1
	flat_load_dwordx4 v[4:7], v[10:11]
	s_waitcnt vmcnt(0) lgkmcnt(0)
	ds_write2_b64 v33, v[4:5], v[6:7] offset1:1
	s_branch .LBB412_7
.LBB412_14:
	s_load_dwordx2 s[2:3], s[0:1], 0x58
	s_load_dword s22, s[0:1], 0x50
	v_add_u32_e32 v4, s4, v28
	v_add_u32_e32 v10, s26, v29
	v_cmp_neq_f64_e64 s[0:1], s[8:9], 0
	s_waitcnt lgkmcnt(0)
	s_lshl_b64 s[2:3], s[2:3], 4
	s_add_u32 s16, s20, s2
	s_addc_u32 s17, s21, s3
	s_xor_b64 s[4:5], s[18:19], -1
	v_mad_i64_i32 v[0:1], s[2:3], v10, s22, 0
	s_or_b64 s[0:1], s[0:1], s[4:5]
	v_lshl_add_u64 v[8:9], v[0:1], 4, s[16:17]
	v_cmp_le_i32_e32 vcc, v10, v4
	v_cmp_gt_i32_e64 s[2:3], s6, v4
	v_cndmask_b32_e64 v0, 0, 1, s[0:1]
	s_and_b64 s[18:19], vcc, s[2:3]
	v_ashrrev_i32_e32 v5, 31, v4
	v_cmp_ne_u32_e64 s[0:1], 1, v0
	s_and_saveexec_b64 s[4:5], s[18:19]
	s_cbranch_execz .LBB412_18
; %bb.15:
	v_mul_f64 v[0:1], s[14:15], v[26:27]
	v_mul_f64 v[2:3], s[12:13], v[26:27]
	v_fma_f64 v[0:1], s[12:13], v[24:25], -v[0:1]
	v_fmac_f64_e32 v[2:3], s[14:15], v[24:25]
	s_and_b64 vcc, exec, s[0:1]
	v_lshl_add_u64 v[6:7], v[4:5], 4, v[8:9]
	s_cbranch_vccnz .LBB412_17
; %bb.16:
	flat_load_dwordx4 v[24:27], v[6:7]
	s_waitcnt vmcnt(0) lgkmcnt(0)
	v_mul_f64 v[28:29], s[10:11], v[26:27]
	v_mul_f64 v[26:27], s[8:9], v[26:27]
	v_fma_f64 v[28:29], s[8:9], v[24:25], -v[28:29]
	v_fmac_f64_e32 v[26:27], s[10:11], v[24:25]
	v_add_f64 v[0:1], v[0:1], v[28:29]
	v_add_f64 v[2:3], v[2:3], v[26:27]
.LBB412_17:
	flat_store_dwordx4 v[6:7], v[0:3]
.LBB412_18:
	s_or_b64 exec, exec, s[4:5]
	v_add_u32_e32 v6, 16, v4
	v_cmp_le_i32_e32 vcc, v10, v6
	v_cmp_gt_i32_e64 s[4:5], s6, v6
	s_and_b64 s[18:19], vcc, s[4:5]
	v_ashrrev_i32_e32 v7, 31, v6
	s_and_saveexec_b64 s[6:7], s[18:19]
	s_cbranch_execz .LBB412_22
; %bb.19:
	v_mul_f64 v[0:1], s[14:15], v[22:23]
	v_mul_f64 v[2:3], s[12:13], v[22:23]
	v_fma_f64 v[0:1], s[12:13], v[20:21], -v[0:1]
	v_fmac_f64_e32 v[2:3], s[14:15], v[20:21]
	s_and_b64 vcc, exec, s[0:1]
	v_lshl_add_u64 v[8:9], v[6:7], 4, v[8:9]
	s_cbranch_vccnz .LBB412_21
; %bb.20:
	flat_load_dwordx4 v[20:23], v[8:9]
	s_waitcnt vmcnt(0) lgkmcnt(0)
	v_mul_f64 v[24:25], s[10:11], v[22:23]
	v_mul_f64 v[22:23], s[8:9], v[22:23]
	v_fma_f64 v[24:25], s[8:9], v[20:21], -v[24:25]
	v_fmac_f64_e32 v[22:23], s[10:11], v[20:21]
	v_add_f64 v[0:1], v[0:1], v[24:25]
	v_add_f64 v[2:3], v[2:3], v[22:23]
.LBB412_21:
	flat_store_dwordx4 v[8:9], v[0:3]
.LBB412_22:
	s_or_b64 exec, exec, s[6:7]
	v_add_u32_e32 v10, 16, v10
	v_mad_i64_i32 v[0:1], s[6:7], v10, s22, 0
	v_cmp_le_i32_e32 vcc, v10, v4
	v_lshl_add_u64 v[8:9], v[0:1], 4, s[16:17]
	s_and_b64 s[6:7], vcc, s[2:3]
	s_and_saveexec_b64 s[2:3], s[6:7]
	s_cbranch_execz .LBB412_26
; %bb.23:
	v_mul_f64 v[0:1], s[14:15], v[18:19]
	v_mul_f64 v[2:3], s[12:13], v[18:19]
	v_fma_f64 v[0:1], s[12:13], v[16:17], -v[0:1]
	v_fmac_f64_e32 v[2:3], s[14:15], v[16:17]
	s_and_b64 vcc, exec, s[0:1]
	v_lshl_add_u64 v[4:5], v[4:5], 4, v[8:9]
	s_cbranch_vccnz .LBB412_25
; %bb.24:
	flat_load_dwordx4 v[16:19], v[4:5]
	s_waitcnt vmcnt(0) lgkmcnt(0)
	v_mul_f64 v[20:21], s[10:11], v[18:19]
	v_mul_f64 v[18:19], s[8:9], v[18:19]
	v_fma_f64 v[20:21], s[8:9], v[16:17], -v[20:21]
	v_fmac_f64_e32 v[18:19], s[10:11], v[16:17]
	v_add_f64 v[0:1], v[0:1], v[20:21]
	v_add_f64 v[2:3], v[2:3], v[18:19]
.LBB412_25:
	flat_store_dwordx4 v[4:5], v[0:3]
.LBB412_26:
	s_or_b64 exec, exec, s[2:3]
	v_cmp_le_i32_e32 vcc, v10, v6
	s_and_b64 s[2:3], vcc, s[4:5]
	s_and_saveexec_b64 s[4:5], s[2:3]
	s_cbranch_execz .LBB412_30
; %bb.27:
	v_mul_f64 v[0:1], s[14:15], v[12:13]
	v_mul_f64 v[2:3], s[12:13], v[12:13]
	v_fma_f64 v[0:1], s[12:13], v[14:15], -v[0:1]
	v_fmac_f64_e32 v[2:3], s[14:15], v[14:15]
	s_and_b64 vcc, exec, s[0:1]
	v_lshl_add_u64 v[4:5], v[6:7], 4, v[8:9]
	s_cbranch_vccnz .LBB412_29
; %bb.28:
	flat_load_dwordx4 v[6:9], v[4:5]
	s_waitcnt vmcnt(0) lgkmcnt(0)
	v_mul_f64 v[10:11], s[10:11], v[8:9]
	v_mul_f64 v[8:9], s[8:9], v[8:9]
	v_fma_f64 v[10:11], s[8:9], v[6:7], -v[10:11]
	v_fmac_f64_e32 v[8:9], s[10:11], v[6:7]
	v_add_f64 v[0:1], v[0:1], v[10:11]
	v_add_f64 v[2:3], v[2:3], v[8:9]
.LBB412_29:
	flat_store_dwordx4 v[4:5], v[0:3]
.LBB412_30:
	s_endpgm
	.section	.rodata,"a",@progbits
	.p2align	6, 0x0
	.amdhsa_kernel _ZL29rocblas_internal_gemmt_kernelIiLi16ELi32ELi8ELc67ELc84ELc76ELb1ELb0E19rocblas_complex_numIdEPKS1_PKS3_PKPS1_EviT_T9_T10_S9_lSB_S9_lSA_T11_S9_li
		.amdhsa_group_segment_fixed_size 8192
		.amdhsa_private_segment_fixed_size 0
		.amdhsa_kernarg_size 100
		.amdhsa_user_sgpr_count 2
		.amdhsa_user_sgpr_dispatch_ptr 0
		.amdhsa_user_sgpr_queue_ptr 0
		.amdhsa_user_sgpr_kernarg_segment_ptr 1
		.amdhsa_user_sgpr_dispatch_id 0
		.amdhsa_user_sgpr_kernarg_preload_length 0
		.amdhsa_user_sgpr_kernarg_preload_offset 0
		.amdhsa_user_sgpr_private_segment_size 0
		.amdhsa_uses_dynamic_stack 0
		.amdhsa_enable_private_segment 0
		.amdhsa_system_sgpr_workgroup_id_x 1
		.amdhsa_system_sgpr_workgroup_id_y 1
		.amdhsa_system_sgpr_workgroup_id_z 1
		.amdhsa_system_sgpr_workgroup_info 0
		.amdhsa_system_vgpr_workitem_id 1
		.amdhsa_next_free_vgpr 62
		.amdhsa_next_free_sgpr 36
		.amdhsa_accum_offset 64
		.amdhsa_reserve_vcc 1
		.amdhsa_float_round_mode_32 0
		.amdhsa_float_round_mode_16_64 0
		.amdhsa_float_denorm_mode_32 3
		.amdhsa_float_denorm_mode_16_64 3
		.amdhsa_dx10_clamp 1
		.amdhsa_ieee_mode 1
		.amdhsa_fp16_overflow 0
		.amdhsa_tg_split 0
		.amdhsa_exception_fp_ieee_invalid_op 0
		.amdhsa_exception_fp_denorm_src 0
		.amdhsa_exception_fp_ieee_div_zero 0
		.amdhsa_exception_fp_ieee_overflow 0
		.amdhsa_exception_fp_ieee_underflow 0
		.amdhsa_exception_fp_ieee_inexact 0
		.amdhsa_exception_int_div_zero 0
	.end_amdhsa_kernel
	.section	.text._ZL29rocblas_internal_gemmt_kernelIiLi16ELi32ELi8ELc67ELc84ELc76ELb1ELb0E19rocblas_complex_numIdEPKS1_PKS3_PKPS1_EviT_T9_T10_S9_lSB_S9_lSA_T11_S9_li,"axG",@progbits,_ZL29rocblas_internal_gemmt_kernelIiLi16ELi32ELi8ELc67ELc84ELc76ELb1ELb0E19rocblas_complex_numIdEPKS1_PKS3_PKPS1_EviT_T9_T10_S9_lSB_S9_lSA_T11_S9_li,comdat
.Lfunc_end412:
	.size	_ZL29rocblas_internal_gemmt_kernelIiLi16ELi32ELi8ELc67ELc84ELc76ELb1ELb0E19rocblas_complex_numIdEPKS1_PKS3_PKPS1_EviT_T9_T10_S9_lSB_S9_lSA_T11_S9_li, .Lfunc_end412-_ZL29rocblas_internal_gemmt_kernelIiLi16ELi32ELi8ELc67ELc84ELc76ELb1ELb0E19rocblas_complex_numIdEPKS1_PKS3_PKPS1_EviT_T9_T10_S9_lSB_S9_lSA_T11_S9_li
                                        ; -- End function
	.set _ZL29rocblas_internal_gemmt_kernelIiLi16ELi32ELi8ELc67ELc84ELc76ELb1ELb0E19rocblas_complex_numIdEPKS1_PKS3_PKPS1_EviT_T9_T10_S9_lSB_S9_lSA_T11_S9_li.num_vgpr, 62
	.set _ZL29rocblas_internal_gemmt_kernelIiLi16ELi32ELi8ELc67ELc84ELc76ELb1ELb0E19rocblas_complex_numIdEPKS1_PKS3_PKPS1_EviT_T9_T10_S9_lSB_S9_lSA_T11_S9_li.num_agpr, 0
	.set _ZL29rocblas_internal_gemmt_kernelIiLi16ELi32ELi8ELc67ELc84ELc76ELb1ELb0E19rocblas_complex_numIdEPKS1_PKS3_PKPS1_EviT_T9_T10_S9_lSB_S9_lSA_T11_S9_li.numbered_sgpr, 36
	.set _ZL29rocblas_internal_gemmt_kernelIiLi16ELi32ELi8ELc67ELc84ELc76ELb1ELb0E19rocblas_complex_numIdEPKS1_PKS3_PKPS1_EviT_T9_T10_S9_lSB_S9_lSA_T11_S9_li.num_named_barrier, 0
	.set _ZL29rocblas_internal_gemmt_kernelIiLi16ELi32ELi8ELc67ELc84ELc76ELb1ELb0E19rocblas_complex_numIdEPKS1_PKS3_PKPS1_EviT_T9_T10_S9_lSB_S9_lSA_T11_S9_li.private_seg_size, 0
	.set _ZL29rocblas_internal_gemmt_kernelIiLi16ELi32ELi8ELc67ELc84ELc76ELb1ELb0E19rocblas_complex_numIdEPKS1_PKS3_PKPS1_EviT_T9_T10_S9_lSB_S9_lSA_T11_S9_li.uses_vcc, 1
	.set _ZL29rocblas_internal_gemmt_kernelIiLi16ELi32ELi8ELc67ELc84ELc76ELb1ELb0E19rocblas_complex_numIdEPKS1_PKS3_PKPS1_EviT_T9_T10_S9_lSB_S9_lSA_T11_S9_li.uses_flat_scratch, 0
	.set _ZL29rocblas_internal_gemmt_kernelIiLi16ELi32ELi8ELc67ELc84ELc76ELb1ELb0E19rocblas_complex_numIdEPKS1_PKS3_PKPS1_EviT_T9_T10_S9_lSB_S9_lSA_T11_S9_li.has_dyn_sized_stack, 0
	.set _ZL29rocblas_internal_gemmt_kernelIiLi16ELi32ELi8ELc67ELc84ELc76ELb1ELb0E19rocblas_complex_numIdEPKS1_PKS3_PKPS1_EviT_T9_T10_S9_lSB_S9_lSA_T11_S9_li.has_recursion, 0
	.set _ZL29rocblas_internal_gemmt_kernelIiLi16ELi32ELi8ELc67ELc84ELc76ELb1ELb0E19rocblas_complex_numIdEPKS1_PKS3_PKPS1_EviT_T9_T10_S9_lSB_S9_lSA_T11_S9_li.has_indirect_call, 0
	.section	.AMDGPU.csdata,"",@progbits
; Kernel info:
; codeLenInByte = 3140
; TotalNumSgprs: 42
; NumVgprs: 62
; NumAgprs: 0
; TotalNumVgprs: 62
; ScratchSize: 0
; MemoryBound: 1
; FloatMode: 240
; IeeeMode: 1
; LDSByteSize: 8192 bytes/workgroup (compile time only)
; SGPRBlocks: 5
; VGPRBlocks: 7
; NumSGPRsForWavesPerEU: 42
; NumVGPRsForWavesPerEU: 62
; AccumOffset: 64
; Occupancy: 8
; WaveLimiterHint : 1
; COMPUTE_PGM_RSRC2:SCRATCH_EN: 0
; COMPUTE_PGM_RSRC2:USER_SGPR: 2
; COMPUTE_PGM_RSRC2:TRAP_HANDLER: 0
; COMPUTE_PGM_RSRC2:TGID_X_EN: 1
; COMPUTE_PGM_RSRC2:TGID_Y_EN: 1
; COMPUTE_PGM_RSRC2:TGID_Z_EN: 1
; COMPUTE_PGM_RSRC2:TIDIG_COMP_CNT: 1
; COMPUTE_PGM_RSRC3_GFX90A:ACCUM_OFFSET: 15
; COMPUTE_PGM_RSRC3_GFX90A:TG_SPLIT: 0
	.section	.text._ZL29rocblas_internal_gemmt_kernelIiLi16ELi32ELi8ELc67ELc67ELc76ELb1ELb1E19rocblas_complex_numIdEPKS1_PKS3_PKPS1_EviT_T9_T10_S9_lSB_S9_lSA_T11_S9_li,"axG",@progbits,_ZL29rocblas_internal_gemmt_kernelIiLi16ELi32ELi8ELc67ELc67ELc76ELb1ELb1E19rocblas_complex_numIdEPKS1_PKS3_PKPS1_EviT_T9_T10_S9_lSB_S9_lSA_T11_S9_li,comdat
	.globl	_ZL29rocblas_internal_gemmt_kernelIiLi16ELi32ELi8ELc67ELc67ELc76ELb1ELb1E19rocblas_complex_numIdEPKS1_PKS3_PKPS1_EviT_T9_T10_S9_lSB_S9_lSA_T11_S9_li ; -- Begin function _ZL29rocblas_internal_gemmt_kernelIiLi16ELi32ELi8ELc67ELc67ELc76ELb1ELb1E19rocblas_complex_numIdEPKS1_PKS3_PKPS1_EviT_T9_T10_S9_lSB_S9_lSA_T11_S9_li
	.p2align	8
	.type	_ZL29rocblas_internal_gemmt_kernelIiLi16ELi32ELi8ELc67ELc67ELc76ELb1ELb1E19rocblas_complex_numIdEPKS1_PKS3_PKPS1_EviT_T9_T10_S9_lSB_S9_lSA_T11_S9_li,@function
_ZL29rocblas_internal_gemmt_kernelIiLi16ELi32ELi8ELc67ELc67ELc76ELb1ELb1E19rocblas_complex_numIdEPKS1_PKS3_PKPS1_EviT_T9_T10_S9_lSB_S9_lSA_T11_S9_li: ; @_ZL29rocblas_internal_gemmt_kernelIiLi16ELi32ELi8ELc67ELc67ELc76ELb1ELb1E19rocblas_complex_numIdEPKS1_PKS3_PKPS1_EviT_T9_T10_S9_lSB_S9_lSA_T11_S9_li
; %bb.0:
	s_load_dwordx4 s[16:19], s[0:1], 0x38
	s_load_dwordx4 s[20:23], s[0:1], 0x8
	s_mov_b64 s[6:7], 0
	s_waitcnt lgkmcnt(0)
	s_load_dwordx4 s[8:11], s[18:19], 0x0
	s_load_dwordx2 s[24:25], s[0:1], 0x0
	s_load_dwordx4 s[12:15], s[20:21], 0x0
	s_waitcnt lgkmcnt(0)
	v_cmp_eq_f64_e64 s[20:21], s[8:9], 1.0
	v_cmp_eq_f64_e64 s[18:19], s[10:11], 0
	s_and_b64 s[20:21], s[20:21], s[18:19]
	s_andn2_b64 vcc, exec, s[20:21]
	s_mov_b64 s[20:21], -1
	s_cbranch_vccnz .LBB413_4
; %bb.1:
	s_cmp_lg_u32 s25, 0
	s_cbranch_scc0 .LBB413_3
; %bb.2:
	v_cmp_neq_f64_e64 s[6:7], s[12:13], 0
	v_cmp_neq_f64_e64 s[20:21], s[14:15], 0
	s_or_b64 s[6:7], s[6:7], s[20:21]
.LBB413_3:
	s_mov_b64 s[20:21], s[6:7]
.LBB413_4:
	s_and_b64 vcc, exec, s[20:21]
	s_cbranch_vccz .LBB413_28
; %bb.5:
	s_load_dwordx2 s[20:21], s[0:1], 0x48
	s_mov_b32 s5, 0
	s_lshl_b64 s[6:7], s[4:5], 3
	v_cmp_eq_f64_e64 s[28:29], s[14:15], 0
	v_and_b32_e32 v24, 0x3ff, v0
	s_waitcnt lgkmcnt(0)
	s_add_u32 s20, s20, s6
	s_addc_u32 s21, s21, s7
	s_lshl_b32 s4, s2, 5
	s_lshl_b32 s26, s3, 5
	v_cmp_eq_f64_e64 s[2:3], s[12:13], 0
	s_load_dwordx2 s[20:21], s[20:21], 0x0
	s_and_b64 s[2:3], s[2:3], s[28:29]
	s_cmp_lt_i32 s25, 1
	s_cselect_b64 s[28:29], -1, 0
	s_or_b64 s[2:3], s[2:3], s[28:29]
	v_bfe_u32 v25, v0, 10, 10
	v_mov_b64_e32 v[20:21], 0
	s_and_b64 vcc, exec, s[2:3]
	v_mov_b64_e32 v[22:23], 0
	v_mov_b64_e32 v[16:17], 0
	;; [unrolled: 1-line block ×7, first 2 shown]
	s_cbranch_vccnz .LBB413_12
; %bb.6:
	s_load_dword s27, s[0:1], 0x18
	s_load_dword s34, s[0:1], 0x30
	s_load_dwordx4 s[28:31], s[0:1], 0x20
	v_lshl_add_u32 v1, v25, 4, v24
	v_and_b32_e32 v3, 31, v1
	v_lshrrev_b32_e32 v27, 5, v1
	s_waitcnt lgkmcnt(0)
	s_ashr_i32 s35, s34, 31
	v_lshrrev_b32_e32 v2, 3, v1
	v_or_b32_e32 v1, s4, v3
	s_add_u32 s2, s30, s6
	v_and_b32_e32 v26, 7, v24
	s_addc_u32 s3, s31, s7
	v_cmp_gt_i32_e32 vcc, s24, v1
	v_lshlrev_b32_e32 v1, 4, v3
	s_load_dwordx2 s[30:31], s[2:3], 0x0
	s_add_u32 s2, s22, s6
	v_lshl_or_b32 v28, v27, 9, v1
	v_lshlrev_b32_e32 v1, 4, v26
	v_add_u32_e32 v0, s26, v2
	s_addc_u32 s3, s23, s7
	v_lshl_or_b32 v1, v2, 7, v1
	v_mov_b32_e32 v2, 0x1000
	s_load_dwordx2 s[6:7], s[2:3], 0x0
	v_lshl_add_u32 v31, v25, 7, v2
	v_add_u32_e32 v2, s4, v3
	v_mad_i64_i32 v[2:3], s[22:23], s27, v2, 0
	s_lshl_b64 s[22:23], s[28:29], 4
	s_nop 0
	v_lshl_add_u64 v[2:3], v[2:3], 4, s[22:23]
	v_lshlrev_b32_e32 v4, 4, v27
	v_mov_b32_e32 v5, 0
	v_lshl_add_u64 v[2:3], v[2:3], 0, v[4:5]
	s_waitcnt lgkmcnt(0)
	v_lshl_add_u64 v[4:5], s[6:7], 0, v[2:3]
	v_mad_i64_i32 v[2:3], s[6:7], s34, v26, 0
	s_lshl_b64 s[6:7], s[16:17], 4
	v_add_u32_e32 v29, 0x1000, v1
	v_ashrrev_i32_e32 v1, 31, v0
	v_lshl_add_u64 v[2:3], v[2:3], 4, s[6:7]
	v_cmp_gt_i32_e64 s[2:3], s24, v0
	v_lshl_add_u64 v[0:1], v[0:1], 4, v[2:3]
	v_lshlrev_b32_e32 v30, 4, v24
	v_lshl_add_u64 v[6:7], s[30:31], 0, v[0:1]
	s_lshl_b64 s[16:17], s[34:35], 7
	v_mov_b64_e32 v[8:9], 0
	s_mov_b64 s[22:23], 0x80
	v_mov_b64_e32 v[10:11], 0
	v_mov_b64_e32 v[14:15], 0
	;; [unrolled: 1-line block ×7, first 2 shown]
	s_branch .LBB413_8
.LBB413_7:                              ;   in Loop: Header=BB413_8 Depth=1
	s_or_b64 exec, exec, s[6:7]
	ds_write_b128 v29, v[0:3]
	s_waitcnt lgkmcnt(0)
	s_barrier
	ds_read_b128 v[0:3], v30
	ds_read_b128 v[32:35], v31
	ds_read_b128 v[36:39], v31 offset:16
	ds_read_b128 v[40:43], v31 offset:32
	;; [unrolled: 1-line block ×4, first 2 shown]
	s_waitcnt lgkmcnt(4)
	v_mul_f64 v[52:53], v[34:35], v[2:3]
	v_fma_f64 v[52:53], v[32:33], v[0:1], -v[52:53]
	v_mul_f64 v[54:55], v[32:33], v[2:3]
	v_fmac_f64_e32 v[54:55], v[34:35], v[0:1]
	v_add_f64 v[52:53], v[20:21], v[52:53]
	s_waitcnt lgkmcnt(0)
	v_mul_f64 v[20:21], v[34:35], v[50:51]
	v_add_f64 v[54:55], v[54:55], v[22:23]
	v_fma_f64 v[56:57], v[32:33], v[48:49], -v[20:21]
	ds_read_b128 v[20:23], v31 offset:2048
	v_mul_f64 v[32:33], v[32:33], v[50:51]
	v_fmac_f64_e32 v[32:33], v[34:35], v[48:49]
	v_add_f64 v[34:35], v[16:17], v[56:57]
	v_add_f64 v[32:33], v[32:33], v[18:19]
	ds_read_b128 v[16:19], v31 offset:2064
	s_waitcnt lgkmcnt(1)
	v_mul_f64 v[56:57], v[22:23], v[2:3]
	v_mul_f64 v[2:3], v[20:21], v[2:3]
	v_fma_f64 v[56:57], v[20:21], v[0:1], -v[56:57]
	v_fmac_f64_e32 v[2:3], v[22:23], v[0:1]
	v_mul_f64 v[0:1], v[22:23], v[50:51]
	v_add_f64 v[12:13], v[12:13], v[56:57]
	v_add_f64 v[14:15], v[2:3], v[14:15]
	v_fma_f64 v[56:57], v[20:21], v[48:49], -v[0:1]
	v_mul_f64 v[20:21], v[20:21], v[50:51]
	ds_read_b128 v[0:3], v30 offset:512
	v_fmac_f64_e32 v[20:21], v[22:23], v[48:49]
	v_add_f64 v[22:23], v[10:11], v[56:57]
	v_add_f64 v[20:21], v[20:21], v[8:9]
	ds_read_b128 v[8:11], v30 offset:768
	s_waitcnt lgkmcnt(1)
	v_mul_f64 v[48:49], v[38:39], v[2:3]
	v_fma_f64 v[48:49], v[36:37], v[0:1], -v[48:49]
	v_add_f64 v[48:49], v[52:53], v[48:49]
	v_mul_f64 v[50:51], v[36:37], v[2:3]
	s_waitcnt lgkmcnt(0)
	v_mul_f64 v[52:53], v[38:39], v[10:11]
	v_fma_f64 v[52:53], v[36:37], v[8:9], -v[52:53]
	v_mul_f64 v[36:37], v[36:37], v[10:11]
	v_fmac_f64_e32 v[36:37], v[38:39], v[8:9]
	v_add_f64 v[32:33], v[36:37], v[32:33]
	v_mul_f64 v[36:37], v[18:19], v[2:3]
	v_mul_f64 v[2:3], v[16:17], v[2:3]
	v_fmac_f64_e32 v[50:51], v[38:39], v[0:1]
	v_fma_f64 v[36:37], v[16:17], v[0:1], -v[36:37]
	v_fmac_f64_e32 v[2:3], v[18:19], v[0:1]
	v_mul_f64 v[0:1], v[18:19], v[10:11]
	v_add_f64 v[36:37], v[12:13], v[36:37]
	v_add_f64 v[38:39], v[2:3], v[14:15]
	v_fma_f64 v[12:13], v[16:17], v[8:9], -v[0:1]
	v_mul_f64 v[10:11], v[16:17], v[10:11]
	ds_read_b128 v[0:3], v30 offset:1024
	v_fmac_f64_e32 v[10:11], v[18:19], v[8:9]
	v_add_f64 v[20:21], v[10:11], v[20:21]
	ds_read_b128 v[8:11], v30 offset:1280
	v_add_f64 v[22:23], v[22:23], v[12:13]
	s_waitcnt lgkmcnt(1)
	v_mul_f64 v[12:13], v[42:43], v[2:3]
	v_fma_f64 v[12:13], v[40:41], v[0:1], -v[12:13]
	v_mul_f64 v[14:15], v[40:41], v[2:3]
	v_add_f64 v[50:51], v[50:51], v[54:55]
	v_fmac_f64_e32 v[14:15], v[42:43], v[0:1]
	v_add_f64 v[48:49], v[48:49], v[12:13]
	s_waitcnt lgkmcnt(0)
	v_mul_f64 v[12:13], v[42:43], v[10:11]
	v_add_f64 v[50:51], v[14:15], v[50:51]
	v_fma_f64 v[16:17], v[40:41], v[8:9], -v[12:13]
	ds_read_b128 v[12:15], v31 offset:2080
	v_mul_f64 v[18:19], v[40:41], v[10:11]
	v_add_f64 v[34:35], v[34:35], v[52:53]
	v_fmac_f64_e32 v[18:19], v[42:43], v[8:9]
	v_add_f64 v[34:35], v[34:35], v[16:17]
	v_add_f64 v[32:33], v[18:19], v[32:33]
	ds_read_b128 v[16:19], v31 offset:2096
	s_waitcnt lgkmcnt(1)
	v_mul_f64 v[40:41], v[14:15], v[2:3]
	v_mul_f64 v[2:3], v[12:13], v[2:3]
	v_fma_f64 v[40:41], v[12:13], v[0:1], -v[40:41]
	v_fmac_f64_e32 v[2:3], v[14:15], v[0:1]
	v_mul_f64 v[0:1], v[14:15], v[10:11]
	v_mul_f64 v[10:11], v[12:13], v[10:11]
	v_fmac_f64_e32 v[10:11], v[14:15], v[8:9]
	v_add_f64 v[36:37], v[36:37], v[40:41]
	v_add_f64 v[38:39], v[2:3], v[38:39]
	v_fma_f64 v[40:41], v[12:13], v[8:9], -v[0:1]
	ds_read_b128 v[0:3], v30 offset:1536
	v_add_f64 v[14:15], v[10:11], v[20:21]
	ds_read_b128 v[8:11], v30 offset:1792
	v_add_f64 v[12:13], v[22:23], v[40:41]
	s_add_i32 s5, s5, 8
	s_waitcnt lgkmcnt(1)
	v_mul_f64 v[20:21], v[46:47], v[2:3]
	v_mul_f64 v[22:23], v[44:45], v[2:3]
	s_waitcnt lgkmcnt(0)
	v_mul_f64 v[40:41], v[46:47], v[10:11]
	v_fma_f64 v[40:41], v[44:45], v[8:9], -v[40:41]
	v_add_f64 v[34:35], v[34:35], v[40:41]
	v_mul_f64 v[40:41], v[18:19], v[2:3]
	v_mul_f64 v[2:3], v[16:17], v[2:3]
	v_fma_f64 v[20:21], v[44:45], v[0:1], -v[20:21]
	v_fmac_f64_e32 v[22:23], v[46:47], v[0:1]
	v_fma_f64 v[40:41], v[16:17], v[0:1], -v[40:41]
	v_fmac_f64_e32 v[2:3], v[18:19], v[0:1]
	v_mul_f64 v[0:1], v[18:19], v[10:11]
	v_mul_f64 v[42:43], v[44:45], v[10:11]
	v_add_f64 v[36:37], v[36:37], v[40:41]
	v_fma_f64 v[40:41], v[16:17], v[8:9], -v[0:1]
	v_mul_f64 v[16:17], v[16:17], v[10:11]
	v_fmac_f64_e32 v[42:43], v[46:47], v[8:9]
	v_add_f64 v[38:39], v[2:3], v[38:39]
	v_fmac_f64_e32 v[16:17], v[18:19], v[8:9]
	ds_read_b128 v[0:3], v31 offset:64
	ds_read_b128 v[8:11], v30 offset:2048
	v_add_f64 v[32:33], v[42:43], v[32:33]
	v_add_f64 v[40:41], v[12:13], v[40:41]
	;; [unrolled: 1-line block ×3, first 2 shown]
	ds_read_b128 v[12:15], v30 offset:2304
	ds_read_b128 v[16:19], v31 offset:80
	s_waitcnt lgkmcnt(2)
	v_mul_f64 v[44:45], v[2:3], v[10:11]
	v_add_f64 v[20:21], v[48:49], v[20:21]
	v_fma_f64 v[44:45], v[0:1], v[8:9], -v[44:45]
	v_mul_f64 v[46:47], v[0:1], v[10:11]
	v_add_f64 v[22:23], v[22:23], v[50:51]
	v_fmac_f64_e32 v[46:47], v[2:3], v[8:9]
	v_add_f64 v[44:45], v[20:21], v[44:45]
	s_waitcnt lgkmcnt(1)
	v_mul_f64 v[20:21], v[2:3], v[14:15]
	v_add_f64 v[46:47], v[46:47], v[22:23]
	v_fma_f64 v[48:49], v[0:1], v[12:13], -v[20:21]
	ds_read_b128 v[20:23], v31 offset:2112
	v_mul_f64 v[0:1], v[0:1], v[14:15]
	v_fmac_f64_e32 v[0:1], v[2:3], v[12:13]
	v_add_f64 v[34:35], v[34:35], v[48:49]
	v_add_f64 v[32:33], v[0:1], v[32:33]
	ds_read_b128 v[0:3], v31 offset:2128
	s_waitcnt lgkmcnt(1)
	v_mul_f64 v[48:49], v[22:23], v[10:11]
	v_mul_f64 v[10:11], v[20:21], v[10:11]
	v_fma_f64 v[48:49], v[20:21], v[8:9], -v[48:49]
	v_fmac_f64_e32 v[10:11], v[22:23], v[8:9]
	v_mul_f64 v[8:9], v[22:23], v[14:15]
	v_add_f64 v[36:37], v[36:37], v[48:49]
	v_add_f64 v[38:39], v[10:11], v[38:39]
	v_fma_f64 v[48:49], v[20:21], v[12:13], -v[8:9]
	v_mul_f64 v[14:15], v[20:21], v[14:15]
	ds_read_b128 v[8:11], v30 offset:2560
	v_fmac_f64_e32 v[14:15], v[22:23], v[12:13]
	v_add_f64 v[22:23], v[14:15], v[42:43]
	ds_read_b128 v[12:15], v30 offset:2816
	v_add_f64 v[20:21], v[40:41], v[48:49]
	s_waitcnt lgkmcnt(1)
	v_mul_f64 v[40:41], v[18:19], v[10:11]
	v_fma_f64 v[40:41], v[16:17], v[8:9], -v[40:41]
	v_add_f64 v[40:41], v[44:45], v[40:41]
	s_waitcnt lgkmcnt(0)
	v_mul_f64 v[44:45], v[18:19], v[14:15]
	v_mul_f64 v[42:43], v[16:17], v[10:11]
	v_fma_f64 v[44:45], v[16:17], v[12:13], -v[44:45]
	v_mul_f64 v[16:17], v[16:17], v[14:15]
	v_fmac_f64_e32 v[16:17], v[18:19], v[12:13]
	v_add_f64 v[32:33], v[16:17], v[32:33]
	v_mul_f64 v[16:17], v[2:3], v[10:11]
	v_mul_f64 v[10:11], v[0:1], v[10:11]
	v_fmac_f64_e32 v[42:43], v[18:19], v[8:9]
	v_fma_f64 v[16:17], v[0:1], v[8:9], -v[16:17]
	v_fmac_f64_e32 v[10:11], v[2:3], v[8:9]
	v_mul_f64 v[8:9], v[2:3], v[14:15]
	v_mul_f64 v[14:15], v[0:1], v[14:15]
	v_add_f64 v[36:37], v[36:37], v[16:17]
	v_add_f64 v[38:39], v[10:11], v[38:39]
	v_fma_f64 v[16:17], v[0:1], v[12:13], -v[8:9]
	v_fmac_f64_e32 v[14:15], v[2:3], v[12:13]
	ds_read_b128 v[0:3], v31 offset:96
	ds_read_b128 v[8:11], v30 offset:3072
	v_add_f64 v[42:43], v[42:43], v[46:47]
	v_add_f64 v[34:35], v[34:35], v[44:45]
	;; [unrolled: 1-line block ×4, first 2 shown]
	ds_read_b128 v[12:15], v30 offset:3328
	ds_read_b128 v[16:19], v31 offset:112
	s_waitcnt lgkmcnt(2)
	v_mul_f64 v[20:21], v[2:3], v[10:11]
	v_fma_f64 v[20:21], v[0:1], v[8:9], -v[20:21]
	v_mul_f64 v[22:23], v[0:1], v[10:11]
	v_fmac_f64_e32 v[22:23], v[2:3], v[8:9]
	v_add_f64 v[40:41], v[40:41], v[20:21]
	s_waitcnt lgkmcnt(1)
	v_mul_f64 v[20:21], v[2:3], v[14:15]
	v_add_f64 v[42:43], v[22:23], v[42:43]
	v_fma_f64 v[48:49], v[0:1], v[12:13], -v[20:21]
	ds_read_b128 v[20:23], v31 offset:2144
	v_mul_f64 v[0:1], v[0:1], v[14:15]
	v_fmac_f64_e32 v[0:1], v[2:3], v[12:13]
	v_add_f64 v[50:51], v[0:1], v[32:33]
	ds_read_b128 v[0:3], v31 offset:2160
	s_waitcnt lgkmcnt(1)
	v_mul_f64 v[32:33], v[22:23], v[10:11]
	v_mul_f64 v[10:11], v[20:21], v[10:11]
	v_fma_f64 v[32:33], v[20:21], v[8:9], -v[32:33]
	v_fmac_f64_e32 v[10:11], v[22:23], v[8:9]
	v_mul_f64 v[8:9], v[22:23], v[14:15]
	v_add_f64 v[36:37], v[36:37], v[32:33]
	v_add_f64 v[38:39], v[10:11], v[38:39]
	v_fma_f64 v[32:33], v[20:21], v[12:13], -v[8:9]
	ds_read_b128 v[8:11], v30 offset:3584
	v_add_f64 v[48:49], v[34:35], v[48:49]
	v_add_f64 v[44:45], v[44:45], v[32:33]
	ds_read_b128 v[32:35], v30 offset:3840
	v_mul_f64 v[14:15], v[20:21], v[14:15]
	v_fmac_f64_e32 v[14:15], v[22:23], v[12:13]
	s_waitcnt lgkmcnt(1)
	v_mul_f64 v[12:13], v[18:19], v[10:11]
	v_fma_f64 v[12:13], v[16:17], v[8:9], -v[12:13]
	v_add_f64 v[46:47], v[14:15], v[46:47]
	v_mul_f64 v[14:15], v[16:17], v[10:11]
	v_add_f64 v[20:21], v[40:41], v[12:13]
	s_waitcnt lgkmcnt(0)
	v_mul_f64 v[12:13], v[18:19], v[34:35]
	v_fmac_f64_e32 v[14:15], v[18:19], v[8:9]
	v_fma_f64 v[12:13], v[16:17], v[32:33], -v[12:13]
	v_add_f64 v[22:23], v[14:15], v[42:43]
	v_mul_f64 v[14:15], v[16:17], v[34:35]
	v_add_f64 v[16:17], v[48:49], v[12:13]
	v_mul_f64 v[12:13], v[2:3], v[10:11]
	v_mul_f64 v[10:11], v[0:1], v[10:11]
	v_fma_f64 v[12:13], v[0:1], v[8:9], -v[12:13]
	v_fmac_f64_e32 v[10:11], v[2:3], v[8:9]
	v_mul_f64 v[8:9], v[2:3], v[34:35]
	v_fma_f64 v[8:9], v[0:1], v[32:33], -v[8:9]
	v_mul_f64 v[0:1], v[0:1], v[34:35]
	v_fmac_f64_e32 v[14:15], v[18:19], v[32:33]
	v_fmac_f64_e32 v[0:1], v[2:3], v[32:33]
	v_add_f64 v[18:19], v[14:15], v[50:51]
	v_add_f64 v[12:13], v[36:37], v[12:13]
	;; [unrolled: 1-line block ×5, first 2 shown]
	v_lshl_add_u64 v[4:5], v[4:5], 0, s[22:23]
	s_cmp_lt_i32 s5, s25
	v_lshl_add_u64 v[6:7], v[6:7], 0, s[16:17]
	s_barrier
	s_cbranch_scc0 .LBB413_12
.LBB413_8:                              ; =>This Inner Loop Header: Depth=1
	v_add_u32_e32 v0, s5, v27
	v_cmp_gt_i32_e64 s[6:7], s25, v0
	s_and_b64 s[28:29], vcc, s[6:7]
	v_mov_b64_e32 v[0:1], 0
	v_mov_b64_e32 v[2:3], 0
	s_and_saveexec_b64 s[6:7], s[28:29]
	s_cbranch_execz .LBB413_10
; %bb.9:                                ;   in Loop: Header=BB413_8 Depth=1
	flat_load_dwordx4 v[0:3], v[4:5]
	s_waitcnt vmcnt(0) lgkmcnt(0)
	v_xor_b32_e32 v3, 0x80000000, v3
.LBB413_10:                             ;   in Loop: Header=BB413_8 Depth=1
	s_or_b64 exec, exec, s[6:7]
	ds_write_b128 v28, v[0:3]
	v_add_u32_e32 v0, s5, v26
	v_cmp_gt_i32_e64 s[6:7], s25, v0
	s_and_b64 s[28:29], s[6:7], s[2:3]
	v_mov_b64_e32 v[0:1], 0
	v_mov_b64_e32 v[2:3], 0
	s_and_saveexec_b64 s[6:7], s[28:29]
	s_cbranch_execz .LBB413_7
; %bb.11:                               ;   in Loop: Header=BB413_8 Depth=1
	flat_load_dwordx4 v[0:3], v[6:7]
	s_waitcnt vmcnt(0) lgkmcnt(0)
	v_xor_b32_e32 v3, 0x80000000, v3
	s_branch .LBB413_7
.LBB413_12:
	s_load_dwordx2 s[2:3], s[0:1], 0x58
	s_load_dword s22, s[0:1], 0x50
	v_add_u32_e32 v4, s4, v24
	v_add_u32_e32 v26, s26, v25
	v_cmp_neq_f64_e64 s[0:1], s[8:9], 0
	s_waitcnt lgkmcnt(0)
	s_lshl_b64 s[2:3], s[2:3], 4
	s_add_u32 s6, s20, s2
	s_addc_u32 s7, s21, s3
	s_xor_b64 s[4:5], s[18:19], -1
	v_mad_i64_i32 v[0:1], s[2:3], v26, s22, 0
	s_or_b64 s[0:1], s[0:1], s[4:5]
	v_lshl_add_u64 v[24:25], v[0:1], 4, s[6:7]
	v_cmp_le_i32_e32 vcc, v26, v4
	v_cmp_gt_i32_e64 s[2:3], s24, v4
	v_cndmask_b32_e64 v0, 0, 1, s[0:1]
	s_and_b64 s[16:17], vcc, s[2:3]
	v_ashrrev_i32_e32 v5, 31, v4
	v_cmp_ne_u32_e64 s[0:1], 1, v0
	s_and_saveexec_b64 s[4:5], s[16:17]
	s_cbranch_execz .LBB413_16
; %bb.13:
	v_mul_f64 v[0:1], s[14:15], v[22:23]
	v_mul_f64 v[2:3], s[12:13], v[22:23]
	v_fma_f64 v[0:1], s[12:13], v[20:21], -v[0:1]
	v_fmac_f64_e32 v[2:3], s[14:15], v[20:21]
	s_and_b64 vcc, exec, s[0:1]
	v_lshl_add_u64 v[6:7], v[4:5], 4, v[24:25]
	s_cbranch_vccnz .LBB413_15
; %bb.14:
	flat_load_dwordx4 v[20:23], v[6:7]
	s_waitcnt vmcnt(0) lgkmcnt(0)
	v_mul_f64 v[28:29], s[10:11], v[22:23]
	v_mul_f64 v[22:23], s[8:9], v[22:23]
	v_fma_f64 v[28:29], s[8:9], v[20:21], -v[28:29]
	v_fmac_f64_e32 v[22:23], s[10:11], v[20:21]
	v_add_f64 v[0:1], v[0:1], v[28:29]
	v_add_f64 v[2:3], v[2:3], v[22:23]
.LBB413_15:
	flat_store_dwordx4 v[6:7], v[0:3]
.LBB413_16:
	s_or_b64 exec, exec, s[4:5]
	v_add_u32_e32 v6, 16, v4
	v_cmp_le_i32_e32 vcc, v26, v6
	v_cmp_gt_i32_e64 s[4:5], s24, v6
	s_and_b64 s[18:19], vcc, s[4:5]
	v_ashrrev_i32_e32 v7, 31, v6
	s_and_saveexec_b64 s[16:17], s[18:19]
	s_cbranch_execz .LBB413_20
; %bb.17:
	v_mul_f64 v[0:1], s[14:15], v[18:19]
	v_mul_f64 v[2:3], s[12:13], v[18:19]
	v_fma_f64 v[0:1], s[12:13], v[16:17], -v[0:1]
	v_fmac_f64_e32 v[2:3], s[14:15], v[16:17]
	s_and_b64 vcc, exec, s[0:1]
	v_lshl_add_u64 v[16:17], v[6:7], 4, v[24:25]
	s_cbranch_vccnz .LBB413_19
; %bb.18:
	flat_load_dwordx4 v[18:21], v[16:17]
	s_waitcnt vmcnt(0) lgkmcnt(0)
	v_mul_f64 v[22:23], s[10:11], v[20:21]
	v_mul_f64 v[20:21], s[8:9], v[20:21]
	v_fma_f64 v[22:23], s[8:9], v[18:19], -v[22:23]
	v_fmac_f64_e32 v[20:21], s[10:11], v[18:19]
	v_add_f64 v[0:1], v[0:1], v[22:23]
	v_add_f64 v[2:3], v[2:3], v[20:21]
.LBB413_19:
	flat_store_dwordx4 v[16:17], v[0:3]
.LBB413_20:
	s_or_b64 exec, exec, s[16:17]
	v_add_u32_e32 v18, 16, v26
	v_mad_i64_i32 v[0:1], s[16:17], v18, s22, 0
	v_cmp_le_i32_e32 vcc, v18, v4
	v_lshl_add_u64 v[16:17], v[0:1], 4, s[6:7]
	s_and_b64 s[6:7], vcc, s[2:3]
	s_and_saveexec_b64 s[2:3], s[6:7]
	s_cbranch_execz .LBB413_24
; %bb.21:
	v_mul_f64 v[0:1], s[14:15], v[14:15]
	v_mul_f64 v[2:3], s[12:13], v[14:15]
	v_fma_f64 v[0:1], s[12:13], v[12:13], -v[0:1]
	v_fmac_f64_e32 v[2:3], s[14:15], v[12:13]
	s_and_b64 vcc, exec, s[0:1]
	v_lshl_add_u64 v[4:5], v[4:5], 4, v[16:17]
	s_cbranch_vccnz .LBB413_23
; %bb.22:
	flat_load_dwordx4 v[12:15], v[4:5]
	s_waitcnt vmcnt(0) lgkmcnt(0)
	v_mul_f64 v[20:21], s[10:11], v[14:15]
	v_mul_f64 v[14:15], s[8:9], v[14:15]
	v_fma_f64 v[20:21], s[8:9], v[12:13], -v[20:21]
	v_fmac_f64_e32 v[14:15], s[10:11], v[12:13]
	v_add_f64 v[0:1], v[0:1], v[20:21]
	v_add_f64 v[2:3], v[2:3], v[14:15]
.LBB413_23:
	flat_store_dwordx4 v[4:5], v[0:3]
.LBB413_24:
	s_or_b64 exec, exec, s[2:3]
	v_cmp_le_i32_e32 vcc, v18, v6
	s_and_b64 s[2:3], vcc, s[4:5]
	s_and_saveexec_b64 s[4:5], s[2:3]
	s_cbranch_execz .LBB413_28
; %bb.25:
	v_mul_f64 v[0:1], s[14:15], v[8:9]
	v_mul_f64 v[2:3], s[12:13], v[8:9]
	v_fma_f64 v[0:1], s[12:13], v[10:11], -v[0:1]
	v_fmac_f64_e32 v[2:3], s[14:15], v[10:11]
	s_and_b64 vcc, exec, s[0:1]
	v_lshl_add_u64 v[4:5], v[6:7], 4, v[16:17]
	s_cbranch_vccnz .LBB413_27
; %bb.26:
	flat_load_dwordx4 v[6:9], v[4:5]
	s_waitcnt vmcnt(0) lgkmcnt(0)
	v_mul_f64 v[10:11], s[10:11], v[8:9]
	v_mul_f64 v[8:9], s[8:9], v[8:9]
	v_fma_f64 v[10:11], s[8:9], v[6:7], -v[10:11]
	v_fmac_f64_e32 v[8:9], s[10:11], v[6:7]
	v_add_f64 v[0:1], v[0:1], v[10:11]
	v_add_f64 v[2:3], v[2:3], v[8:9]
.LBB413_27:
	flat_store_dwordx4 v[4:5], v[0:3]
.LBB413_28:
	s_endpgm
	.section	.rodata,"a",@progbits
	.p2align	6, 0x0
	.amdhsa_kernel _ZL29rocblas_internal_gemmt_kernelIiLi16ELi32ELi8ELc67ELc67ELc76ELb1ELb1E19rocblas_complex_numIdEPKS1_PKS3_PKPS1_EviT_T9_T10_S9_lSB_S9_lSA_T11_S9_li
		.amdhsa_group_segment_fixed_size 8192
		.amdhsa_private_segment_fixed_size 0
		.amdhsa_kernarg_size 100
		.amdhsa_user_sgpr_count 2
		.amdhsa_user_sgpr_dispatch_ptr 0
		.amdhsa_user_sgpr_queue_ptr 0
		.amdhsa_user_sgpr_kernarg_segment_ptr 1
		.amdhsa_user_sgpr_dispatch_id 0
		.amdhsa_user_sgpr_kernarg_preload_length 0
		.amdhsa_user_sgpr_kernarg_preload_offset 0
		.amdhsa_user_sgpr_private_segment_size 0
		.amdhsa_uses_dynamic_stack 0
		.amdhsa_enable_private_segment 0
		.amdhsa_system_sgpr_workgroup_id_x 1
		.amdhsa_system_sgpr_workgroup_id_y 1
		.amdhsa_system_sgpr_workgroup_id_z 1
		.amdhsa_system_sgpr_workgroup_info 0
		.amdhsa_system_vgpr_workitem_id 1
		.amdhsa_next_free_vgpr 58
		.amdhsa_next_free_sgpr 36
		.amdhsa_accum_offset 60
		.amdhsa_reserve_vcc 1
		.amdhsa_float_round_mode_32 0
		.amdhsa_float_round_mode_16_64 0
		.amdhsa_float_denorm_mode_32 3
		.amdhsa_float_denorm_mode_16_64 3
		.amdhsa_dx10_clamp 1
		.amdhsa_ieee_mode 1
		.amdhsa_fp16_overflow 0
		.amdhsa_tg_split 0
		.amdhsa_exception_fp_ieee_invalid_op 0
		.amdhsa_exception_fp_denorm_src 0
		.amdhsa_exception_fp_ieee_div_zero 0
		.amdhsa_exception_fp_ieee_overflow 0
		.amdhsa_exception_fp_ieee_underflow 0
		.amdhsa_exception_fp_ieee_inexact 0
		.amdhsa_exception_int_div_zero 0
	.end_amdhsa_kernel
	.section	.text._ZL29rocblas_internal_gemmt_kernelIiLi16ELi32ELi8ELc67ELc67ELc76ELb1ELb1E19rocblas_complex_numIdEPKS1_PKS3_PKPS1_EviT_T9_T10_S9_lSB_S9_lSA_T11_S9_li,"axG",@progbits,_ZL29rocblas_internal_gemmt_kernelIiLi16ELi32ELi8ELc67ELc67ELc76ELb1ELb1E19rocblas_complex_numIdEPKS1_PKS3_PKPS1_EviT_T9_T10_S9_lSB_S9_lSA_T11_S9_li,comdat
.Lfunc_end413:
	.size	_ZL29rocblas_internal_gemmt_kernelIiLi16ELi32ELi8ELc67ELc67ELc76ELb1ELb1E19rocblas_complex_numIdEPKS1_PKS3_PKPS1_EviT_T9_T10_S9_lSB_S9_lSA_T11_S9_li, .Lfunc_end413-_ZL29rocblas_internal_gemmt_kernelIiLi16ELi32ELi8ELc67ELc67ELc76ELb1ELb1E19rocblas_complex_numIdEPKS1_PKS3_PKPS1_EviT_T9_T10_S9_lSB_S9_lSA_T11_S9_li
                                        ; -- End function
	.set _ZL29rocblas_internal_gemmt_kernelIiLi16ELi32ELi8ELc67ELc67ELc76ELb1ELb1E19rocblas_complex_numIdEPKS1_PKS3_PKPS1_EviT_T9_T10_S9_lSB_S9_lSA_T11_S9_li.num_vgpr, 58
	.set _ZL29rocblas_internal_gemmt_kernelIiLi16ELi32ELi8ELc67ELc67ELc76ELb1ELb1E19rocblas_complex_numIdEPKS1_PKS3_PKPS1_EviT_T9_T10_S9_lSB_S9_lSA_T11_S9_li.num_agpr, 0
	.set _ZL29rocblas_internal_gemmt_kernelIiLi16ELi32ELi8ELc67ELc67ELc76ELb1ELb1E19rocblas_complex_numIdEPKS1_PKS3_PKPS1_EviT_T9_T10_S9_lSB_S9_lSA_T11_S9_li.numbered_sgpr, 36
	.set _ZL29rocblas_internal_gemmt_kernelIiLi16ELi32ELi8ELc67ELc67ELc76ELb1ELb1E19rocblas_complex_numIdEPKS1_PKS3_PKPS1_EviT_T9_T10_S9_lSB_S9_lSA_T11_S9_li.num_named_barrier, 0
	.set _ZL29rocblas_internal_gemmt_kernelIiLi16ELi32ELi8ELc67ELc67ELc76ELb1ELb1E19rocblas_complex_numIdEPKS1_PKS3_PKPS1_EviT_T9_T10_S9_lSB_S9_lSA_T11_S9_li.private_seg_size, 0
	.set _ZL29rocblas_internal_gemmt_kernelIiLi16ELi32ELi8ELc67ELc67ELc76ELb1ELb1E19rocblas_complex_numIdEPKS1_PKS3_PKPS1_EviT_T9_T10_S9_lSB_S9_lSA_T11_S9_li.uses_vcc, 1
	.set _ZL29rocblas_internal_gemmt_kernelIiLi16ELi32ELi8ELc67ELc67ELc76ELb1ELb1E19rocblas_complex_numIdEPKS1_PKS3_PKPS1_EviT_T9_T10_S9_lSB_S9_lSA_T11_S9_li.uses_flat_scratch, 0
	.set _ZL29rocblas_internal_gemmt_kernelIiLi16ELi32ELi8ELc67ELc67ELc76ELb1ELb1E19rocblas_complex_numIdEPKS1_PKS3_PKPS1_EviT_T9_T10_S9_lSB_S9_lSA_T11_S9_li.has_dyn_sized_stack, 0
	.set _ZL29rocblas_internal_gemmt_kernelIiLi16ELi32ELi8ELc67ELc67ELc76ELb1ELb1E19rocblas_complex_numIdEPKS1_PKS3_PKPS1_EviT_T9_T10_S9_lSB_S9_lSA_T11_S9_li.has_recursion, 0
	.set _ZL29rocblas_internal_gemmt_kernelIiLi16ELi32ELi8ELc67ELc67ELc76ELb1ELb1E19rocblas_complex_numIdEPKS1_PKS3_PKPS1_EviT_T9_T10_S9_lSB_S9_lSA_T11_S9_li.has_indirect_call, 0
	.section	.AMDGPU.csdata,"",@progbits
; Kernel info:
; codeLenInByte = 3124
; TotalNumSgprs: 42
; NumVgprs: 58
; NumAgprs: 0
; TotalNumVgprs: 58
; ScratchSize: 0
; MemoryBound: 1
; FloatMode: 240
; IeeeMode: 1
; LDSByteSize: 8192 bytes/workgroup (compile time only)
; SGPRBlocks: 5
; VGPRBlocks: 7
; NumSGPRsForWavesPerEU: 42
; NumVGPRsForWavesPerEU: 58
; AccumOffset: 60
; Occupancy: 8
; WaveLimiterHint : 1
; COMPUTE_PGM_RSRC2:SCRATCH_EN: 0
; COMPUTE_PGM_RSRC2:USER_SGPR: 2
; COMPUTE_PGM_RSRC2:TRAP_HANDLER: 0
; COMPUTE_PGM_RSRC2:TGID_X_EN: 1
; COMPUTE_PGM_RSRC2:TGID_Y_EN: 1
; COMPUTE_PGM_RSRC2:TGID_Z_EN: 1
; COMPUTE_PGM_RSRC2:TIDIG_COMP_CNT: 1
; COMPUTE_PGM_RSRC3_GFX90A:ACCUM_OFFSET: 14
; COMPUTE_PGM_RSRC3_GFX90A:TG_SPLIT: 0
	.section	.text._ZL29rocblas_internal_gemmt_kernelIiLi16ELi32ELi8ELc78ELc78ELc85ELb0ELb0E19rocblas_complex_numIdES1_PKPKS1_PKPS1_EviT_T9_T10_S9_lSB_S9_lSA_T11_S9_li,"axG",@progbits,_ZL29rocblas_internal_gemmt_kernelIiLi16ELi32ELi8ELc78ELc78ELc85ELb0ELb0E19rocblas_complex_numIdES1_PKPKS1_PKPS1_EviT_T9_T10_S9_lSB_S9_lSA_T11_S9_li,comdat
	.globl	_ZL29rocblas_internal_gemmt_kernelIiLi16ELi32ELi8ELc78ELc78ELc85ELb0ELb0E19rocblas_complex_numIdES1_PKPKS1_PKPS1_EviT_T9_T10_S9_lSB_S9_lSA_T11_S9_li ; -- Begin function _ZL29rocblas_internal_gemmt_kernelIiLi16ELi32ELi8ELc78ELc78ELc85ELb0ELb0E19rocblas_complex_numIdES1_PKPKS1_PKPS1_EviT_T9_T10_S9_lSB_S9_lSA_T11_S9_li
	.p2align	8
	.type	_ZL29rocblas_internal_gemmt_kernelIiLi16ELi32ELi8ELc78ELc78ELc85ELb0ELb0E19rocblas_complex_numIdES1_PKPKS1_PKPS1_EviT_T9_T10_S9_lSB_S9_lSA_T11_S9_li,@function
_ZL29rocblas_internal_gemmt_kernelIiLi16ELi32ELi8ELc78ELc78ELc85ELb0ELb0E19rocblas_complex_numIdES1_PKPKS1_PKPS1_EviT_T9_T10_S9_lSB_S9_lSA_T11_S9_li: ; @_ZL29rocblas_internal_gemmt_kernelIiLi16ELi32ELi8ELc78ELc78ELc85ELb0ELb0E19rocblas_complex_numIdES1_PKPKS1_PKPS1_EviT_T9_T10_S9_lSB_S9_lSA_T11_S9_li
; %bb.0:
	s_load_dwordx8 s[8:15], s[0:1], 0x40
	s_load_dwordx2 s[6:7], s[0:1], 0x0
	s_load_dwordx4 s[16:19], s[0:1], 0x8
	s_mov_b64 s[22:23], 0
	s_waitcnt lgkmcnt(0)
	v_cmp_eq_f64_e64 s[24:25], s[10:11], 1.0
	v_cmp_eq_f64_e64 s[20:21], s[12:13], 0
	s_and_b64 s[24:25], s[24:25], s[20:21]
	s_andn2_b64 vcc, exec, s[24:25]
	s_mov_b64 s[24:25], -1
	s_cbranch_vccnz .LBB414_4
; %bb.1:
	s_cmp_lg_u32 s7, 0
	s_cbranch_scc0 .LBB414_3
; %bb.2:
	v_cmp_neq_f64_e64 s[22:23], s[16:17], 0
	v_cmp_neq_f64_e64 s[24:25], s[18:19], 0
	s_or_b64 s[22:23], s[22:23], s[24:25]
.LBB414_3:
	s_mov_b64 s[24:25], s[22:23]
.LBB414_4:
	s_and_b64 vcc, exec, s[24:25]
	s_cbranch_vccz .LBB414_32
; %bb.5:
	s_mov_b32 s5, 0
	s_lshl_b64 s[22:23], s[4:5], 3
	s_add_u32 s14, s14, s22
	s_addc_u32 s15, s15, s23
	s_lshl_b32 s4, s2, 5
	s_lshl_b32 s28, s3, 5
	v_cmp_eq_f64_e64 s[2:3], s[16:17], 0
	v_cmp_eq_f64_e64 s[24:25], s[18:19], 0
	s_load_dwordx2 s[14:15], s[14:15], 0x0
	s_and_b64 s[2:3], s[2:3], s[24:25]
	s_cmp_lt_i32 s7, 1
	s_cselect_b64 s[24:25], -1, 0
	s_or_b64 s[2:3], s[2:3], s[24:25]
	v_and_b32_e32 v24, 0x3ff, v0
	v_bfe_u32 v25, v0, 10, 10
	v_mov_b64_e32 v[20:21], 0
	s_and_b64 vcc, exec, s[2:3]
	v_mov_b64_e32 v[22:23], 0
	v_mov_b64_e32 v[16:17], 0
	;; [unrolled: 1-line block ×7, first 2 shown]
	s_cbranch_vccnz .LBB414_16
; %bb.6:
	s_load_dwordx2 s[2:3], s[0:1], 0x18
	s_load_dword s30, s[0:1], 0x20
	s_load_dwordx4 s[24:27], s[0:1], 0x28
	s_load_dword s29, s[0:1], 0x38
	v_lshl_add_u32 v0, v25, 4, v24
	v_and_b32_e32 v4, 31, v0
	v_lshrrev_b32_e32 v27, 5, v0
	s_waitcnt lgkmcnt(0)
	s_ashr_i32 s31, s30, 31
	s_add_u32 s26, s26, s22
	s_addc_u32 s27, s27, s23
	s_add_u32 s2, s2, s22
	s_addc_u32 s3, s3, s23
	s_load_dwordx2 s[22:23], s[2:3], 0x0
	v_lshrrev_b32_e32 v1, 3, v0
	v_or_b32_e32 v0, s4, v4
	v_and_b32_e32 v26, 7, v24
	v_cmp_gt_i32_e32 vcc, s6, v0
	v_lshlrev_b32_e32 v0, 4, v4
	v_mad_i64_i32 v[2:3], s[34:35], v27, s30, 0
	s_lshl_b64 s[24:25], s[24:25], 4
	v_add_u32_e32 v4, s4, v4
	s_load_dwordx2 s[26:27], s[26:27], 0x0
	v_lshl_or_b32 v28, v27, 9, v0
	v_lshlrev_b32_e32 v0, 4, v26
	v_lshl_add_u64 v[2:3], v[2:3], 4, s[24:25]
	v_ashrrev_i32_e32 v5, 31, v4
	v_add_u32_e32 v6, s28, v1
	v_lshl_or_b32 v1, v1, 7, v0
	v_lshl_add_u64 v[2:3], v[4:5], 4, v[2:3]
	v_add_u32_e32 v29, 0x1000, v1
	v_mov_b32_e32 v1, 0x1000
	s_waitcnt lgkmcnt(0)
	v_lshl_add_u64 v[4:5], s[22:23], 0, v[2:3]
	v_mad_i64_i32 v[2:3], s[24:25], s29, v6, 0
	s_lshl_b64 s[8:9], s[8:9], 4
	v_lshl_add_u32 v31, v25, 7, v1
	v_lshl_add_u64 v[2:3], v[2:3], 4, s[8:9]
	v_mov_b32_e32 v1, 0
	v_cmp_gt_i32_e64 s[2:3], s6, v6
	v_lshl_add_u64 v[2:3], v[2:3], 0, v[0:1]
	v_lshlrev_b32_e32 v30, 4, v24
	s_lshl_b64 s[22:23], s[30:31], 7
	v_lshl_add_u64 v[6:7], s[26:27], 0, v[2:3]
	v_mov_b64_e32 v[8:9], 0
	s_xor_b64 s[8:9], vcc, -1
	s_xor_b64 s[2:3], s[2:3], -1
	s_mov_b64 s[24:25], 0x80
	v_mov_b32_e32 v0, v1
	v_mov_b32_e32 v2, v1
	;; [unrolled: 1-line block ×3, first 2 shown]
	v_mov_b64_e32 v[10:11], 0
	v_mov_b64_e32 v[14:15], 0
	;; [unrolled: 1-line block ×7, first 2 shown]
	s_branch .LBB414_8
.LBB414_7:                              ;   in Loop: Header=BB414_8 Depth=1
	s_or_b64 exec, exec, s[26:27]
	s_waitcnt lgkmcnt(0)
	s_barrier
	ds_read_b128 v[32:35], v30
	ds_read_b128 v[36:39], v31
	ds_read_b128 v[40:43], v31 offset:16
	ds_read_b128 v[44:47], v31 offset:32
	;; [unrolled: 1-line block ×4, first 2 shown]
	s_waitcnt lgkmcnt(4)
	v_mul_f64 v[56:57], v[38:39], v[34:35]
	v_fma_f64 v[56:57], v[36:37], v[32:33], -v[56:57]
	v_mul_f64 v[58:59], v[36:37], v[34:35]
	v_fmac_f64_e32 v[58:59], v[38:39], v[32:33]
	v_add_f64 v[56:57], v[20:21], v[56:57]
	s_waitcnt lgkmcnt(0)
	v_mul_f64 v[20:21], v[38:39], v[54:55]
	v_add_f64 v[58:59], v[58:59], v[22:23]
	v_fma_f64 v[60:61], v[36:37], v[52:53], -v[20:21]
	ds_read_b128 v[20:23], v31 offset:2048
	v_mul_f64 v[36:37], v[36:37], v[54:55]
	v_fmac_f64_e32 v[36:37], v[38:39], v[52:53]
	v_add_f64 v[38:39], v[16:17], v[60:61]
	v_add_f64 v[36:37], v[36:37], v[18:19]
	ds_read_b128 v[16:19], v31 offset:2064
	s_waitcnt lgkmcnt(1)
	v_mul_f64 v[60:61], v[22:23], v[34:35]
	v_fma_f64 v[60:61], v[20:21], v[32:33], -v[60:61]
	v_mul_f64 v[34:35], v[20:21], v[34:35]
	v_fmac_f64_e32 v[34:35], v[22:23], v[32:33]
	v_add_f64 v[32:33], v[12:13], v[60:61]
	v_mul_f64 v[12:13], v[22:23], v[54:55]
	v_add_f64 v[34:35], v[34:35], v[14:15]
	v_fma_f64 v[60:61], v[20:21], v[52:53], -v[12:13]
	v_mul_f64 v[20:21], v[20:21], v[54:55]
	ds_read_b128 v[12:15], v30 offset:512
	v_fmac_f64_e32 v[20:21], v[22:23], v[52:53]
	v_add_f64 v[22:23], v[10:11], v[60:61]
	v_add_f64 v[20:21], v[20:21], v[8:9]
	ds_read_b128 v[8:11], v30 offset:768
	s_waitcnt lgkmcnt(1)
	v_mul_f64 v[52:53], v[42:43], v[14:15]
	v_fma_f64 v[52:53], v[40:41], v[12:13], -v[52:53]
	v_add_f64 v[52:53], v[56:57], v[52:53]
	v_mul_f64 v[54:55], v[40:41], v[14:15]
	s_waitcnt lgkmcnt(0)
	v_mul_f64 v[56:57], v[42:43], v[10:11]
	v_fma_f64 v[56:57], v[40:41], v[8:9], -v[56:57]
	v_mul_f64 v[40:41], v[40:41], v[10:11]
	v_fmac_f64_e32 v[40:41], v[42:43], v[8:9]
	v_add_f64 v[36:37], v[40:41], v[36:37]
	v_mul_f64 v[40:41], v[18:19], v[14:15]
	v_mul_f64 v[14:15], v[16:17], v[14:15]
	v_fmac_f64_e32 v[54:55], v[42:43], v[12:13]
	v_fma_f64 v[40:41], v[16:17], v[12:13], -v[40:41]
	v_fmac_f64_e32 v[14:15], v[18:19], v[12:13]
	v_mul_f64 v[12:13], v[18:19], v[10:11]
	v_add_f64 v[42:43], v[14:15], v[34:35]
	v_fma_f64 v[14:15], v[16:17], v[8:9], -v[12:13]
	v_mul_f64 v[16:17], v[16:17], v[10:11]
	ds_read_b128 v[10:13], v30 offset:1024
	v_fmac_f64_e32 v[16:17], v[18:19], v[8:9]
	v_add_f64 v[38:39], v[38:39], v[56:57]
	v_add_f64 v[22:23], v[22:23], v[14:15]
	;; [unrolled: 1-line block ×3, first 2 shown]
	ds_read_b128 v[14:17], v30 offset:1280
	s_waitcnt lgkmcnt(1)
	v_mul_f64 v[18:19], v[44:45], v[12:13]
	v_add_f64 v[54:55], v[54:55], v[58:59]
	v_fmac_f64_e32 v[18:19], v[46:47], v[10:11]
	v_add_f64 v[54:55], v[18:19], v[54:55]
	ds_read_b128 v[18:21], v31 offset:2080
	v_mul_f64 v[8:9], v[46:47], v[12:13]
	v_fma_f64 v[8:9], v[44:45], v[10:11], -v[8:9]
	v_add_f64 v[40:41], v[32:33], v[40:41]
	v_add_f64 v[52:53], v[52:53], v[8:9]
	s_waitcnt lgkmcnt(1)
	v_mul_f64 v[8:9], v[46:47], v[16:17]
	v_mul_f64 v[32:33], v[44:45], v[16:17]
	v_fma_f64 v[8:9], v[44:45], v[14:15], -v[8:9]
	v_fmac_f64_e32 v[32:33], v[46:47], v[14:15]
	v_add_f64 v[38:39], v[38:39], v[8:9]
	v_add_f64 v[36:37], v[32:33], v[36:37]
	ds_read_b128 v[32:35], v31 offset:2096
	s_waitcnt lgkmcnt(1)
	v_mul_f64 v[8:9], v[20:21], v[12:13]
	v_fma_f64 v[8:9], v[18:19], v[10:11], -v[8:9]
	v_mul_f64 v[12:13], v[18:19], v[12:13]
	v_fmac_f64_e32 v[12:13], v[20:21], v[10:11]
	v_add_f64 v[40:41], v[40:41], v[8:9]
	v_mul_f64 v[8:9], v[20:21], v[16:17]
	v_add_f64 v[42:43], v[12:13], v[42:43]
	v_fma_f64 v[12:13], v[18:19], v[14:15], -v[8:9]
	ds_read_b128 v[8:11], v30 offset:1536
	v_mul_f64 v[16:17], v[18:19], v[16:17]
	v_fmac_f64_e32 v[16:17], v[20:21], v[14:15]
	v_add_f64 v[18:19], v[22:23], v[12:13]
	ds_read_b128 v[12:15], v30 offset:1792
	s_waitcnt lgkmcnt(1)
	v_mul_f64 v[20:21], v[50:51], v[10:11]
	v_fma_f64 v[20:21], v[48:49], v[8:9], -v[20:21]
	v_mul_f64 v[22:23], v[48:49], v[10:11]
	v_fmac_f64_e32 v[22:23], v[50:51], v[8:9]
	v_add_f64 v[44:45], v[52:53], v[20:21]
	s_waitcnt lgkmcnt(0)
	v_mul_f64 v[20:21], v[50:51], v[14:15]
	v_add_f64 v[46:47], v[22:23], v[54:55]
	v_fma_f64 v[20:21], v[48:49], v[12:13], -v[20:21]
	v_mul_f64 v[22:23], v[48:49], v[14:15]
	v_fmac_f64_e32 v[22:23], v[50:51], v[12:13]
	v_add_f64 v[38:39], v[38:39], v[20:21]
	v_mul_f64 v[20:21], v[34:35], v[10:11]
	v_mul_f64 v[10:11], v[32:33], v[10:11]
	v_add_f64 v[36:37], v[22:23], v[36:37]
	v_fma_f64 v[20:21], v[32:33], v[8:9], -v[20:21]
	v_fmac_f64_e32 v[10:11], v[34:35], v[8:9]
	v_mul_f64 v[8:9], v[34:35], v[14:15]
	v_mul_f64 v[22:23], v[32:33], v[14:15]
	v_add_f64 v[40:41], v[40:41], v[20:21]
	v_add_f64 v[42:43], v[10:11], v[42:43]
	v_fma_f64 v[20:21], v[32:33], v[12:13], -v[8:9]
	v_fmac_f64_e32 v[22:23], v[34:35], v[12:13]
	ds_read_b128 v[8:11], v31 offset:64
	ds_read_b128 v[12:15], v30 offset:2048
	v_add_f64 v[16:17], v[16:17], v[56:57]
	v_add_f64 v[48:49], v[18:19], v[20:21]
	v_add_f64 v[50:51], v[22:23], v[16:17]
	ds_read_b128 v[16:19], v30 offset:2304
	ds_read_b128 v[20:23], v31 offset:80
	s_waitcnt lgkmcnt(2)
	v_mul_f64 v[32:33], v[10:11], v[14:15]
	v_fma_f64 v[32:33], v[8:9], v[12:13], -v[32:33]
	v_mul_f64 v[34:35], v[8:9], v[14:15]
	v_fmac_f64_e32 v[34:35], v[10:11], v[12:13]
	v_add_f64 v[44:45], v[44:45], v[32:33]
	s_waitcnt lgkmcnt(1)
	v_mul_f64 v[32:33], v[10:11], v[18:19]
	v_add_f64 v[46:47], v[34:35], v[46:47]
	v_fma_f64 v[52:53], v[8:9], v[16:17], -v[32:33]
	ds_read_b128 v[32:35], v31 offset:2112
	v_mul_f64 v[8:9], v[8:9], v[18:19]
	v_fmac_f64_e32 v[8:9], v[10:11], v[16:17]
	v_add_f64 v[38:39], v[38:39], v[52:53]
	v_add_f64 v[36:37], v[8:9], v[36:37]
	ds_read_b128 v[8:11], v31 offset:2128
	s_waitcnt lgkmcnt(1)
	v_mul_f64 v[52:53], v[34:35], v[14:15]
	v_mul_f64 v[14:15], v[32:33], v[14:15]
	v_fma_f64 v[52:53], v[32:33], v[12:13], -v[52:53]
	v_fmac_f64_e32 v[14:15], v[34:35], v[12:13]
	v_mul_f64 v[12:13], v[34:35], v[18:19]
	v_add_f64 v[40:41], v[40:41], v[52:53]
	v_add_f64 v[42:43], v[14:15], v[42:43]
	v_fma_f64 v[52:53], v[32:33], v[16:17], -v[12:13]
	v_mul_f64 v[18:19], v[32:33], v[18:19]
	ds_read_b128 v[12:15], v30 offset:2560
	v_fmac_f64_e32 v[18:19], v[34:35], v[16:17]
	v_add_f64 v[34:35], v[18:19], v[50:51]
	ds_read_b128 v[16:19], v30 offset:2816
	v_add_f64 v[32:33], v[48:49], v[52:53]
	s_waitcnt lgkmcnt(1)
	v_mul_f64 v[48:49], v[22:23], v[14:15]
	v_fma_f64 v[48:49], v[20:21], v[12:13], -v[48:49]
	v_add_f64 v[44:45], v[44:45], v[48:49]
	s_waitcnt lgkmcnt(0)
	v_mul_f64 v[48:49], v[22:23], v[18:19]
	v_mul_f64 v[50:51], v[20:21], v[14:15]
	v_fma_f64 v[48:49], v[20:21], v[16:17], -v[48:49]
	v_mul_f64 v[20:21], v[20:21], v[18:19]
	v_fmac_f64_e32 v[20:21], v[22:23], v[16:17]
	v_add_f64 v[36:37], v[20:21], v[36:37]
	v_mul_f64 v[20:21], v[10:11], v[14:15]
	v_mul_f64 v[14:15], v[8:9], v[14:15]
	v_fmac_f64_e32 v[50:51], v[22:23], v[12:13]
	v_fma_f64 v[20:21], v[8:9], v[12:13], -v[20:21]
	v_fmac_f64_e32 v[14:15], v[10:11], v[12:13]
	v_mul_f64 v[12:13], v[10:11], v[18:19]
	v_mul_f64 v[18:19], v[8:9], v[18:19]
	v_add_f64 v[40:41], v[40:41], v[20:21]
	v_add_f64 v[42:43], v[14:15], v[42:43]
	v_fma_f64 v[20:21], v[8:9], v[16:17], -v[12:13]
	v_fmac_f64_e32 v[18:19], v[10:11], v[16:17]
	ds_read_b128 v[8:11], v31 offset:96
	ds_read_b128 v[12:15], v30 offset:3072
	v_add_f64 v[46:47], v[50:51], v[46:47]
	v_add_f64 v[38:39], v[38:39], v[48:49]
	;; [unrolled: 1-line block ×4, first 2 shown]
	ds_read_b128 v[16:19], v30 offset:3328
	ds_read_b128 v[32:35], v31 offset:112
	s_waitcnt lgkmcnt(2)
	v_mul_f64 v[20:21], v[10:11], v[14:15]
	v_fma_f64 v[20:21], v[8:9], v[12:13], -v[20:21]
	v_mul_f64 v[22:23], v[8:9], v[14:15]
	v_fmac_f64_e32 v[22:23], v[10:11], v[12:13]
	v_add_f64 v[44:45], v[44:45], v[20:21]
	s_waitcnt lgkmcnt(1)
	v_mul_f64 v[20:21], v[10:11], v[18:19]
	v_add_f64 v[46:47], v[22:23], v[46:47]
	v_fma_f64 v[52:53], v[8:9], v[16:17], -v[20:21]
	ds_read_b128 v[20:23], v31 offset:2144
	v_mul_f64 v[8:9], v[8:9], v[18:19]
	v_fmac_f64_e32 v[8:9], v[10:11], v[16:17]
	v_add_f64 v[54:55], v[8:9], v[36:37]
	ds_read_b128 v[8:11], v31 offset:2160
	s_waitcnt lgkmcnt(1)
	v_mul_f64 v[36:37], v[22:23], v[14:15]
	v_mul_f64 v[14:15], v[20:21], v[14:15]
	v_fma_f64 v[36:37], v[20:21], v[12:13], -v[36:37]
	v_fmac_f64_e32 v[14:15], v[22:23], v[12:13]
	v_mul_f64 v[12:13], v[22:23], v[18:19]
	v_add_f64 v[40:41], v[40:41], v[36:37]
	v_add_f64 v[42:43], v[14:15], v[42:43]
	v_fma_f64 v[36:37], v[20:21], v[16:17], -v[12:13]
	ds_read_b128 v[12:15], v30 offset:3584
	v_add_f64 v[52:53], v[38:39], v[52:53]
	v_add_f64 v[48:49], v[48:49], v[36:37]
	ds_read_b128 v[36:39], v30 offset:3840
	v_mul_f64 v[18:19], v[20:21], v[18:19]
	v_fmac_f64_e32 v[18:19], v[22:23], v[16:17]
	s_waitcnt lgkmcnt(1)
	v_mul_f64 v[16:17], v[34:35], v[14:15]
	v_add_f64 v[50:51], v[18:19], v[50:51]
	v_fma_f64 v[16:17], v[32:33], v[12:13], -v[16:17]
	v_mul_f64 v[18:19], v[32:33], v[14:15]
	v_fmac_f64_e32 v[18:19], v[34:35], v[12:13]
	v_add_f64 v[20:21], v[44:45], v[16:17]
	s_waitcnt lgkmcnt(0)
	v_mul_f64 v[16:17], v[34:35], v[38:39]
	v_add_f64 v[22:23], v[18:19], v[46:47]
	v_fma_f64 v[16:17], v[32:33], v[36:37], -v[16:17]
	v_mul_f64 v[18:19], v[32:33], v[38:39]
	v_mul_f64 v[32:33], v[10:11], v[14:15]
	v_fma_f64 v[32:33], v[8:9], v[12:13], -v[32:33]
	v_mul_f64 v[14:15], v[8:9], v[14:15]
	v_fmac_f64_e32 v[14:15], v[10:11], v[12:13]
	v_add_f64 v[12:13], v[40:41], v[32:33]
	v_mul_f64 v[32:33], v[10:11], v[38:39]
	v_fma_f64 v[32:33], v[8:9], v[36:37], -v[32:33]
	v_mul_f64 v[8:9], v[8:9], v[38:39]
	v_fmac_f64_e32 v[18:19], v[34:35], v[36:37]
	v_fmac_f64_e32 v[8:9], v[10:11], v[36:37]
	s_add_i32 s5, s5, 8
	v_add_f64 v[16:17], v[52:53], v[16:17]
	v_add_f64 v[18:19], v[18:19], v[54:55]
	;; [unrolled: 1-line block ×5, first 2 shown]
	v_lshl_add_u64 v[4:5], v[4:5], 0, s[22:23]
	s_cmp_lt_i32 s5, s7
	v_lshl_add_u64 v[6:7], v[6:7], 0, s[24:25]
	s_barrier
	s_cbranch_scc0 .LBB414_16
.LBB414_8:                              ; =>This Inner Loop Header: Depth=1
	v_add_u32_e32 v32, s5, v27
	v_cmp_le_i32_e32 vcc, s7, v32
	s_or_b64 s[26:27], s[8:9], vcc
	s_and_saveexec_b64 s[30:31], s[26:27]
	s_xor_b64 s[26:27], exec, s[30:31]
; %bb.9:                                ;   in Loop: Header=BB414_8 Depth=1
	ds_write_b128 v28, v[0:3]
; %bb.10:                               ;   in Loop: Header=BB414_8 Depth=1
	s_andn2_saveexec_b64 s[26:27], s[26:27]
	s_cbranch_execz .LBB414_12
; %bb.11:                               ;   in Loop: Header=BB414_8 Depth=1
	flat_load_dwordx4 v[32:35], v[4:5]
	s_waitcnt vmcnt(0) lgkmcnt(0)
	ds_write2_b64 v28, v[32:33], v[34:35] offset1:1
.LBB414_12:                             ;   in Loop: Header=BB414_8 Depth=1
	s_or_b64 exec, exec, s[26:27]
	v_add_u32_e32 v32, s5, v26
	v_cmp_le_i32_e32 vcc, s7, v32
	s_or_b64 s[26:27], vcc, s[2:3]
	s_and_saveexec_b64 s[30:31], s[26:27]
	s_xor_b64 s[26:27], exec, s[30:31]
; %bb.13:                               ;   in Loop: Header=BB414_8 Depth=1
	ds_write_b128 v29, v[0:3]
; %bb.14:                               ;   in Loop: Header=BB414_8 Depth=1
	s_andn2_saveexec_b64 s[26:27], s[26:27]
	s_cbranch_execz .LBB414_7
; %bb.15:                               ;   in Loop: Header=BB414_8 Depth=1
	flat_load_dwordx4 v[32:35], v[6:7]
	s_waitcnt vmcnt(0) lgkmcnt(0)
	ds_write2_b64 v29, v[32:33], v[34:35] offset1:1
	s_branch .LBB414_7
.LBB414_16:
	s_load_dwordx2 s[2:3], s[0:1], 0x68
	s_load_dword s7, s[0:1], 0x60
	v_add_u32_e32 v4, s4, v24
	v_add_u32_e32 v26, s28, v25
	v_cmp_neq_f64_e64 s[0:1], s[10:11], 0
	s_waitcnt lgkmcnt(0)
	s_lshl_b64 s[2:3], s[2:3], 4
	s_add_u32 s4, s14, s2
	s_addc_u32 s5, s15, s3
	s_xor_b64 s[8:9], s[20:21], -1
	v_mad_i64_i32 v[0:1], s[14:15], v26, s7, 0
	s_or_b64 s[0:1], s[0:1], s[8:9]
	v_cmp_gt_i32_e64 s[2:3], s6, v26
	v_lshl_add_u64 v[24:25], v[0:1], 4, s[4:5]
	v_cmp_le_i32_e32 vcc, v4, v26
	v_cndmask_b32_e64 v0, 0, 1, s[0:1]
	s_and_b64 s[14:15], s[2:3], vcc
	v_ashrrev_i32_e32 v5, 31, v4
	v_cmp_ne_u32_e64 s[0:1], 1, v0
	s_and_saveexec_b64 s[8:9], s[14:15]
	s_cbranch_execz .LBB414_20
; %bb.17:
	v_mul_f64 v[0:1], s[18:19], v[22:23]
	v_mul_f64 v[2:3], s[16:17], v[22:23]
	v_fma_f64 v[0:1], s[16:17], v[20:21], -v[0:1]
	v_fmac_f64_e32 v[2:3], s[18:19], v[20:21]
	s_and_b64 vcc, exec, s[0:1]
	v_lshl_add_u64 v[6:7], v[4:5], 4, v[24:25]
	s_cbranch_vccnz .LBB414_19
; %bb.18:
	flat_load_dwordx4 v[20:23], v[6:7]
	s_waitcnt vmcnt(0) lgkmcnt(0)
	v_mul_f64 v[28:29], s[12:13], v[22:23]
	v_mul_f64 v[22:23], s[10:11], v[22:23]
	v_fma_f64 v[28:29], s[10:11], v[20:21], -v[28:29]
	v_fmac_f64_e32 v[22:23], s[12:13], v[20:21]
	v_add_f64 v[0:1], v[0:1], v[28:29]
	v_add_f64 v[2:3], v[2:3], v[22:23]
.LBB414_19:
	flat_store_dwordx4 v[6:7], v[0:3]
.LBB414_20:
	s_or_b64 exec, exec, s[8:9]
	v_add_u32_e32 v6, 16, v4
	v_cmp_le_i32_e32 vcc, v6, v26
	s_and_b64 s[8:9], s[2:3], vcc
	v_ashrrev_i32_e32 v7, 31, v6
	s_and_saveexec_b64 s[2:3], s[8:9]
	s_cbranch_execz .LBB414_24
; %bb.21:
	v_mul_f64 v[0:1], s[18:19], v[18:19]
	v_mul_f64 v[2:3], s[16:17], v[18:19]
	v_fma_f64 v[0:1], s[16:17], v[16:17], -v[0:1]
	v_fmac_f64_e32 v[2:3], s[18:19], v[16:17]
	s_and_b64 vcc, exec, s[0:1]
	v_lshl_add_u64 v[16:17], v[6:7], 4, v[24:25]
	s_cbranch_vccnz .LBB414_23
; %bb.22:
	flat_load_dwordx4 v[18:21], v[16:17]
	s_waitcnt vmcnt(0) lgkmcnt(0)
	v_mul_f64 v[22:23], s[12:13], v[20:21]
	v_mul_f64 v[20:21], s[10:11], v[20:21]
	v_fma_f64 v[22:23], s[10:11], v[18:19], -v[22:23]
	v_fmac_f64_e32 v[20:21], s[12:13], v[18:19]
	v_add_f64 v[0:1], v[0:1], v[22:23]
	v_add_f64 v[2:3], v[2:3], v[20:21]
.LBB414_23:
	flat_store_dwordx4 v[16:17], v[0:3]
.LBB414_24:
	s_or_b64 exec, exec, s[2:3]
	v_add_u32_e32 v18, 16, v26
	v_cmp_gt_i32_e64 s[2:3], s6, v18
	v_mad_i64_i32 v[0:1], s[6:7], v18, s7, 0
	v_cmp_le_i32_e32 vcc, v4, v18
	v_lshl_add_u64 v[16:17], v[0:1], 4, s[4:5]
	s_and_b64 s[6:7], s[2:3], vcc
	s_and_saveexec_b64 s[4:5], s[6:7]
	s_cbranch_execz .LBB414_28
; %bb.25:
	v_mul_f64 v[0:1], s[18:19], v[14:15]
	v_mul_f64 v[2:3], s[16:17], v[14:15]
	v_fma_f64 v[0:1], s[16:17], v[12:13], -v[0:1]
	v_fmac_f64_e32 v[2:3], s[18:19], v[12:13]
	s_and_b64 vcc, exec, s[0:1]
	v_lshl_add_u64 v[4:5], v[4:5], 4, v[16:17]
	s_cbranch_vccnz .LBB414_27
; %bb.26:
	flat_load_dwordx4 v[12:15], v[4:5]
	s_waitcnt vmcnt(0) lgkmcnt(0)
	v_mul_f64 v[20:21], s[12:13], v[14:15]
	v_mul_f64 v[14:15], s[10:11], v[14:15]
	v_fma_f64 v[20:21], s[10:11], v[12:13], -v[20:21]
	v_fmac_f64_e32 v[14:15], s[12:13], v[12:13]
	v_add_f64 v[0:1], v[0:1], v[20:21]
	v_add_f64 v[2:3], v[2:3], v[14:15]
.LBB414_27:
	flat_store_dwordx4 v[4:5], v[0:3]
.LBB414_28:
	s_or_b64 exec, exec, s[4:5]
	v_cmp_le_i32_e32 vcc, v6, v18
	s_and_b64 s[2:3], s[2:3], vcc
	s_and_saveexec_b64 s[4:5], s[2:3]
	s_cbranch_execz .LBB414_32
; %bb.29:
	v_mul_f64 v[0:1], s[18:19], v[8:9]
	v_mul_f64 v[2:3], s[16:17], v[8:9]
	v_fma_f64 v[0:1], s[16:17], v[10:11], -v[0:1]
	v_fmac_f64_e32 v[2:3], s[18:19], v[10:11]
	s_and_b64 vcc, exec, s[0:1]
	v_lshl_add_u64 v[4:5], v[6:7], 4, v[16:17]
	s_cbranch_vccnz .LBB414_31
; %bb.30:
	flat_load_dwordx4 v[6:9], v[4:5]
	s_waitcnt vmcnt(0) lgkmcnt(0)
	v_mul_f64 v[10:11], s[12:13], v[8:9]
	v_mul_f64 v[8:9], s[10:11], v[8:9]
	v_fma_f64 v[10:11], s[10:11], v[6:7], -v[10:11]
	v_fmac_f64_e32 v[8:9], s[12:13], v[6:7]
	v_add_f64 v[0:1], v[0:1], v[10:11]
	v_add_f64 v[2:3], v[2:3], v[8:9]
.LBB414_31:
	flat_store_dwordx4 v[4:5], v[0:3]
.LBB414_32:
	s_endpgm
	.section	.rodata,"a",@progbits
	.p2align	6, 0x0
	.amdhsa_kernel _ZL29rocblas_internal_gemmt_kernelIiLi16ELi32ELi8ELc78ELc78ELc85ELb0ELb0E19rocblas_complex_numIdES1_PKPKS1_PKPS1_EviT_T9_T10_S9_lSB_S9_lSA_T11_S9_li
		.amdhsa_group_segment_fixed_size 8192
		.amdhsa_private_segment_fixed_size 0
		.amdhsa_kernarg_size 116
		.amdhsa_user_sgpr_count 2
		.amdhsa_user_sgpr_dispatch_ptr 0
		.amdhsa_user_sgpr_queue_ptr 0
		.amdhsa_user_sgpr_kernarg_segment_ptr 1
		.amdhsa_user_sgpr_dispatch_id 0
		.amdhsa_user_sgpr_kernarg_preload_length 0
		.amdhsa_user_sgpr_kernarg_preload_offset 0
		.amdhsa_user_sgpr_private_segment_size 0
		.amdhsa_uses_dynamic_stack 0
		.amdhsa_enable_private_segment 0
		.amdhsa_system_sgpr_workgroup_id_x 1
		.amdhsa_system_sgpr_workgroup_id_y 1
		.amdhsa_system_sgpr_workgroup_id_z 1
		.amdhsa_system_sgpr_workgroup_info 0
		.amdhsa_system_vgpr_workitem_id 1
		.amdhsa_next_free_vgpr 62
		.amdhsa_next_free_sgpr 36
		.amdhsa_accum_offset 64
		.amdhsa_reserve_vcc 1
		.amdhsa_float_round_mode_32 0
		.amdhsa_float_round_mode_16_64 0
		.amdhsa_float_denorm_mode_32 3
		.amdhsa_float_denorm_mode_16_64 3
		.amdhsa_dx10_clamp 1
		.amdhsa_ieee_mode 1
		.amdhsa_fp16_overflow 0
		.amdhsa_tg_split 0
		.amdhsa_exception_fp_ieee_invalid_op 0
		.amdhsa_exception_fp_denorm_src 0
		.amdhsa_exception_fp_ieee_div_zero 0
		.amdhsa_exception_fp_ieee_overflow 0
		.amdhsa_exception_fp_ieee_underflow 0
		.amdhsa_exception_fp_ieee_inexact 0
		.amdhsa_exception_int_div_zero 0
	.end_amdhsa_kernel
	.section	.text._ZL29rocblas_internal_gemmt_kernelIiLi16ELi32ELi8ELc78ELc78ELc85ELb0ELb0E19rocblas_complex_numIdES1_PKPKS1_PKPS1_EviT_T9_T10_S9_lSB_S9_lSA_T11_S9_li,"axG",@progbits,_ZL29rocblas_internal_gemmt_kernelIiLi16ELi32ELi8ELc78ELc78ELc85ELb0ELb0E19rocblas_complex_numIdES1_PKPKS1_PKPS1_EviT_T9_T10_S9_lSB_S9_lSA_T11_S9_li,comdat
.Lfunc_end414:
	.size	_ZL29rocblas_internal_gemmt_kernelIiLi16ELi32ELi8ELc78ELc78ELc85ELb0ELb0E19rocblas_complex_numIdES1_PKPKS1_PKPS1_EviT_T9_T10_S9_lSB_S9_lSA_T11_S9_li, .Lfunc_end414-_ZL29rocblas_internal_gemmt_kernelIiLi16ELi32ELi8ELc78ELc78ELc85ELb0ELb0E19rocblas_complex_numIdES1_PKPKS1_PKPS1_EviT_T9_T10_S9_lSB_S9_lSA_T11_S9_li
                                        ; -- End function
	.set _ZL29rocblas_internal_gemmt_kernelIiLi16ELi32ELi8ELc78ELc78ELc85ELb0ELb0E19rocblas_complex_numIdES1_PKPKS1_PKPS1_EviT_T9_T10_S9_lSB_S9_lSA_T11_S9_li.num_vgpr, 62
	.set _ZL29rocblas_internal_gemmt_kernelIiLi16ELi32ELi8ELc78ELc78ELc85ELb0ELb0E19rocblas_complex_numIdES1_PKPKS1_PKPS1_EviT_T9_T10_S9_lSB_S9_lSA_T11_S9_li.num_agpr, 0
	.set _ZL29rocblas_internal_gemmt_kernelIiLi16ELi32ELi8ELc78ELc78ELc85ELb0ELb0E19rocblas_complex_numIdES1_PKPKS1_PKPS1_EviT_T9_T10_S9_lSB_S9_lSA_T11_S9_li.numbered_sgpr, 36
	.set _ZL29rocblas_internal_gemmt_kernelIiLi16ELi32ELi8ELc78ELc78ELc85ELb0ELb0E19rocblas_complex_numIdES1_PKPKS1_PKPS1_EviT_T9_T10_S9_lSB_S9_lSA_T11_S9_li.num_named_barrier, 0
	.set _ZL29rocblas_internal_gemmt_kernelIiLi16ELi32ELi8ELc78ELc78ELc85ELb0ELb0E19rocblas_complex_numIdES1_PKPKS1_PKPS1_EviT_T9_T10_S9_lSB_S9_lSA_T11_S9_li.private_seg_size, 0
	.set _ZL29rocblas_internal_gemmt_kernelIiLi16ELi32ELi8ELc78ELc78ELc85ELb0ELb0E19rocblas_complex_numIdES1_PKPKS1_PKPS1_EviT_T9_T10_S9_lSB_S9_lSA_T11_S9_li.uses_vcc, 1
	.set _ZL29rocblas_internal_gemmt_kernelIiLi16ELi32ELi8ELc78ELc78ELc85ELb0ELb0E19rocblas_complex_numIdES1_PKPKS1_PKPS1_EviT_T9_T10_S9_lSB_S9_lSA_T11_S9_li.uses_flat_scratch, 0
	.set _ZL29rocblas_internal_gemmt_kernelIiLi16ELi32ELi8ELc78ELc78ELc85ELb0ELb0E19rocblas_complex_numIdES1_PKPKS1_PKPS1_EviT_T9_T10_S9_lSB_S9_lSA_T11_S9_li.has_dyn_sized_stack, 0
	.set _ZL29rocblas_internal_gemmt_kernelIiLi16ELi32ELi8ELc78ELc78ELc85ELb0ELb0E19rocblas_complex_numIdES1_PKPKS1_PKPS1_EviT_T9_T10_S9_lSB_S9_lSA_T11_S9_li.has_recursion, 0
	.set _ZL29rocblas_internal_gemmt_kernelIiLi16ELi32ELi8ELc78ELc78ELc85ELb0ELb0E19rocblas_complex_numIdES1_PKPKS1_PKPS1_EviT_T9_T10_S9_lSB_S9_lSA_T11_S9_li.has_indirect_call, 0
	.section	.AMDGPU.csdata,"",@progbits
; Kernel info:
; codeLenInByte = 3104
; TotalNumSgprs: 42
; NumVgprs: 62
; NumAgprs: 0
; TotalNumVgprs: 62
; ScratchSize: 0
; MemoryBound: 0
; FloatMode: 240
; IeeeMode: 1
; LDSByteSize: 8192 bytes/workgroup (compile time only)
; SGPRBlocks: 5
; VGPRBlocks: 7
; NumSGPRsForWavesPerEU: 42
; NumVGPRsForWavesPerEU: 62
; AccumOffset: 64
; Occupancy: 8
; WaveLimiterHint : 1
; COMPUTE_PGM_RSRC2:SCRATCH_EN: 0
; COMPUTE_PGM_RSRC2:USER_SGPR: 2
; COMPUTE_PGM_RSRC2:TRAP_HANDLER: 0
; COMPUTE_PGM_RSRC2:TGID_X_EN: 1
; COMPUTE_PGM_RSRC2:TGID_Y_EN: 1
; COMPUTE_PGM_RSRC2:TGID_Z_EN: 1
; COMPUTE_PGM_RSRC2:TIDIG_COMP_CNT: 1
; COMPUTE_PGM_RSRC3_GFX90A:ACCUM_OFFSET: 15
; COMPUTE_PGM_RSRC3_GFX90A:TG_SPLIT: 0
	.section	.text._ZL29rocblas_internal_gemmt_kernelIiLi16ELi32ELi8ELc78ELc84ELc85ELb0ELb0E19rocblas_complex_numIdES1_PKPKS1_PKPS1_EviT_T9_T10_S9_lSB_S9_lSA_T11_S9_li,"axG",@progbits,_ZL29rocblas_internal_gemmt_kernelIiLi16ELi32ELi8ELc78ELc84ELc85ELb0ELb0E19rocblas_complex_numIdES1_PKPKS1_PKPS1_EviT_T9_T10_S9_lSB_S9_lSA_T11_S9_li,comdat
	.globl	_ZL29rocblas_internal_gemmt_kernelIiLi16ELi32ELi8ELc78ELc84ELc85ELb0ELb0E19rocblas_complex_numIdES1_PKPKS1_PKPS1_EviT_T9_T10_S9_lSB_S9_lSA_T11_S9_li ; -- Begin function _ZL29rocblas_internal_gemmt_kernelIiLi16ELi32ELi8ELc78ELc84ELc85ELb0ELb0E19rocblas_complex_numIdES1_PKPKS1_PKPS1_EviT_T9_T10_S9_lSB_S9_lSA_T11_S9_li
	.p2align	8
	.type	_ZL29rocblas_internal_gemmt_kernelIiLi16ELi32ELi8ELc78ELc84ELc85ELb0ELb0E19rocblas_complex_numIdES1_PKPKS1_PKPS1_EviT_T9_T10_S9_lSB_S9_lSA_T11_S9_li,@function
_ZL29rocblas_internal_gemmt_kernelIiLi16ELi32ELi8ELc78ELc84ELc85ELb0ELb0E19rocblas_complex_numIdES1_PKPKS1_PKPS1_EviT_T9_T10_S9_lSB_S9_lSA_T11_S9_li: ; @_ZL29rocblas_internal_gemmt_kernelIiLi16ELi32ELi8ELc78ELc84ELc85ELb0ELb0E19rocblas_complex_numIdES1_PKPKS1_PKPS1_EviT_T9_T10_S9_lSB_S9_lSA_T11_S9_li
; %bb.0:
	s_load_dwordx8 s[8:15], s[0:1], 0x40
	s_load_dwordx2 s[6:7], s[0:1], 0x0
	s_load_dwordx4 s[16:19], s[0:1], 0x8
	s_mov_b64 s[22:23], 0
	s_waitcnt lgkmcnt(0)
	v_cmp_eq_f64_e64 s[24:25], s[10:11], 1.0
	v_cmp_eq_f64_e64 s[20:21], s[12:13], 0
	s_and_b64 s[24:25], s[24:25], s[20:21]
	s_andn2_b64 vcc, exec, s[24:25]
	s_mov_b64 s[24:25], -1
	s_cbranch_vccnz .LBB415_4
; %bb.1:
	s_cmp_lg_u32 s7, 0
	s_cbranch_scc0 .LBB415_3
; %bb.2:
	v_cmp_neq_f64_e64 s[22:23], s[16:17], 0
	v_cmp_neq_f64_e64 s[24:25], s[18:19], 0
	s_or_b64 s[22:23], s[22:23], s[24:25]
.LBB415_3:
	s_mov_b64 s[24:25], s[22:23]
.LBB415_4:
	s_and_b64 vcc, exec, s[24:25]
	s_cbranch_vccz .LBB415_32
; %bb.5:
	s_mov_b32 s5, 0
	s_lshl_b64 s[22:23], s[4:5], 3
	s_add_u32 s14, s14, s22
	s_addc_u32 s15, s15, s23
	s_lshl_b32 s4, s2, 5
	s_lshl_b32 s28, s3, 5
	v_cmp_eq_f64_e64 s[2:3], s[16:17], 0
	v_cmp_eq_f64_e64 s[24:25], s[18:19], 0
	s_load_dwordx2 s[14:15], s[14:15], 0x0
	s_and_b64 s[2:3], s[2:3], s[24:25]
	s_cmp_lt_i32 s7, 1
	s_cselect_b64 s[24:25], -1, 0
	s_or_b64 s[2:3], s[2:3], s[24:25]
	v_and_b32_e32 v20, 0x3ff, v0
	v_bfe_u32 v21, v0, 10, 10
	v_mov_b64_e32 v[16:17], 0
	s_and_b64 vcc, exec, s[2:3]
	v_mov_b64_e32 v[18:19], 0
	v_mov_b64_e32 v[12:13], 0
	v_mov_b64_e32 v[14:15], 0
	v_mov_b64_e32 v[8:9], 0
	v_mov_b64_e32 v[10:11], 0
	v_mov_b64_e32 v[6:7], 0
	v_mov_b64_e32 v[4:5], 0
	s_cbranch_vccnz .LBB415_16
; %bb.6:
	s_load_dwordx2 s[2:3], s[0:1], 0x18
	s_load_dword s30, s[0:1], 0x20
	s_load_dwordx4 s[24:27], s[0:1], 0x28
	s_load_dword s34, s[0:1], 0x38
	v_lshl_add_u32 v0, v21, 4, v20
	v_and_b32_e32 v4, 31, v0
	v_lshrrev_b32_e32 v23, 5, v0
	s_waitcnt lgkmcnt(0)
	s_ashr_i32 s31, s30, 31
	s_ashr_i32 s35, s34, 31
	v_lshrrev_b32_e32 v1, 3, v0
	v_or_b32_e32 v0, s4, v4
	v_and_b32_e32 v22, 7, v20
	s_add_u32 s26, s26, s22
	v_cmp_gt_i32_e32 vcc, s6, v0
	v_lshlrev_b32_e32 v0, 4, v4
	s_addc_u32 s27, s27, s23
	v_lshl_or_b32 v24, v23, 9, v0
	v_lshlrev_b32_e32 v0, 4, v22
	s_add_u32 s2, s2, s22
	v_lshl_or_b32 v0, v1, 7, v0
	s_addc_u32 s3, s3, s23
	v_add_u32_e32 v25, 0x1000, v0
	v_mov_b32_e32 v0, 0x1000
	v_add_u32_e32 v2, s28, v1
	s_load_dwordx2 s[26:27], s[26:27], 0x0
	v_lshl_add_u32 v27, v21, 7, v0
	s_load_dwordx2 s[22:23], s[2:3], 0x0
	v_mad_i64_i32 v[0:1], s[36:37], v23, s30, 0
	s_lshl_b64 s[24:25], s[24:25], 4
	v_add_u32_e32 v4, s4, v4
	v_lshl_add_u64 v[0:1], v[0:1], 4, s[24:25]
	v_ashrrev_i32_e32 v5, 31, v4
	v_lshl_add_u64 v[0:1], v[4:5], 4, v[0:1]
	v_mad_i64_i32 v[4:5], s[24:25], s34, v22, 0
	s_lshl_b64 s[8:9], s[8:9], 4
	v_ashrrev_i32_e32 v3, 31, v2
	v_lshl_add_u64 v[4:5], v[4:5], 4, s[8:9]
	v_cmp_gt_i32_e64 s[2:3], s6, v2
	v_lshl_add_u64 v[2:3], v[2:3], 4, v[4:5]
	v_mov_b32_e32 v28, 0
	v_lshlrev_b32_e32 v26, 4, v20
	s_waitcnt lgkmcnt(0)
	v_lshl_add_u64 v[0:1], s[22:23], 0, v[0:1]
	s_lshl_b64 s[22:23], s[30:31], 7
	v_lshl_add_u64 v[2:3], s[26:27], 0, v[2:3]
	s_lshl_b64 s[8:9], s[34:35], 7
	v_mov_b64_e32 v[4:5], 0
	s_xor_b64 s[24:25], vcc, -1
	s_xor_b64 s[2:3], s[2:3], -1
	v_mov_b32_e32 v29, v28
	v_mov_b32_e32 v30, v28
	;; [unrolled: 1-line block ×3, first 2 shown]
	v_mov_b64_e32 v[6:7], 0
	v_mov_b64_e32 v[10:11], 0
	;; [unrolled: 1-line block ×7, first 2 shown]
	s_branch .LBB415_8
.LBB415_7:                              ;   in Loop: Header=BB415_8 Depth=1
	s_or_b64 exec, exec, s[26:27]
	s_waitcnt lgkmcnt(0)
	s_barrier
	ds_read_b128 v[32:35], v26
	ds_read_b128 v[36:39], v27
	ds_read_b128 v[40:43], v27 offset:16
	ds_read_b128 v[44:47], v27 offset:32
	;; [unrolled: 1-line block ×4, first 2 shown]
	s_waitcnt lgkmcnt(4)
	v_mul_f64 v[56:57], v[38:39], v[34:35]
	v_fma_f64 v[56:57], v[36:37], v[32:33], -v[56:57]
	v_mul_f64 v[58:59], v[36:37], v[34:35]
	v_fmac_f64_e32 v[58:59], v[38:39], v[32:33]
	v_add_f64 v[56:57], v[16:17], v[56:57]
	s_waitcnt lgkmcnt(0)
	v_mul_f64 v[16:17], v[38:39], v[54:55]
	v_add_f64 v[58:59], v[58:59], v[18:19]
	v_fma_f64 v[60:61], v[36:37], v[52:53], -v[16:17]
	ds_read_b128 v[16:19], v27 offset:2048
	v_mul_f64 v[36:37], v[36:37], v[54:55]
	v_fmac_f64_e32 v[36:37], v[38:39], v[52:53]
	v_add_f64 v[38:39], v[12:13], v[60:61]
	v_add_f64 v[36:37], v[36:37], v[14:15]
	ds_read_b128 v[12:15], v27 offset:2064
	s_waitcnt lgkmcnt(1)
	v_mul_f64 v[60:61], v[18:19], v[34:35]
	v_fma_f64 v[60:61], v[16:17], v[32:33], -v[60:61]
	v_mul_f64 v[34:35], v[16:17], v[34:35]
	v_fmac_f64_e32 v[34:35], v[18:19], v[32:33]
	v_add_f64 v[32:33], v[8:9], v[60:61]
	v_mul_f64 v[8:9], v[18:19], v[54:55]
	v_add_f64 v[34:35], v[34:35], v[10:11]
	v_fma_f64 v[60:61], v[16:17], v[52:53], -v[8:9]
	v_mul_f64 v[16:17], v[16:17], v[54:55]
	ds_read_b128 v[8:11], v26 offset:512
	v_fmac_f64_e32 v[16:17], v[18:19], v[52:53]
	v_add_f64 v[18:19], v[6:7], v[60:61]
	v_add_f64 v[16:17], v[16:17], v[4:5]
	ds_read_b128 v[4:7], v26 offset:768
	s_waitcnt lgkmcnt(1)
	v_mul_f64 v[52:53], v[42:43], v[10:11]
	v_fma_f64 v[52:53], v[40:41], v[8:9], -v[52:53]
	v_add_f64 v[52:53], v[56:57], v[52:53]
	v_mul_f64 v[54:55], v[40:41], v[10:11]
	s_waitcnt lgkmcnt(0)
	v_mul_f64 v[56:57], v[42:43], v[6:7]
	v_fma_f64 v[56:57], v[40:41], v[4:5], -v[56:57]
	v_mul_f64 v[40:41], v[40:41], v[6:7]
	v_fmac_f64_e32 v[40:41], v[42:43], v[4:5]
	v_add_f64 v[36:37], v[40:41], v[36:37]
	v_mul_f64 v[40:41], v[14:15], v[10:11]
	v_mul_f64 v[10:11], v[12:13], v[10:11]
	v_fmac_f64_e32 v[54:55], v[42:43], v[8:9]
	v_fma_f64 v[40:41], v[12:13], v[8:9], -v[40:41]
	v_fmac_f64_e32 v[10:11], v[14:15], v[8:9]
	v_mul_f64 v[8:9], v[14:15], v[6:7]
	v_add_f64 v[42:43], v[10:11], v[34:35]
	v_fma_f64 v[10:11], v[12:13], v[4:5], -v[8:9]
	v_mul_f64 v[12:13], v[12:13], v[6:7]
	ds_read_b128 v[6:9], v26 offset:1024
	v_fmac_f64_e32 v[12:13], v[14:15], v[4:5]
	v_add_f64 v[38:39], v[38:39], v[56:57]
	v_add_f64 v[18:19], v[18:19], v[10:11]
	;; [unrolled: 1-line block ×3, first 2 shown]
	ds_read_b128 v[10:13], v26 offset:1280
	s_waitcnt lgkmcnt(1)
	v_mul_f64 v[14:15], v[44:45], v[8:9]
	v_add_f64 v[54:55], v[54:55], v[58:59]
	v_fmac_f64_e32 v[14:15], v[46:47], v[6:7]
	v_add_f64 v[54:55], v[14:15], v[54:55]
	ds_read_b128 v[14:17], v27 offset:2080
	v_mul_f64 v[4:5], v[46:47], v[8:9]
	v_fma_f64 v[4:5], v[44:45], v[6:7], -v[4:5]
	v_add_f64 v[40:41], v[32:33], v[40:41]
	v_add_f64 v[52:53], v[52:53], v[4:5]
	s_waitcnt lgkmcnt(1)
	v_mul_f64 v[4:5], v[46:47], v[12:13]
	v_mul_f64 v[32:33], v[44:45], v[12:13]
	v_fma_f64 v[4:5], v[44:45], v[10:11], -v[4:5]
	v_fmac_f64_e32 v[32:33], v[46:47], v[10:11]
	v_add_f64 v[38:39], v[38:39], v[4:5]
	v_add_f64 v[36:37], v[32:33], v[36:37]
	ds_read_b128 v[32:35], v27 offset:2096
	s_waitcnt lgkmcnt(1)
	v_mul_f64 v[4:5], v[16:17], v[8:9]
	v_fma_f64 v[4:5], v[14:15], v[6:7], -v[4:5]
	v_mul_f64 v[8:9], v[14:15], v[8:9]
	v_fmac_f64_e32 v[8:9], v[16:17], v[6:7]
	v_add_f64 v[40:41], v[40:41], v[4:5]
	v_mul_f64 v[4:5], v[16:17], v[12:13]
	v_add_f64 v[42:43], v[8:9], v[42:43]
	v_fma_f64 v[8:9], v[14:15], v[10:11], -v[4:5]
	ds_read_b128 v[4:7], v26 offset:1536
	v_mul_f64 v[12:13], v[14:15], v[12:13]
	v_fmac_f64_e32 v[12:13], v[16:17], v[10:11]
	v_add_f64 v[14:15], v[18:19], v[8:9]
	ds_read_b128 v[8:11], v26 offset:1792
	s_waitcnt lgkmcnt(1)
	v_mul_f64 v[16:17], v[50:51], v[6:7]
	v_fma_f64 v[16:17], v[48:49], v[4:5], -v[16:17]
	v_mul_f64 v[18:19], v[48:49], v[6:7]
	v_fmac_f64_e32 v[18:19], v[50:51], v[4:5]
	v_add_f64 v[44:45], v[52:53], v[16:17]
	s_waitcnt lgkmcnt(0)
	v_mul_f64 v[16:17], v[50:51], v[10:11]
	v_add_f64 v[46:47], v[18:19], v[54:55]
	v_fma_f64 v[16:17], v[48:49], v[8:9], -v[16:17]
	v_mul_f64 v[18:19], v[48:49], v[10:11]
	v_fmac_f64_e32 v[18:19], v[50:51], v[8:9]
	v_add_f64 v[38:39], v[38:39], v[16:17]
	v_mul_f64 v[16:17], v[34:35], v[6:7]
	v_mul_f64 v[6:7], v[32:33], v[6:7]
	v_add_f64 v[36:37], v[18:19], v[36:37]
	v_fma_f64 v[16:17], v[32:33], v[4:5], -v[16:17]
	v_fmac_f64_e32 v[6:7], v[34:35], v[4:5]
	v_mul_f64 v[4:5], v[34:35], v[10:11]
	v_mul_f64 v[18:19], v[32:33], v[10:11]
	v_add_f64 v[40:41], v[40:41], v[16:17]
	v_add_f64 v[42:43], v[6:7], v[42:43]
	v_fma_f64 v[16:17], v[32:33], v[8:9], -v[4:5]
	v_fmac_f64_e32 v[18:19], v[34:35], v[8:9]
	ds_read_b128 v[4:7], v27 offset:64
	ds_read_b128 v[8:11], v26 offset:2048
	v_add_f64 v[12:13], v[12:13], v[56:57]
	v_add_f64 v[48:49], v[14:15], v[16:17]
	;; [unrolled: 1-line block ×3, first 2 shown]
	ds_read_b128 v[12:15], v26 offset:2304
	ds_read_b128 v[16:19], v27 offset:80
	s_waitcnt lgkmcnt(2)
	v_mul_f64 v[32:33], v[6:7], v[10:11]
	v_fma_f64 v[32:33], v[4:5], v[8:9], -v[32:33]
	v_mul_f64 v[34:35], v[4:5], v[10:11]
	v_fmac_f64_e32 v[34:35], v[6:7], v[8:9]
	v_add_f64 v[44:45], v[44:45], v[32:33]
	s_waitcnt lgkmcnt(1)
	v_mul_f64 v[32:33], v[6:7], v[14:15]
	v_add_f64 v[46:47], v[34:35], v[46:47]
	v_fma_f64 v[52:53], v[4:5], v[12:13], -v[32:33]
	ds_read_b128 v[32:35], v27 offset:2112
	v_mul_f64 v[4:5], v[4:5], v[14:15]
	v_fmac_f64_e32 v[4:5], v[6:7], v[12:13]
	v_add_f64 v[38:39], v[38:39], v[52:53]
	v_add_f64 v[36:37], v[4:5], v[36:37]
	ds_read_b128 v[4:7], v27 offset:2128
	s_waitcnt lgkmcnt(1)
	v_mul_f64 v[52:53], v[34:35], v[10:11]
	v_mul_f64 v[10:11], v[32:33], v[10:11]
	v_fma_f64 v[52:53], v[32:33], v[8:9], -v[52:53]
	v_fmac_f64_e32 v[10:11], v[34:35], v[8:9]
	v_mul_f64 v[8:9], v[34:35], v[14:15]
	v_add_f64 v[40:41], v[40:41], v[52:53]
	v_add_f64 v[42:43], v[10:11], v[42:43]
	v_fma_f64 v[52:53], v[32:33], v[12:13], -v[8:9]
	v_mul_f64 v[14:15], v[32:33], v[14:15]
	ds_read_b128 v[8:11], v26 offset:2560
	v_fmac_f64_e32 v[14:15], v[34:35], v[12:13]
	v_add_f64 v[34:35], v[14:15], v[50:51]
	ds_read_b128 v[12:15], v26 offset:2816
	v_add_f64 v[32:33], v[48:49], v[52:53]
	s_waitcnt lgkmcnt(1)
	v_mul_f64 v[48:49], v[18:19], v[10:11]
	v_fma_f64 v[48:49], v[16:17], v[8:9], -v[48:49]
	v_add_f64 v[44:45], v[44:45], v[48:49]
	s_waitcnt lgkmcnt(0)
	v_mul_f64 v[48:49], v[18:19], v[14:15]
	v_mul_f64 v[50:51], v[16:17], v[10:11]
	v_fma_f64 v[48:49], v[16:17], v[12:13], -v[48:49]
	v_mul_f64 v[16:17], v[16:17], v[14:15]
	v_fmac_f64_e32 v[16:17], v[18:19], v[12:13]
	v_add_f64 v[36:37], v[16:17], v[36:37]
	v_mul_f64 v[16:17], v[6:7], v[10:11]
	v_mul_f64 v[10:11], v[4:5], v[10:11]
	v_fmac_f64_e32 v[50:51], v[18:19], v[8:9]
	v_fma_f64 v[16:17], v[4:5], v[8:9], -v[16:17]
	v_fmac_f64_e32 v[10:11], v[6:7], v[8:9]
	v_mul_f64 v[8:9], v[6:7], v[14:15]
	v_mul_f64 v[14:15], v[4:5], v[14:15]
	v_add_f64 v[40:41], v[40:41], v[16:17]
	v_add_f64 v[42:43], v[10:11], v[42:43]
	v_fma_f64 v[16:17], v[4:5], v[12:13], -v[8:9]
	v_fmac_f64_e32 v[14:15], v[6:7], v[12:13]
	ds_read_b128 v[4:7], v27 offset:96
	ds_read_b128 v[8:11], v26 offset:3072
	v_add_f64 v[46:47], v[50:51], v[46:47]
	v_add_f64 v[38:39], v[38:39], v[48:49]
	;; [unrolled: 1-line block ×4, first 2 shown]
	ds_read_b128 v[12:15], v26 offset:3328
	ds_read_b128 v[32:35], v27 offset:112
	s_waitcnt lgkmcnt(2)
	v_mul_f64 v[16:17], v[6:7], v[10:11]
	v_fma_f64 v[16:17], v[4:5], v[8:9], -v[16:17]
	v_mul_f64 v[18:19], v[4:5], v[10:11]
	v_fmac_f64_e32 v[18:19], v[6:7], v[8:9]
	v_add_f64 v[44:45], v[44:45], v[16:17]
	s_waitcnt lgkmcnt(1)
	v_mul_f64 v[16:17], v[6:7], v[14:15]
	v_add_f64 v[46:47], v[18:19], v[46:47]
	v_fma_f64 v[52:53], v[4:5], v[12:13], -v[16:17]
	ds_read_b128 v[16:19], v27 offset:2144
	v_mul_f64 v[4:5], v[4:5], v[14:15]
	v_fmac_f64_e32 v[4:5], v[6:7], v[12:13]
	v_add_f64 v[54:55], v[4:5], v[36:37]
	ds_read_b128 v[4:7], v27 offset:2160
	s_waitcnt lgkmcnt(1)
	v_mul_f64 v[36:37], v[18:19], v[10:11]
	v_mul_f64 v[10:11], v[16:17], v[10:11]
	v_fma_f64 v[36:37], v[16:17], v[8:9], -v[36:37]
	v_fmac_f64_e32 v[10:11], v[18:19], v[8:9]
	v_mul_f64 v[8:9], v[18:19], v[14:15]
	v_add_f64 v[40:41], v[40:41], v[36:37]
	v_add_f64 v[42:43], v[10:11], v[42:43]
	v_fma_f64 v[36:37], v[16:17], v[12:13], -v[8:9]
	ds_read_b128 v[8:11], v26 offset:3584
	v_add_f64 v[52:53], v[38:39], v[52:53]
	v_add_f64 v[48:49], v[48:49], v[36:37]
	ds_read_b128 v[36:39], v26 offset:3840
	v_mul_f64 v[14:15], v[16:17], v[14:15]
	v_fmac_f64_e32 v[14:15], v[18:19], v[12:13]
	s_waitcnt lgkmcnt(1)
	v_mul_f64 v[12:13], v[34:35], v[10:11]
	v_add_f64 v[50:51], v[14:15], v[50:51]
	v_fma_f64 v[12:13], v[32:33], v[8:9], -v[12:13]
	v_mul_f64 v[14:15], v[32:33], v[10:11]
	v_fmac_f64_e32 v[14:15], v[34:35], v[8:9]
	v_add_f64 v[16:17], v[44:45], v[12:13]
	s_waitcnt lgkmcnt(0)
	v_mul_f64 v[12:13], v[34:35], v[38:39]
	v_add_f64 v[18:19], v[14:15], v[46:47]
	v_fma_f64 v[12:13], v[32:33], v[36:37], -v[12:13]
	v_mul_f64 v[14:15], v[32:33], v[38:39]
	v_mul_f64 v[32:33], v[6:7], v[10:11]
	v_fma_f64 v[32:33], v[4:5], v[8:9], -v[32:33]
	v_mul_f64 v[10:11], v[4:5], v[10:11]
	v_fmac_f64_e32 v[10:11], v[6:7], v[8:9]
	v_add_f64 v[8:9], v[40:41], v[32:33]
	v_mul_f64 v[32:33], v[6:7], v[38:39]
	v_fma_f64 v[32:33], v[4:5], v[36:37], -v[32:33]
	v_mul_f64 v[4:5], v[4:5], v[38:39]
	v_fmac_f64_e32 v[14:15], v[34:35], v[36:37]
	v_fmac_f64_e32 v[4:5], v[6:7], v[36:37]
	s_add_i32 s5, s5, 8
	v_add_f64 v[12:13], v[52:53], v[12:13]
	v_add_f64 v[14:15], v[14:15], v[54:55]
	;; [unrolled: 1-line block ×5, first 2 shown]
	v_lshl_add_u64 v[0:1], v[0:1], 0, s[22:23]
	s_cmp_lt_i32 s5, s7
	v_lshl_add_u64 v[2:3], v[2:3], 0, s[8:9]
	s_barrier
	s_cbranch_scc0 .LBB415_16
.LBB415_8:                              ; =>This Inner Loop Header: Depth=1
	v_add_u32_e32 v32, s5, v23
	v_cmp_le_i32_e32 vcc, s7, v32
	s_or_b64 s[26:27], s[24:25], vcc
	s_and_saveexec_b64 s[30:31], s[26:27]
	s_xor_b64 s[26:27], exec, s[30:31]
; %bb.9:                                ;   in Loop: Header=BB415_8 Depth=1
	ds_write_b128 v24, v[28:31]
; %bb.10:                               ;   in Loop: Header=BB415_8 Depth=1
	s_andn2_saveexec_b64 s[26:27], s[26:27]
	s_cbranch_execz .LBB415_12
; %bb.11:                               ;   in Loop: Header=BB415_8 Depth=1
	flat_load_dwordx4 v[32:35], v[0:1]
	s_waitcnt vmcnt(0) lgkmcnt(0)
	ds_write2_b64 v24, v[32:33], v[34:35] offset1:1
.LBB415_12:                             ;   in Loop: Header=BB415_8 Depth=1
	s_or_b64 exec, exec, s[26:27]
	v_add_u32_e32 v32, s5, v22
	v_cmp_le_i32_e32 vcc, s7, v32
	s_or_b64 s[26:27], vcc, s[2:3]
	s_and_saveexec_b64 s[30:31], s[26:27]
	s_xor_b64 s[26:27], exec, s[30:31]
; %bb.13:                               ;   in Loop: Header=BB415_8 Depth=1
	ds_write_b128 v25, v[28:31]
; %bb.14:                               ;   in Loop: Header=BB415_8 Depth=1
	s_andn2_saveexec_b64 s[26:27], s[26:27]
	s_cbranch_execz .LBB415_7
; %bb.15:                               ;   in Loop: Header=BB415_8 Depth=1
	flat_load_dwordx4 v[32:35], v[2:3]
	s_waitcnt vmcnt(0) lgkmcnt(0)
	ds_write2_b64 v25, v[32:33], v[34:35] offset1:1
	s_branch .LBB415_7
.LBB415_16:
	s_load_dwordx2 s[2:3], s[0:1], 0x68
	s_load_dword s7, s[0:1], 0x60
	v_add_u32_e32 v20, s4, v20
	v_add_u32_e32 v24, s28, v21
	v_cmp_neq_f64_e64 s[0:1], s[10:11], 0
	s_waitcnt lgkmcnt(0)
	s_lshl_b64 s[2:3], s[2:3], 4
	s_add_u32 s4, s14, s2
	s_addc_u32 s5, s15, s3
	s_xor_b64 s[8:9], s[20:21], -1
	v_mad_i64_i32 v[0:1], s[14:15], v24, s7, 0
	s_or_b64 s[0:1], s[0:1], s[8:9]
	v_cmp_gt_i32_e64 s[2:3], s6, v24
	v_lshl_add_u64 v[22:23], v[0:1], 4, s[4:5]
	v_cmp_le_i32_e32 vcc, v20, v24
	v_cndmask_b32_e64 v0, 0, 1, s[0:1]
	s_and_b64 s[14:15], s[2:3], vcc
	v_ashrrev_i32_e32 v21, 31, v20
	v_cmp_ne_u32_e64 s[0:1], 1, v0
	s_and_saveexec_b64 s[8:9], s[14:15]
	s_cbranch_execz .LBB415_20
; %bb.17:
	v_mul_f64 v[0:1], s[18:19], v[18:19]
	v_mul_f64 v[2:3], s[16:17], v[18:19]
	v_fma_f64 v[0:1], s[16:17], v[16:17], -v[0:1]
	v_fmac_f64_e32 v[2:3], s[18:19], v[16:17]
	s_and_b64 vcc, exec, s[0:1]
	v_lshl_add_u64 v[16:17], v[20:21], 4, v[22:23]
	s_cbranch_vccnz .LBB415_19
; %bb.18:
	flat_load_dwordx4 v[26:29], v[16:17]
	s_waitcnt vmcnt(0) lgkmcnt(0)
	v_mul_f64 v[18:19], s[12:13], v[28:29]
	v_mul_f64 v[28:29], s[10:11], v[28:29]
	v_fma_f64 v[18:19], s[10:11], v[26:27], -v[18:19]
	v_fmac_f64_e32 v[28:29], s[12:13], v[26:27]
	v_add_f64 v[0:1], v[0:1], v[18:19]
	v_add_f64 v[2:3], v[2:3], v[28:29]
.LBB415_19:
	flat_store_dwordx4 v[16:17], v[0:3]
.LBB415_20:
	s_or_b64 exec, exec, s[8:9]
	v_add_u32_e32 v16, 16, v20
	v_cmp_le_i32_e32 vcc, v16, v24
	s_and_b64 s[8:9], s[2:3], vcc
	v_ashrrev_i32_e32 v17, 31, v16
	s_and_saveexec_b64 s[2:3], s[8:9]
	s_cbranch_execz .LBB415_24
; %bb.21:
	v_mul_f64 v[0:1], s[18:19], v[14:15]
	v_mul_f64 v[2:3], s[16:17], v[14:15]
	v_fma_f64 v[0:1], s[16:17], v[12:13], -v[0:1]
	v_fmac_f64_e32 v[2:3], s[18:19], v[12:13]
	s_and_b64 vcc, exec, s[0:1]
	v_lshl_add_u64 v[12:13], v[16:17], 4, v[22:23]
	s_cbranch_vccnz .LBB415_23
; %bb.22:
	flat_load_dwordx4 v[26:29], v[12:13]
	s_waitcnt vmcnt(0) lgkmcnt(0)
	v_mul_f64 v[14:15], s[12:13], v[28:29]
	v_mul_f64 v[18:19], s[10:11], v[28:29]
	v_fma_f64 v[14:15], s[10:11], v[26:27], -v[14:15]
	v_fmac_f64_e32 v[18:19], s[12:13], v[26:27]
	v_add_f64 v[0:1], v[0:1], v[14:15]
	v_add_f64 v[2:3], v[2:3], v[18:19]
.LBB415_23:
	flat_store_dwordx4 v[12:13], v[0:3]
.LBB415_24:
	s_or_b64 exec, exec, s[2:3]
	v_add_u32_e32 v14, 16, v24
	v_cmp_gt_i32_e64 s[2:3], s6, v14
	v_mad_i64_i32 v[0:1], s[6:7], v14, s7, 0
	v_cmp_le_i32_e32 vcc, v20, v14
	v_lshl_add_u64 v[12:13], v[0:1], 4, s[4:5]
	s_and_b64 s[6:7], s[2:3], vcc
	s_and_saveexec_b64 s[4:5], s[6:7]
	s_cbranch_execz .LBB415_28
; %bb.25:
	v_mul_f64 v[0:1], s[18:19], v[10:11]
	v_mul_f64 v[2:3], s[16:17], v[10:11]
	v_fma_f64 v[0:1], s[16:17], v[8:9], -v[0:1]
	v_fmac_f64_e32 v[2:3], s[18:19], v[8:9]
	s_and_b64 vcc, exec, s[0:1]
	v_lshl_add_u64 v[8:9], v[20:21], 4, v[12:13]
	s_cbranch_vccnz .LBB415_27
; %bb.26:
	flat_load_dwordx4 v[18:21], v[8:9]
	s_waitcnt vmcnt(0) lgkmcnt(0)
	v_mul_f64 v[10:11], s[12:13], v[20:21]
	v_mul_f64 v[20:21], s[10:11], v[20:21]
	v_fma_f64 v[10:11], s[10:11], v[18:19], -v[10:11]
	v_fmac_f64_e32 v[20:21], s[12:13], v[18:19]
	v_add_f64 v[0:1], v[0:1], v[10:11]
	v_add_f64 v[2:3], v[2:3], v[20:21]
.LBB415_27:
	flat_store_dwordx4 v[8:9], v[0:3]
.LBB415_28:
	s_or_b64 exec, exec, s[4:5]
	v_cmp_le_i32_e32 vcc, v16, v14
	s_and_b64 s[2:3], s[2:3], vcc
	s_and_saveexec_b64 s[4:5], s[2:3]
	s_cbranch_execz .LBB415_32
; %bb.29:
	v_mul_f64 v[0:1], s[18:19], v[4:5]
	v_mul_f64 v[2:3], s[16:17], v[4:5]
	v_fma_f64 v[0:1], s[16:17], v[6:7], -v[0:1]
	v_fmac_f64_e32 v[2:3], s[18:19], v[6:7]
	s_and_b64 vcc, exec, s[0:1]
	v_lshl_add_u64 v[4:5], v[16:17], 4, v[12:13]
	s_cbranch_vccnz .LBB415_31
; %bb.30:
	flat_load_dwordx4 v[6:9], v[4:5]
	s_waitcnt vmcnt(0) lgkmcnt(0)
	v_mul_f64 v[10:11], s[12:13], v[8:9]
	v_mul_f64 v[8:9], s[10:11], v[8:9]
	v_fma_f64 v[10:11], s[10:11], v[6:7], -v[10:11]
	v_fmac_f64_e32 v[8:9], s[12:13], v[6:7]
	v_add_f64 v[0:1], v[0:1], v[10:11]
	v_add_f64 v[2:3], v[2:3], v[8:9]
.LBB415_31:
	flat_store_dwordx4 v[4:5], v[0:3]
.LBB415_32:
	s_endpgm
	.section	.rodata,"a",@progbits
	.p2align	6, 0x0
	.amdhsa_kernel _ZL29rocblas_internal_gemmt_kernelIiLi16ELi32ELi8ELc78ELc84ELc85ELb0ELb0E19rocblas_complex_numIdES1_PKPKS1_PKPS1_EviT_T9_T10_S9_lSB_S9_lSA_T11_S9_li
		.amdhsa_group_segment_fixed_size 8192
		.amdhsa_private_segment_fixed_size 0
		.amdhsa_kernarg_size 116
		.amdhsa_user_sgpr_count 2
		.amdhsa_user_sgpr_dispatch_ptr 0
		.amdhsa_user_sgpr_queue_ptr 0
		.amdhsa_user_sgpr_kernarg_segment_ptr 1
		.amdhsa_user_sgpr_dispatch_id 0
		.amdhsa_user_sgpr_kernarg_preload_length 0
		.amdhsa_user_sgpr_kernarg_preload_offset 0
		.amdhsa_user_sgpr_private_segment_size 0
		.amdhsa_uses_dynamic_stack 0
		.amdhsa_enable_private_segment 0
		.amdhsa_system_sgpr_workgroup_id_x 1
		.amdhsa_system_sgpr_workgroup_id_y 1
		.amdhsa_system_sgpr_workgroup_id_z 1
		.amdhsa_system_sgpr_workgroup_info 0
		.amdhsa_system_vgpr_workitem_id 1
		.amdhsa_next_free_vgpr 62
		.amdhsa_next_free_sgpr 38
		.amdhsa_accum_offset 64
		.amdhsa_reserve_vcc 1
		.amdhsa_float_round_mode_32 0
		.amdhsa_float_round_mode_16_64 0
		.amdhsa_float_denorm_mode_32 3
		.amdhsa_float_denorm_mode_16_64 3
		.amdhsa_dx10_clamp 1
		.amdhsa_ieee_mode 1
		.amdhsa_fp16_overflow 0
		.amdhsa_tg_split 0
		.amdhsa_exception_fp_ieee_invalid_op 0
		.amdhsa_exception_fp_denorm_src 0
		.amdhsa_exception_fp_ieee_div_zero 0
		.amdhsa_exception_fp_ieee_overflow 0
		.amdhsa_exception_fp_ieee_underflow 0
		.amdhsa_exception_fp_ieee_inexact 0
		.amdhsa_exception_int_div_zero 0
	.end_amdhsa_kernel
	.section	.text._ZL29rocblas_internal_gemmt_kernelIiLi16ELi32ELi8ELc78ELc84ELc85ELb0ELb0E19rocblas_complex_numIdES1_PKPKS1_PKPS1_EviT_T9_T10_S9_lSB_S9_lSA_T11_S9_li,"axG",@progbits,_ZL29rocblas_internal_gemmt_kernelIiLi16ELi32ELi8ELc78ELc84ELc85ELb0ELb0E19rocblas_complex_numIdES1_PKPKS1_PKPS1_EviT_T9_T10_S9_lSB_S9_lSA_T11_S9_li,comdat
.Lfunc_end415:
	.size	_ZL29rocblas_internal_gemmt_kernelIiLi16ELi32ELi8ELc78ELc84ELc85ELb0ELb0E19rocblas_complex_numIdES1_PKPKS1_PKPS1_EviT_T9_T10_S9_lSB_S9_lSA_T11_S9_li, .Lfunc_end415-_ZL29rocblas_internal_gemmt_kernelIiLi16ELi32ELi8ELc78ELc84ELc85ELb0ELb0E19rocblas_complex_numIdES1_PKPKS1_PKPS1_EviT_T9_T10_S9_lSB_S9_lSA_T11_S9_li
                                        ; -- End function
	.set _ZL29rocblas_internal_gemmt_kernelIiLi16ELi32ELi8ELc78ELc84ELc85ELb0ELb0E19rocblas_complex_numIdES1_PKPKS1_PKPS1_EviT_T9_T10_S9_lSB_S9_lSA_T11_S9_li.num_vgpr, 62
	.set _ZL29rocblas_internal_gemmt_kernelIiLi16ELi32ELi8ELc78ELc84ELc85ELb0ELb0E19rocblas_complex_numIdES1_PKPKS1_PKPS1_EviT_T9_T10_S9_lSB_S9_lSA_T11_S9_li.num_agpr, 0
	.set _ZL29rocblas_internal_gemmt_kernelIiLi16ELi32ELi8ELc78ELc84ELc85ELb0ELb0E19rocblas_complex_numIdES1_PKPKS1_PKPS1_EviT_T9_T10_S9_lSB_S9_lSA_T11_S9_li.numbered_sgpr, 38
	.set _ZL29rocblas_internal_gemmt_kernelIiLi16ELi32ELi8ELc78ELc84ELc85ELb0ELb0E19rocblas_complex_numIdES1_PKPKS1_PKPS1_EviT_T9_T10_S9_lSB_S9_lSA_T11_S9_li.num_named_barrier, 0
	.set _ZL29rocblas_internal_gemmt_kernelIiLi16ELi32ELi8ELc78ELc84ELc85ELb0ELb0E19rocblas_complex_numIdES1_PKPKS1_PKPS1_EviT_T9_T10_S9_lSB_S9_lSA_T11_S9_li.private_seg_size, 0
	.set _ZL29rocblas_internal_gemmt_kernelIiLi16ELi32ELi8ELc78ELc84ELc85ELb0ELb0E19rocblas_complex_numIdES1_PKPKS1_PKPS1_EviT_T9_T10_S9_lSB_S9_lSA_T11_S9_li.uses_vcc, 1
	.set _ZL29rocblas_internal_gemmt_kernelIiLi16ELi32ELi8ELc78ELc84ELc85ELb0ELb0E19rocblas_complex_numIdES1_PKPKS1_PKPS1_EviT_T9_T10_S9_lSB_S9_lSA_T11_S9_li.uses_flat_scratch, 0
	.set _ZL29rocblas_internal_gemmt_kernelIiLi16ELi32ELi8ELc78ELc84ELc85ELb0ELb0E19rocblas_complex_numIdES1_PKPKS1_PKPS1_EviT_T9_T10_S9_lSB_S9_lSA_T11_S9_li.has_dyn_sized_stack, 0
	.set _ZL29rocblas_internal_gemmt_kernelIiLi16ELi32ELi8ELc78ELc84ELc85ELb0ELb0E19rocblas_complex_numIdES1_PKPKS1_PKPS1_EviT_T9_T10_S9_lSB_S9_lSA_T11_S9_li.has_recursion, 0
	.set _ZL29rocblas_internal_gemmt_kernelIiLi16ELi32ELi8ELc78ELc84ELc85ELb0ELb0E19rocblas_complex_numIdES1_PKPKS1_PKPS1_EviT_T9_T10_S9_lSB_S9_lSA_T11_S9_li.has_indirect_call, 0
	.section	.AMDGPU.csdata,"",@progbits
; Kernel info:
; codeLenInByte = 3108
; TotalNumSgprs: 44
; NumVgprs: 62
; NumAgprs: 0
; TotalNumVgprs: 62
; ScratchSize: 0
; MemoryBound: 0
; FloatMode: 240
; IeeeMode: 1
; LDSByteSize: 8192 bytes/workgroup (compile time only)
; SGPRBlocks: 5
; VGPRBlocks: 7
; NumSGPRsForWavesPerEU: 44
; NumVGPRsForWavesPerEU: 62
; AccumOffset: 64
; Occupancy: 8
; WaveLimiterHint : 1
; COMPUTE_PGM_RSRC2:SCRATCH_EN: 0
; COMPUTE_PGM_RSRC2:USER_SGPR: 2
; COMPUTE_PGM_RSRC2:TRAP_HANDLER: 0
; COMPUTE_PGM_RSRC2:TGID_X_EN: 1
; COMPUTE_PGM_RSRC2:TGID_Y_EN: 1
; COMPUTE_PGM_RSRC2:TGID_Z_EN: 1
; COMPUTE_PGM_RSRC2:TIDIG_COMP_CNT: 1
; COMPUTE_PGM_RSRC3_GFX90A:ACCUM_OFFSET: 15
; COMPUTE_PGM_RSRC3_GFX90A:TG_SPLIT: 0
	.section	.text._ZL29rocblas_internal_gemmt_kernelIiLi16ELi32ELi8ELc78ELc67ELc85ELb0ELb1E19rocblas_complex_numIdES1_PKPKS1_PKPS1_EviT_T9_T10_S9_lSB_S9_lSA_T11_S9_li,"axG",@progbits,_ZL29rocblas_internal_gemmt_kernelIiLi16ELi32ELi8ELc78ELc67ELc85ELb0ELb1E19rocblas_complex_numIdES1_PKPKS1_PKPS1_EviT_T9_T10_S9_lSB_S9_lSA_T11_S9_li,comdat
	.globl	_ZL29rocblas_internal_gemmt_kernelIiLi16ELi32ELi8ELc78ELc67ELc85ELb0ELb1E19rocblas_complex_numIdES1_PKPKS1_PKPS1_EviT_T9_T10_S9_lSB_S9_lSA_T11_S9_li ; -- Begin function _ZL29rocblas_internal_gemmt_kernelIiLi16ELi32ELi8ELc78ELc67ELc85ELb0ELb1E19rocblas_complex_numIdES1_PKPKS1_PKPS1_EviT_T9_T10_S9_lSB_S9_lSA_T11_S9_li
	.p2align	8
	.type	_ZL29rocblas_internal_gemmt_kernelIiLi16ELi32ELi8ELc78ELc67ELc85ELb0ELb1E19rocblas_complex_numIdES1_PKPKS1_PKPS1_EviT_T9_T10_S9_lSB_S9_lSA_T11_S9_li,@function
_ZL29rocblas_internal_gemmt_kernelIiLi16ELi32ELi8ELc78ELc67ELc85ELb0ELb1E19rocblas_complex_numIdES1_PKPKS1_PKPS1_EviT_T9_T10_S9_lSB_S9_lSA_T11_S9_li: ; @_ZL29rocblas_internal_gemmt_kernelIiLi16ELi32ELi8ELc78ELc67ELc85ELb0ELb1E19rocblas_complex_numIdES1_PKPKS1_PKPS1_EviT_T9_T10_S9_lSB_S9_lSA_T11_S9_li
; %bb.0:
	s_load_dwordx8 s[8:15], s[0:1], 0x40
	s_load_dwordx2 s[6:7], s[0:1], 0x0
	s_load_dwordx4 s[16:19], s[0:1], 0x8
	s_mov_b64 s[22:23], 0
	s_waitcnt lgkmcnt(0)
	v_cmp_eq_f64_e64 s[24:25], s[10:11], 1.0
	v_cmp_eq_f64_e64 s[20:21], s[12:13], 0
	s_and_b64 s[24:25], s[24:25], s[20:21]
	s_andn2_b64 vcc, exec, s[24:25]
	s_mov_b64 s[24:25], -1
	s_cbranch_vccnz .LBB416_4
; %bb.1:
	s_cmp_lg_u32 s7, 0
	s_cbranch_scc0 .LBB416_3
; %bb.2:
	v_cmp_neq_f64_e64 s[22:23], s[16:17], 0
	v_cmp_neq_f64_e64 s[24:25], s[18:19], 0
	s_or_b64 s[22:23], s[22:23], s[24:25]
.LBB416_3:
	s_mov_b64 s[24:25], s[22:23]
.LBB416_4:
	s_and_b64 vcc, exec, s[24:25]
	s_cbranch_vccz .LBB416_30
; %bb.5:
	s_mov_b32 s5, 0
	s_lshl_b64 s[22:23], s[4:5], 3
	s_add_u32 s14, s14, s22
	s_addc_u32 s15, s15, s23
	s_lshl_b32 s4, s2, 5
	s_lshl_b32 s26, s3, 5
	v_cmp_eq_f64_e64 s[2:3], s[16:17], 0
	v_cmp_eq_f64_e64 s[24:25], s[18:19], 0
	s_load_dwordx2 s[14:15], s[14:15], 0x0
	s_and_b64 s[2:3], s[2:3], s[24:25]
	s_cmp_lt_i32 s7, 1
	s_cselect_b64 s[24:25], -1, 0
	s_or_b64 s[2:3], s[2:3], s[24:25]
	v_and_b32_e32 v24, 0x3ff, v0
	v_bfe_u32 v25, v0, 10, 10
	v_mov_b64_e32 v[20:21], 0
	s_and_b64 vcc, exec, s[2:3]
	v_mov_b64_e32 v[22:23], 0
	v_mov_b64_e32 v[16:17], 0
	;; [unrolled: 1-line block ×7, first 2 shown]
	s_cbranch_vccnz .LBB416_14
; %bb.6:
	s_load_dwordx2 s[2:3], s[0:1], 0x18
	s_load_dword s24, s[0:1], 0x20
	s_load_dwordx4 s[28:31], s[0:1], 0x28
	s_load_dword s34, s[0:1], 0x38
	v_lshl_add_u32 v1, v25, 4, v24
	v_and_b32_e32 v4, 31, v1
	s_waitcnt lgkmcnt(0)
	s_ashr_i32 s25, s24, 31
	v_lshrrev_b32_e32 v27, 5, v1
	s_ashr_i32 s35, s34, 31
	s_add_u32 s30, s30, s22
	s_addc_u32 s31, s31, s23
	s_add_u32 s2, s2, s22
	v_lshrrev_b32_e32 v2, 3, v1
	v_or_b32_e32 v1, s4, v4
	s_addc_u32 s3, s3, s23
	v_and_b32_e32 v26, 7, v24
	s_load_dwordx2 s[22:23], s[2:3], 0x0
	v_cmp_gt_i32_e64 s[2:3], s6, v1
	v_lshlrev_b32_e32 v1, 4, v4
	v_lshl_or_b32 v28, v27, 9, v1
	v_lshlrev_b32_e32 v1, 4, v26
	v_add_u32_e32 v0, s26, v2
	v_lshl_or_b32 v1, v2, 7, v1
	v_mov_b32_e32 v2, 0x1000
	v_lshl_add_u32 v31, v25, 7, v2
	v_mad_i64_i32 v[2:3], s[36:37], v27, s24, 0
	s_lshl_b64 s[28:29], s[28:29], 4
	v_add_u32_e32 v4, s4, v4
	s_load_dwordx2 s[30:31], s[30:31], 0x0
	v_lshl_add_u64 v[2:3], v[2:3], 4, s[28:29]
	v_ashrrev_i32_e32 v5, 31, v4
	v_lshl_add_u64 v[2:3], v[4:5], 4, v[2:3]
	s_waitcnt lgkmcnt(0)
	v_lshl_add_u64 v[4:5], s[22:23], 0, v[2:3]
	s_lshl_b64 s[22:23], s[24:25], 7
	v_mad_i64_i32 v[2:3], s[24:25], s34, v26, 0
	s_lshl_b64 s[8:9], s[8:9], 4
	v_add_u32_e32 v29, 0x1000, v1
	v_ashrrev_i32_e32 v1, 31, v0
	v_lshl_add_u64 v[2:3], v[2:3], 4, s[8:9]
	v_cmp_gt_i32_e32 vcc, s6, v0
	v_lshl_add_u64 v[0:1], v[0:1], 4, v[2:3]
	v_mov_b32_e32 v32, 0
	v_lshlrev_b32_e32 v30, 4, v24
	v_lshl_add_u64 v[6:7], s[30:31], 0, v[0:1]
	s_lshl_b64 s[8:9], s[34:35], 7
	v_mov_b64_e32 v[8:9], 0
	s_xor_b64 s[24:25], s[2:3], -1
	v_mov_b32_e32 v33, v32
	v_mov_b32_e32 v34, v32
	;; [unrolled: 1-line block ×3, first 2 shown]
	v_mov_b64_e32 v[10:11], 0
	v_mov_b64_e32 v[14:15], 0
	;; [unrolled: 1-line block ×7, first 2 shown]
	s_branch .LBB416_8
.LBB416_7:                              ;   in Loop: Header=BB416_8 Depth=1
	s_or_b64 exec, exec, s[2:3]
	ds_write_b128 v29, v[0:3]
	s_waitcnt lgkmcnt(0)
	s_barrier
	ds_read_b128 v[0:3], v30
	ds_read_b128 v[36:39], v31
	ds_read_b128 v[40:43], v31 offset:16
	ds_read_b128 v[44:47], v31 offset:32
	;; [unrolled: 1-line block ×4, first 2 shown]
	s_waitcnt lgkmcnt(4)
	v_mul_f64 v[56:57], v[38:39], v[2:3]
	v_fma_f64 v[56:57], v[36:37], v[0:1], -v[56:57]
	v_mul_f64 v[58:59], v[36:37], v[2:3]
	v_fmac_f64_e32 v[58:59], v[38:39], v[0:1]
	v_add_f64 v[56:57], v[20:21], v[56:57]
	s_waitcnt lgkmcnt(0)
	v_mul_f64 v[20:21], v[38:39], v[54:55]
	v_add_f64 v[58:59], v[58:59], v[22:23]
	v_fma_f64 v[60:61], v[36:37], v[52:53], -v[20:21]
	ds_read_b128 v[20:23], v31 offset:2048
	v_mul_f64 v[36:37], v[36:37], v[54:55]
	v_fmac_f64_e32 v[36:37], v[38:39], v[52:53]
	v_add_f64 v[38:39], v[16:17], v[60:61]
	v_add_f64 v[36:37], v[36:37], v[18:19]
	ds_read_b128 v[16:19], v31 offset:2064
	s_waitcnt lgkmcnt(1)
	v_mul_f64 v[60:61], v[22:23], v[2:3]
	v_mul_f64 v[2:3], v[20:21], v[2:3]
	v_fma_f64 v[60:61], v[20:21], v[0:1], -v[60:61]
	v_fmac_f64_e32 v[2:3], v[22:23], v[0:1]
	v_mul_f64 v[0:1], v[22:23], v[54:55]
	v_add_f64 v[12:13], v[12:13], v[60:61]
	v_add_f64 v[14:15], v[2:3], v[14:15]
	v_fma_f64 v[60:61], v[20:21], v[52:53], -v[0:1]
	v_mul_f64 v[20:21], v[20:21], v[54:55]
	ds_read_b128 v[0:3], v30 offset:512
	v_fmac_f64_e32 v[20:21], v[22:23], v[52:53]
	v_add_f64 v[22:23], v[10:11], v[60:61]
	v_add_f64 v[20:21], v[20:21], v[8:9]
	ds_read_b128 v[8:11], v30 offset:768
	s_waitcnt lgkmcnt(1)
	v_mul_f64 v[52:53], v[42:43], v[2:3]
	v_fma_f64 v[52:53], v[40:41], v[0:1], -v[52:53]
	v_add_f64 v[52:53], v[56:57], v[52:53]
	v_mul_f64 v[54:55], v[40:41], v[2:3]
	s_waitcnt lgkmcnt(0)
	v_mul_f64 v[56:57], v[42:43], v[10:11]
	v_fma_f64 v[56:57], v[40:41], v[8:9], -v[56:57]
	v_mul_f64 v[40:41], v[40:41], v[10:11]
	v_fmac_f64_e32 v[40:41], v[42:43], v[8:9]
	v_add_f64 v[36:37], v[40:41], v[36:37]
	v_mul_f64 v[40:41], v[18:19], v[2:3]
	v_mul_f64 v[2:3], v[16:17], v[2:3]
	v_fmac_f64_e32 v[54:55], v[42:43], v[0:1]
	v_fma_f64 v[40:41], v[16:17], v[0:1], -v[40:41]
	v_fmac_f64_e32 v[2:3], v[18:19], v[0:1]
	v_mul_f64 v[0:1], v[18:19], v[10:11]
	v_add_f64 v[40:41], v[12:13], v[40:41]
	v_add_f64 v[42:43], v[2:3], v[14:15]
	v_fma_f64 v[12:13], v[16:17], v[8:9], -v[0:1]
	v_mul_f64 v[10:11], v[16:17], v[10:11]
	ds_read_b128 v[0:3], v30 offset:1024
	v_fmac_f64_e32 v[10:11], v[18:19], v[8:9]
	v_add_f64 v[20:21], v[10:11], v[20:21]
	ds_read_b128 v[8:11], v30 offset:1280
	v_add_f64 v[22:23], v[22:23], v[12:13]
	s_waitcnt lgkmcnt(1)
	v_mul_f64 v[12:13], v[46:47], v[2:3]
	v_fma_f64 v[12:13], v[44:45], v[0:1], -v[12:13]
	v_mul_f64 v[14:15], v[44:45], v[2:3]
	v_add_f64 v[54:55], v[54:55], v[58:59]
	v_fmac_f64_e32 v[14:15], v[46:47], v[0:1]
	v_add_f64 v[52:53], v[52:53], v[12:13]
	s_waitcnt lgkmcnt(0)
	v_mul_f64 v[12:13], v[46:47], v[10:11]
	v_add_f64 v[54:55], v[14:15], v[54:55]
	v_fma_f64 v[16:17], v[44:45], v[8:9], -v[12:13]
	ds_read_b128 v[12:15], v31 offset:2080
	v_mul_f64 v[18:19], v[44:45], v[10:11]
	v_add_f64 v[38:39], v[38:39], v[56:57]
	v_fmac_f64_e32 v[18:19], v[46:47], v[8:9]
	v_add_f64 v[38:39], v[38:39], v[16:17]
	v_add_f64 v[36:37], v[18:19], v[36:37]
	ds_read_b128 v[16:19], v31 offset:2096
	s_waitcnt lgkmcnt(1)
	v_mul_f64 v[44:45], v[14:15], v[2:3]
	v_mul_f64 v[2:3], v[12:13], v[2:3]
	v_fma_f64 v[44:45], v[12:13], v[0:1], -v[44:45]
	v_fmac_f64_e32 v[2:3], v[14:15], v[0:1]
	v_mul_f64 v[0:1], v[14:15], v[10:11]
	v_mul_f64 v[10:11], v[12:13], v[10:11]
	v_fmac_f64_e32 v[10:11], v[14:15], v[8:9]
	v_add_f64 v[40:41], v[40:41], v[44:45]
	v_add_f64 v[42:43], v[2:3], v[42:43]
	v_fma_f64 v[44:45], v[12:13], v[8:9], -v[0:1]
	ds_read_b128 v[0:3], v30 offset:1536
	v_add_f64 v[14:15], v[10:11], v[20:21]
	ds_read_b128 v[8:11], v30 offset:1792
	v_add_f64 v[12:13], v[22:23], v[44:45]
	s_add_i32 s5, s5, 8
	s_waitcnt lgkmcnt(1)
	v_mul_f64 v[20:21], v[50:51], v[2:3]
	v_mul_f64 v[22:23], v[48:49], v[2:3]
	s_waitcnt lgkmcnt(0)
	v_mul_f64 v[44:45], v[50:51], v[10:11]
	v_fma_f64 v[44:45], v[48:49], v[8:9], -v[44:45]
	v_add_f64 v[38:39], v[38:39], v[44:45]
	v_mul_f64 v[44:45], v[18:19], v[2:3]
	v_mul_f64 v[2:3], v[16:17], v[2:3]
	v_fma_f64 v[20:21], v[48:49], v[0:1], -v[20:21]
	v_fmac_f64_e32 v[22:23], v[50:51], v[0:1]
	v_fma_f64 v[44:45], v[16:17], v[0:1], -v[44:45]
	v_fmac_f64_e32 v[2:3], v[18:19], v[0:1]
	v_mul_f64 v[0:1], v[18:19], v[10:11]
	v_mul_f64 v[46:47], v[48:49], v[10:11]
	v_add_f64 v[40:41], v[40:41], v[44:45]
	v_fma_f64 v[44:45], v[16:17], v[8:9], -v[0:1]
	v_mul_f64 v[16:17], v[16:17], v[10:11]
	v_fmac_f64_e32 v[46:47], v[50:51], v[8:9]
	v_add_f64 v[42:43], v[2:3], v[42:43]
	v_fmac_f64_e32 v[16:17], v[18:19], v[8:9]
	ds_read_b128 v[0:3], v31 offset:64
	ds_read_b128 v[8:11], v30 offset:2048
	v_add_f64 v[36:37], v[46:47], v[36:37]
	v_add_f64 v[44:45], v[12:13], v[44:45]
	;; [unrolled: 1-line block ×3, first 2 shown]
	ds_read_b128 v[12:15], v30 offset:2304
	ds_read_b128 v[16:19], v31 offset:80
	s_waitcnt lgkmcnt(2)
	v_mul_f64 v[48:49], v[2:3], v[10:11]
	v_add_f64 v[20:21], v[52:53], v[20:21]
	v_fma_f64 v[48:49], v[0:1], v[8:9], -v[48:49]
	v_mul_f64 v[50:51], v[0:1], v[10:11]
	v_add_f64 v[22:23], v[22:23], v[54:55]
	v_fmac_f64_e32 v[50:51], v[2:3], v[8:9]
	v_add_f64 v[48:49], v[20:21], v[48:49]
	s_waitcnt lgkmcnt(1)
	v_mul_f64 v[20:21], v[2:3], v[14:15]
	v_add_f64 v[50:51], v[50:51], v[22:23]
	v_fma_f64 v[52:53], v[0:1], v[12:13], -v[20:21]
	ds_read_b128 v[20:23], v31 offset:2112
	v_mul_f64 v[0:1], v[0:1], v[14:15]
	v_fmac_f64_e32 v[0:1], v[2:3], v[12:13]
	v_add_f64 v[38:39], v[38:39], v[52:53]
	v_add_f64 v[36:37], v[0:1], v[36:37]
	ds_read_b128 v[0:3], v31 offset:2128
	s_waitcnt lgkmcnt(1)
	v_mul_f64 v[52:53], v[22:23], v[10:11]
	v_mul_f64 v[10:11], v[20:21], v[10:11]
	v_fma_f64 v[52:53], v[20:21], v[8:9], -v[52:53]
	v_fmac_f64_e32 v[10:11], v[22:23], v[8:9]
	v_mul_f64 v[8:9], v[22:23], v[14:15]
	v_add_f64 v[40:41], v[40:41], v[52:53]
	v_add_f64 v[42:43], v[10:11], v[42:43]
	v_fma_f64 v[52:53], v[20:21], v[12:13], -v[8:9]
	v_mul_f64 v[14:15], v[20:21], v[14:15]
	ds_read_b128 v[8:11], v30 offset:2560
	v_fmac_f64_e32 v[14:15], v[22:23], v[12:13]
	v_add_f64 v[22:23], v[14:15], v[46:47]
	ds_read_b128 v[12:15], v30 offset:2816
	v_add_f64 v[20:21], v[44:45], v[52:53]
	s_waitcnt lgkmcnt(1)
	v_mul_f64 v[44:45], v[18:19], v[10:11]
	v_fma_f64 v[44:45], v[16:17], v[8:9], -v[44:45]
	v_add_f64 v[44:45], v[48:49], v[44:45]
	s_waitcnt lgkmcnt(0)
	v_mul_f64 v[48:49], v[18:19], v[14:15]
	v_mul_f64 v[46:47], v[16:17], v[10:11]
	v_fma_f64 v[48:49], v[16:17], v[12:13], -v[48:49]
	v_mul_f64 v[16:17], v[16:17], v[14:15]
	v_fmac_f64_e32 v[16:17], v[18:19], v[12:13]
	v_add_f64 v[36:37], v[16:17], v[36:37]
	v_mul_f64 v[16:17], v[2:3], v[10:11]
	v_mul_f64 v[10:11], v[0:1], v[10:11]
	v_fmac_f64_e32 v[46:47], v[18:19], v[8:9]
	v_fma_f64 v[16:17], v[0:1], v[8:9], -v[16:17]
	v_fmac_f64_e32 v[10:11], v[2:3], v[8:9]
	v_mul_f64 v[8:9], v[2:3], v[14:15]
	v_mul_f64 v[14:15], v[0:1], v[14:15]
	v_add_f64 v[40:41], v[40:41], v[16:17]
	v_add_f64 v[42:43], v[10:11], v[42:43]
	v_fma_f64 v[16:17], v[0:1], v[12:13], -v[8:9]
	v_fmac_f64_e32 v[14:15], v[2:3], v[12:13]
	ds_read_b128 v[0:3], v31 offset:96
	ds_read_b128 v[8:11], v30 offset:3072
	v_add_f64 v[46:47], v[46:47], v[50:51]
	v_add_f64 v[38:39], v[38:39], v[48:49]
	;; [unrolled: 1-line block ×4, first 2 shown]
	ds_read_b128 v[12:15], v30 offset:3328
	ds_read_b128 v[16:19], v31 offset:112
	s_waitcnt lgkmcnt(2)
	v_mul_f64 v[20:21], v[2:3], v[10:11]
	v_fma_f64 v[20:21], v[0:1], v[8:9], -v[20:21]
	v_mul_f64 v[22:23], v[0:1], v[10:11]
	v_fmac_f64_e32 v[22:23], v[2:3], v[8:9]
	v_add_f64 v[44:45], v[44:45], v[20:21]
	s_waitcnt lgkmcnt(1)
	v_mul_f64 v[20:21], v[2:3], v[14:15]
	v_add_f64 v[46:47], v[22:23], v[46:47]
	v_fma_f64 v[52:53], v[0:1], v[12:13], -v[20:21]
	ds_read_b128 v[20:23], v31 offset:2144
	v_mul_f64 v[0:1], v[0:1], v[14:15]
	v_fmac_f64_e32 v[0:1], v[2:3], v[12:13]
	v_add_f64 v[54:55], v[0:1], v[36:37]
	ds_read_b128 v[0:3], v31 offset:2160
	s_waitcnt lgkmcnt(1)
	v_mul_f64 v[36:37], v[22:23], v[10:11]
	v_mul_f64 v[10:11], v[20:21], v[10:11]
	v_fma_f64 v[36:37], v[20:21], v[8:9], -v[36:37]
	v_fmac_f64_e32 v[10:11], v[22:23], v[8:9]
	v_mul_f64 v[8:9], v[22:23], v[14:15]
	v_add_f64 v[40:41], v[40:41], v[36:37]
	v_add_f64 v[42:43], v[10:11], v[42:43]
	v_fma_f64 v[36:37], v[20:21], v[12:13], -v[8:9]
	ds_read_b128 v[8:11], v30 offset:3584
	v_add_f64 v[52:53], v[38:39], v[52:53]
	v_add_f64 v[48:49], v[48:49], v[36:37]
	ds_read_b128 v[36:39], v30 offset:3840
	v_mul_f64 v[14:15], v[20:21], v[14:15]
	v_fmac_f64_e32 v[14:15], v[22:23], v[12:13]
	s_waitcnt lgkmcnt(1)
	v_mul_f64 v[12:13], v[18:19], v[10:11]
	v_fma_f64 v[12:13], v[16:17], v[8:9], -v[12:13]
	v_add_f64 v[50:51], v[14:15], v[50:51]
	v_mul_f64 v[14:15], v[16:17], v[10:11]
	v_add_f64 v[20:21], v[44:45], v[12:13]
	s_waitcnt lgkmcnt(0)
	v_mul_f64 v[12:13], v[18:19], v[38:39]
	v_fmac_f64_e32 v[14:15], v[18:19], v[8:9]
	v_fma_f64 v[12:13], v[16:17], v[36:37], -v[12:13]
	v_add_f64 v[22:23], v[14:15], v[46:47]
	v_mul_f64 v[14:15], v[16:17], v[38:39]
	v_add_f64 v[16:17], v[52:53], v[12:13]
	v_mul_f64 v[12:13], v[2:3], v[10:11]
	v_mul_f64 v[10:11], v[0:1], v[10:11]
	v_fma_f64 v[12:13], v[0:1], v[8:9], -v[12:13]
	v_fmac_f64_e32 v[10:11], v[2:3], v[8:9]
	v_mul_f64 v[8:9], v[2:3], v[38:39]
	v_fma_f64 v[8:9], v[0:1], v[36:37], -v[8:9]
	v_mul_f64 v[0:1], v[0:1], v[38:39]
	v_fmac_f64_e32 v[14:15], v[18:19], v[36:37]
	v_fmac_f64_e32 v[0:1], v[2:3], v[36:37]
	v_add_f64 v[18:19], v[14:15], v[54:55]
	v_add_f64 v[12:13], v[40:41], v[12:13]
	;; [unrolled: 1-line block ×5, first 2 shown]
	v_lshl_add_u64 v[4:5], v[4:5], 0, s[22:23]
	s_cmp_lt_i32 s5, s7
	v_lshl_add_u64 v[6:7], v[6:7], 0, s[8:9]
	s_barrier
	s_cbranch_scc0 .LBB416_14
.LBB416_8:                              ; =>This Inner Loop Header: Depth=1
	v_add_u32_e32 v0, s5, v27
	v_cmp_le_i32_e64 s[2:3], s7, v0
	s_or_b64 s[2:3], s[24:25], s[2:3]
	s_and_saveexec_b64 s[28:29], s[2:3]
	s_xor_b64 s[2:3], exec, s[28:29]
; %bb.9:                                ;   in Loop: Header=BB416_8 Depth=1
	ds_write_b128 v28, v[32:35]
; %bb.10:                               ;   in Loop: Header=BB416_8 Depth=1
	s_andn2_saveexec_b64 s[2:3], s[2:3]
	s_cbranch_execz .LBB416_12
; %bb.11:                               ;   in Loop: Header=BB416_8 Depth=1
	flat_load_dwordx4 v[0:3], v[4:5]
	s_waitcnt vmcnt(0) lgkmcnt(0)
	ds_write2_b64 v28, v[0:1], v[2:3] offset1:1
.LBB416_12:                             ;   in Loop: Header=BB416_8 Depth=1
	s_or_b64 exec, exec, s[2:3]
	v_add_u32_e32 v0, s5, v26
	v_cmp_gt_i32_e64 s[2:3], s7, v0
	s_and_b64 s[28:29], s[2:3], vcc
	v_mov_b64_e32 v[0:1], 0
	v_mov_b64_e32 v[2:3], 0
	s_and_saveexec_b64 s[2:3], s[28:29]
	s_cbranch_execz .LBB416_7
; %bb.13:                               ;   in Loop: Header=BB416_8 Depth=1
	flat_load_dwordx4 v[0:3], v[6:7]
	s_waitcnt vmcnt(0) lgkmcnt(0)
	v_xor_b32_e32 v3, 0x80000000, v3
	s_branch .LBB416_7
.LBB416_14:
	s_load_dwordx2 s[2:3], s[0:1], 0x68
	s_load_dword s7, s[0:1], 0x60
	v_add_u32_e32 v4, s4, v24
	v_add_u32_e32 v26, s26, v25
	v_cmp_neq_f64_e64 s[0:1], s[10:11], 0
	s_waitcnt lgkmcnt(0)
	s_lshl_b64 s[2:3], s[2:3], 4
	s_add_u32 s4, s14, s2
	s_addc_u32 s5, s15, s3
	s_xor_b64 s[8:9], s[20:21], -1
	v_mad_i64_i32 v[0:1], s[14:15], v26, s7, 0
	s_or_b64 s[0:1], s[0:1], s[8:9]
	v_cmp_gt_i32_e64 s[2:3], s6, v26
	v_lshl_add_u64 v[24:25], v[0:1], 4, s[4:5]
	v_cmp_le_i32_e32 vcc, v4, v26
	v_cndmask_b32_e64 v0, 0, 1, s[0:1]
	s_and_b64 s[14:15], s[2:3], vcc
	v_ashrrev_i32_e32 v5, 31, v4
	v_cmp_ne_u32_e64 s[0:1], 1, v0
	s_and_saveexec_b64 s[8:9], s[14:15]
	s_cbranch_execz .LBB416_18
; %bb.15:
	v_mul_f64 v[0:1], s[18:19], v[22:23]
	v_mul_f64 v[2:3], s[16:17], v[22:23]
	v_fma_f64 v[0:1], s[16:17], v[20:21], -v[0:1]
	v_fmac_f64_e32 v[2:3], s[18:19], v[20:21]
	s_and_b64 vcc, exec, s[0:1]
	v_lshl_add_u64 v[6:7], v[4:5], 4, v[24:25]
	s_cbranch_vccnz .LBB416_17
; %bb.16:
	flat_load_dwordx4 v[20:23], v[6:7]
	s_waitcnt vmcnt(0) lgkmcnt(0)
	v_mul_f64 v[28:29], s[12:13], v[22:23]
	v_mul_f64 v[22:23], s[10:11], v[22:23]
	v_fma_f64 v[28:29], s[10:11], v[20:21], -v[28:29]
	v_fmac_f64_e32 v[22:23], s[12:13], v[20:21]
	v_add_f64 v[0:1], v[0:1], v[28:29]
	v_add_f64 v[2:3], v[2:3], v[22:23]
.LBB416_17:
	flat_store_dwordx4 v[6:7], v[0:3]
.LBB416_18:
	s_or_b64 exec, exec, s[8:9]
	v_add_u32_e32 v6, 16, v4
	v_cmp_le_i32_e32 vcc, v6, v26
	s_and_b64 s[8:9], s[2:3], vcc
	v_ashrrev_i32_e32 v7, 31, v6
	s_and_saveexec_b64 s[2:3], s[8:9]
	s_cbranch_execz .LBB416_22
; %bb.19:
	v_mul_f64 v[0:1], s[18:19], v[18:19]
	v_mul_f64 v[2:3], s[16:17], v[18:19]
	v_fma_f64 v[0:1], s[16:17], v[16:17], -v[0:1]
	v_fmac_f64_e32 v[2:3], s[18:19], v[16:17]
	s_and_b64 vcc, exec, s[0:1]
	v_lshl_add_u64 v[16:17], v[6:7], 4, v[24:25]
	s_cbranch_vccnz .LBB416_21
; %bb.20:
	flat_load_dwordx4 v[18:21], v[16:17]
	s_waitcnt vmcnt(0) lgkmcnt(0)
	v_mul_f64 v[22:23], s[12:13], v[20:21]
	v_mul_f64 v[20:21], s[10:11], v[20:21]
	v_fma_f64 v[22:23], s[10:11], v[18:19], -v[22:23]
	v_fmac_f64_e32 v[20:21], s[12:13], v[18:19]
	v_add_f64 v[0:1], v[0:1], v[22:23]
	v_add_f64 v[2:3], v[2:3], v[20:21]
.LBB416_21:
	flat_store_dwordx4 v[16:17], v[0:3]
.LBB416_22:
	s_or_b64 exec, exec, s[2:3]
	v_add_u32_e32 v18, 16, v26
	v_cmp_gt_i32_e64 s[2:3], s6, v18
	v_mad_i64_i32 v[0:1], s[6:7], v18, s7, 0
	v_cmp_le_i32_e32 vcc, v4, v18
	v_lshl_add_u64 v[16:17], v[0:1], 4, s[4:5]
	s_and_b64 s[6:7], s[2:3], vcc
	s_and_saveexec_b64 s[4:5], s[6:7]
	s_cbranch_execz .LBB416_26
; %bb.23:
	v_mul_f64 v[0:1], s[18:19], v[14:15]
	v_mul_f64 v[2:3], s[16:17], v[14:15]
	v_fma_f64 v[0:1], s[16:17], v[12:13], -v[0:1]
	v_fmac_f64_e32 v[2:3], s[18:19], v[12:13]
	s_and_b64 vcc, exec, s[0:1]
	v_lshl_add_u64 v[4:5], v[4:5], 4, v[16:17]
	s_cbranch_vccnz .LBB416_25
; %bb.24:
	flat_load_dwordx4 v[12:15], v[4:5]
	s_waitcnt vmcnt(0) lgkmcnt(0)
	v_mul_f64 v[20:21], s[12:13], v[14:15]
	v_mul_f64 v[14:15], s[10:11], v[14:15]
	v_fma_f64 v[20:21], s[10:11], v[12:13], -v[20:21]
	v_fmac_f64_e32 v[14:15], s[12:13], v[12:13]
	v_add_f64 v[0:1], v[0:1], v[20:21]
	v_add_f64 v[2:3], v[2:3], v[14:15]
.LBB416_25:
	flat_store_dwordx4 v[4:5], v[0:3]
.LBB416_26:
	s_or_b64 exec, exec, s[4:5]
	v_cmp_le_i32_e32 vcc, v6, v18
	s_and_b64 s[2:3], s[2:3], vcc
	s_and_saveexec_b64 s[4:5], s[2:3]
	s_cbranch_execz .LBB416_30
; %bb.27:
	v_mul_f64 v[0:1], s[18:19], v[8:9]
	v_mul_f64 v[2:3], s[16:17], v[8:9]
	v_fma_f64 v[0:1], s[16:17], v[10:11], -v[0:1]
	v_fmac_f64_e32 v[2:3], s[18:19], v[10:11]
	s_and_b64 vcc, exec, s[0:1]
	v_lshl_add_u64 v[4:5], v[6:7], 4, v[16:17]
	s_cbranch_vccnz .LBB416_29
; %bb.28:
	flat_load_dwordx4 v[6:9], v[4:5]
	s_waitcnt vmcnt(0) lgkmcnt(0)
	v_mul_f64 v[10:11], s[12:13], v[8:9]
	v_mul_f64 v[8:9], s[10:11], v[8:9]
	v_fma_f64 v[10:11], s[10:11], v[6:7], -v[10:11]
	v_fmac_f64_e32 v[8:9], s[12:13], v[6:7]
	v_add_f64 v[0:1], v[0:1], v[10:11]
	v_add_f64 v[2:3], v[2:3], v[8:9]
.LBB416_29:
	flat_store_dwordx4 v[4:5], v[0:3]
.LBB416_30:
	s_endpgm
	.section	.rodata,"a",@progbits
	.p2align	6, 0x0
	.amdhsa_kernel _ZL29rocblas_internal_gemmt_kernelIiLi16ELi32ELi8ELc78ELc67ELc85ELb0ELb1E19rocblas_complex_numIdES1_PKPKS1_PKPS1_EviT_T9_T10_S9_lSB_S9_lSA_T11_S9_li
		.amdhsa_group_segment_fixed_size 8192
		.amdhsa_private_segment_fixed_size 0
		.amdhsa_kernarg_size 116
		.amdhsa_user_sgpr_count 2
		.amdhsa_user_sgpr_dispatch_ptr 0
		.amdhsa_user_sgpr_queue_ptr 0
		.amdhsa_user_sgpr_kernarg_segment_ptr 1
		.amdhsa_user_sgpr_dispatch_id 0
		.amdhsa_user_sgpr_kernarg_preload_length 0
		.amdhsa_user_sgpr_kernarg_preload_offset 0
		.amdhsa_user_sgpr_private_segment_size 0
		.amdhsa_uses_dynamic_stack 0
		.amdhsa_enable_private_segment 0
		.amdhsa_system_sgpr_workgroup_id_x 1
		.amdhsa_system_sgpr_workgroup_id_y 1
		.amdhsa_system_sgpr_workgroup_id_z 1
		.amdhsa_system_sgpr_workgroup_info 0
		.amdhsa_system_vgpr_workitem_id 1
		.amdhsa_next_free_vgpr 62
		.amdhsa_next_free_sgpr 38
		.amdhsa_accum_offset 64
		.amdhsa_reserve_vcc 1
		.amdhsa_float_round_mode_32 0
		.amdhsa_float_round_mode_16_64 0
		.amdhsa_float_denorm_mode_32 3
		.amdhsa_float_denorm_mode_16_64 3
		.amdhsa_dx10_clamp 1
		.amdhsa_ieee_mode 1
		.amdhsa_fp16_overflow 0
		.amdhsa_tg_split 0
		.amdhsa_exception_fp_ieee_invalid_op 0
		.amdhsa_exception_fp_denorm_src 0
		.amdhsa_exception_fp_ieee_div_zero 0
		.amdhsa_exception_fp_ieee_overflow 0
		.amdhsa_exception_fp_ieee_underflow 0
		.amdhsa_exception_fp_ieee_inexact 0
		.amdhsa_exception_int_div_zero 0
	.end_amdhsa_kernel
	.section	.text._ZL29rocblas_internal_gemmt_kernelIiLi16ELi32ELi8ELc78ELc67ELc85ELb0ELb1E19rocblas_complex_numIdES1_PKPKS1_PKPS1_EviT_T9_T10_S9_lSB_S9_lSA_T11_S9_li,"axG",@progbits,_ZL29rocblas_internal_gemmt_kernelIiLi16ELi32ELi8ELc78ELc67ELc85ELb0ELb1E19rocblas_complex_numIdES1_PKPKS1_PKPS1_EviT_T9_T10_S9_lSB_S9_lSA_T11_S9_li,comdat
.Lfunc_end416:
	.size	_ZL29rocblas_internal_gemmt_kernelIiLi16ELi32ELi8ELc78ELc67ELc85ELb0ELb1E19rocblas_complex_numIdES1_PKPKS1_PKPS1_EviT_T9_T10_S9_lSB_S9_lSA_T11_S9_li, .Lfunc_end416-_ZL29rocblas_internal_gemmt_kernelIiLi16ELi32ELi8ELc78ELc67ELc85ELb0ELb1E19rocblas_complex_numIdES1_PKPKS1_PKPS1_EviT_T9_T10_S9_lSB_S9_lSA_T11_S9_li
                                        ; -- End function
	.set _ZL29rocblas_internal_gemmt_kernelIiLi16ELi32ELi8ELc78ELc67ELc85ELb0ELb1E19rocblas_complex_numIdES1_PKPKS1_PKPS1_EviT_T9_T10_S9_lSB_S9_lSA_T11_S9_li.num_vgpr, 62
	.set _ZL29rocblas_internal_gemmt_kernelIiLi16ELi32ELi8ELc78ELc67ELc85ELb0ELb1E19rocblas_complex_numIdES1_PKPKS1_PKPS1_EviT_T9_T10_S9_lSB_S9_lSA_T11_S9_li.num_agpr, 0
	.set _ZL29rocblas_internal_gemmt_kernelIiLi16ELi32ELi8ELc78ELc67ELc85ELb0ELb1E19rocblas_complex_numIdES1_PKPKS1_PKPS1_EviT_T9_T10_S9_lSB_S9_lSA_T11_S9_li.numbered_sgpr, 38
	.set _ZL29rocblas_internal_gemmt_kernelIiLi16ELi32ELi8ELc78ELc67ELc85ELb0ELb1E19rocblas_complex_numIdES1_PKPKS1_PKPS1_EviT_T9_T10_S9_lSB_S9_lSA_T11_S9_li.num_named_barrier, 0
	.set _ZL29rocblas_internal_gemmt_kernelIiLi16ELi32ELi8ELc78ELc67ELc85ELb0ELb1E19rocblas_complex_numIdES1_PKPKS1_PKPS1_EviT_T9_T10_S9_lSB_S9_lSA_T11_S9_li.private_seg_size, 0
	.set _ZL29rocblas_internal_gemmt_kernelIiLi16ELi32ELi8ELc78ELc67ELc85ELb0ELb1E19rocblas_complex_numIdES1_PKPKS1_PKPS1_EviT_T9_T10_S9_lSB_S9_lSA_T11_S9_li.uses_vcc, 1
	.set _ZL29rocblas_internal_gemmt_kernelIiLi16ELi32ELi8ELc78ELc67ELc85ELb0ELb1E19rocblas_complex_numIdES1_PKPKS1_PKPS1_EviT_T9_T10_S9_lSB_S9_lSA_T11_S9_li.uses_flat_scratch, 0
	.set _ZL29rocblas_internal_gemmt_kernelIiLi16ELi32ELi8ELc78ELc67ELc85ELb0ELb1E19rocblas_complex_numIdES1_PKPKS1_PKPS1_EviT_T9_T10_S9_lSB_S9_lSA_T11_S9_li.has_dyn_sized_stack, 0
	.set _ZL29rocblas_internal_gemmt_kernelIiLi16ELi32ELi8ELc78ELc67ELc85ELb0ELb1E19rocblas_complex_numIdES1_PKPKS1_PKPS1_EviT_T9_T10_S9_lSB_S9_lSA_T11_S9_li.has_recursion, 0
	.set _ZL29rocblas_internal_gemmt_kernelIiLi16ELi32ELi8ELc78ELc67ELc85ELb0ELb1E19rocblas_complex_numIdES1_PKPKS1_PKPS1_EviT_T9_T10_S9_lSB_S9_lSA_T11_S9_li.has_indirect_call, 0
	.section	.AMDGPU.csdata,"",@progbits
; Kernel info:
; codeLenInByte = 3112
; TotalNumSgprs: 44
; NumVgprs: 62
; NumAgprs: 0
; TotalNumVgprs: 62
; ScratchSize: 0
; MemoryBound: 1
; FloatMode: 240
; IeeeMode: 1
; LDSByteSize: 8192 bytes/workgroup (compile time only)
; SGPRBlocks: 5
; VGPRBlocks: 7
; NumSGPRsForWavesPerEU: 44
; NumVGPRsForWavesPerEU: 62
; AccumOffset: 64
; Occupancy: 8
; WaveLimiterHint : 1
; COMPUTE_PGM_RSRC2:SCRATCH_EN: 0
; COMPUTE_PGM_RSRC2:USER_SGPR: 2
; COMPUTE_PGM_RSRC2:TRAP_HANDLER: 0
; COMPUTE_PGM_RSRC2:TGID_X_EN: 1
; COMPUTE_PGM_RSRC2:TGID_Y_EN: 1
; COMPUTE_PGM_RSRC2:TGID_Z_EN: 1
; COMPUTE_PGM_RSRC2:TIDIG_COMP_CNT: 1
; COMPUTE_PGM_RSRC3_GFX90A:ACCUM_OFFSET: 15
; COMPUTE_PGM_RSRC3_GFX90A:TG_SPLIT: 0
	.section	.text._ZL29rocblas_internal_gemmt_kernelIiLi16ELi32ELi8ELc84ELc78ELc85ELb0ELb0E19rocblas_complex_numIdES1_PKPKS1_PKPS1_EviT_T9_T10_S9_lSB_S9_lSA_T11_S9_li,"axG",@progbits,_ZL29rocblas_internal_gemmt_kernelIiLi16ELi32ELi8ELc84ELc78ELc85ELb0ELb0E19rocblas_complex_numIdES1_PKPKS1_PKPS1_EviT_T9_T10_S9_lSB_S9_lSA_T11_S9_li,comdat
	.globl	_ZL29rocblas_internal_gemmt_kernelIiLi16ELi32ELi8ELc84ELc78ELc85ELb0ELb0E19rocblas_complex_numIdES1_PKPKS1_PKPS1_EviT_T9_T10_S9_lSB_S9_lSA_T11_S9_li ; -- Begin function _ZL29rocblas_internal_gemmt_kernelIiLi16ELi32ELi8ELc84ELc78ELc85ELb0ELb0E19rocblas_complex_numIdES1_PKPKS1_PKPS1_EviT_T9_T10_S9_lSB_S9_lSA_T11_S9_li
	.p2align	8
	.type	_ZL29rocblas_internal_gemmt_kernelIiLi16ELi32ELi8ELc84ELc78ELc85ELb0ELb0E19rocblas_complex_numIdES1_PKPKS1_PKPS1_EviT_T9_T10_S9_lSB_S9_lSA_T11_S9_li,@function
_ZL29rocblas_internal_gemmt_kernelIiLi16ELi32ELi8ELc84ELc78ELc85ELb0ELb0E19rocblas_complex_numIdES1_PKPKS1_PKPS1_EviT_T9_T10_S9_lSB_S9_lSA_T11_S9_li: ; @_ZL29rocblas_internal_gemmt_kernelIiLi16ELi32ELi8ELc84ELc78ELc85ELb0ELb0E19rocblas_complex_numIdES1_PKPKS1_PKPS1_EviT_T9_T10_S9_lSB_S9_lSA_T11_S9_li
; %bb.0:
	s_load_dwordx8 s[8:15], s[0:1], 0x40
	s_load_dwordx2 s[6:7], s[0:1], 0x0
	s_load_dwordx4 s[16:19], s[0:1], 0x8
	s_mov_b64 s[22:23], 0
	s_waitcnt lgkmcnt(0)
	v_cmp_eq_f64_e64 s[24:25], s[10:11], 1.0
	v_cmp_eq_f64_e64 s[20:21], s[12:13], 0
	s_and_b64 s[24:25], s[24:25], s[20:21]
	s_andn2_b64 vcc, exec, s[24:25]
	s_mov_b64 s[24:25], -1
	s_cbranch_vccnz .LBB417_4
; %bb.1:
	s_cmp_lg_u32 s7, 0
	s_cbranch_scc0 .LBB417_3
; %bb.2:
	v_cmp_neq_f64_e64 s[22:23], s[16:17], 0
	v_cmp_neq_f64_e64 s[24:25], s[18:19], 0
	s_or_b64 s[22:23], s[22:23], s[24:25]
.LBB417_3:
	s_mov_b64 s[24:25], s[22:23]
.LBB417_4:
	s_and_b64 vcc, exec, s[24:25]
	s_cbranch_vccz .LBB417_32
; %bb.5:
	s_mov_b32 s5, 0
	s_lshl_b64 s[22:23], s[4:5], 3
	s_add_u32 s14, s14, s22
	s_addc_u32 s15, s15, s23
	s_lshl_b32 s4, s2, 5
	s_lshl_b32 s26, s3, 5
	v_cmp_eq_f64_e64 s[2:3], s[16:17], 0
	v_cmp_eq_f64_e64 s[24:25], s[18:19], 0
	s_load_dwordx2 s[14:15], s[14:15], 0x0
	s_and_b64 s[2:3], s[2:3], s[24:25]
	s_cmp_lt_i32 s7, 1
	s_cselect_b64 s[24:25], -1, 0
	s_or_b64 s[2:3], s[2:3], s[24:25]
	v_and_b32_e32 v24, 0x3ff, v0
	v_bfe_u32 v25, v0, 10, 10
	v_mov_b64_e32 v[20:21], 0
	s_and_b64 vcc, exec, s[2:3]
	v_mov_b64_e32 v[22:23], 0
	v_mov_b64_e32 v[16:17], 0
	;; [unrolled: 1-line block ×7, first 2 shown]
	s_cbranch_vccnz .LBB417_16
; %bb.6:
	s_load_dwordx2 s[2:3], s[0:1], 0x18
	s_load_dword s27, s[0:1], 0x20
	s_load_dwordx4 s[28:31], s[0:1], 0x28
	s_load_dword s33, s[0:1], 0x38
	v_lshl_add_u32 v0, v25, 4, v24
	v_lshrrev_b32_e32 v27, 5, v0
	v_lshrrev_b32_e32 v1, 3, v0
	v_and_b32_e32 v0, 31, v0
	s_waitcnt lgkmcnt(0)
	s_add_u32 s24, s30, s22
	v_or_b32_e32 v2, s4, v0
	s_addc_u32 s25, s31, s23
	v_and_b32_e32 v26, 7, v24
	s_add_u32 s2, s2, s22
	v_cmp_gt_i32_e32 vcc, s6, v2
	v_lshlrev_b32_e32 v2, 4, v0
	s_addc_u32 s3, s3, s23
	v_lshl_or_b32 v28, v27, 9, v2
	v_lshlrev_b32_e32 v2, 4, v26
	v_add_u32_e32 v3, s26, v1
	s_load_dwordx2 s[22:23], s[2:3], 0x0
	v_lshl_or_b32 v1, v1, 7, v2
	v_add_u32_e32 v29, 0x1000, v1
	v_mov_b32_e32 v1, 0x1000
	v_add_u32_e32 v0, s4, v0
	v_lshl_add_u32 v31, v25, 7, v1
	v_mad_i64_i32 v[0:1], s[30:31], s27, v0, 0
	s_lshl_b64 s[28:29], s[28:29], 4
	s_load_dwordx2 s[24:25], s[24:25], 0x0
	v_lshl_add_u64 v[4:5], v[0:1], 4, s[28:29]
	v_lshlrev_b32_e32 v0, 4, v27
	v_mov_b32_e32 v1, 0
	v_lshl_add_u64 v[4:5], v[4:5], 0, v[0:1]
	s_waitcnt lgkmcnt(0)
	v_lshl_add_u64 v[4:5], s[22:23], 0, v[4:5]
	v_mad_i64_i32 v[6:7], s[22:23], s33, v3, 0
	s_lshl_b64 s[8:9], s[8:9], 4
	v_cmp_gt_i32_e64 s[2:3], s6, v3
	v_lshl_add_u64 v[6:7], v[6:7], 4, s[8:9]
	v_mov_b32_e32 v3, v1
	v_lshl_add_u64 v[2:3], v[6:7], 0, v[2:3]
	v_lshlrev_b32_e32 v30, 4, v24
	v_lshl_add_u64 v[6:7], s[24:25], 0, v[2:3]
	v_mov_b64_e32 v[8:9], 0
	s_xor_b64 s[8:9], vcc, -1
	s_xor_b64 s[2:3], s[2:3], -1
	s_mov_b64 s[22:23], 0x80
	v_mov_b32_e32 v0, v1
	v_mov_b32_e32 v2, v1
	;; [unrolled: 1-line block ×3, first 2 shown]
	v_mov_b64_e32 v[10:11], 0
	v_mov_b64_e32 v[14:15], 0
	;; [unrolled: 1-line block ×7, first 2 shown]
	s_branch .LBB417_8
.LBB417_7:                              ;   in Loop: Header=BB417_8 Depth=1
	s_or_b64 exec, exec, s[24:25]
	s_waitcnt lgkmcnt(0)
	s_barrier
	ds_read_b128 v[32:35], v30
	ds_read_b128 v[36:39], v31
	ds_read_b128 v[40:43], v31 offset:16
	ds_read_b128 v[44:47], v31 offset:32
	;; [unrolled: 1-line block ×4, first 2 shown]
	s_waitcnt lgkmcnt(4)
	v_mul_f64 v[56:57], v[38:39], v[34:35]
	v_fma_f64 v[56:57], v[36:37], v[32:33], -v[56:57]
	v_mul_f64 v[58:59], v[36:37], v[34:35]
	v_fmac_f64_e32 v[58:59], v[38:39], v[32:33]
	v_add_f64 v[56:57], v[20:21], v[56:57]
	s_waitcnt lgkmcnt(0)
	v_mul_f64 v[20:21], v[38:39], v[54:55]
	v_add_f64 v[58:59], v[58:59], v[22:23]
	v_fma_f64 v[60:61], v[36:37], v[52:53], -v[20:21]
	ds_read_b128 v[20:23], v31 offset:2048
	v_mul_f64 v[36:37], v[36:37], v[54:55]
	v_fmac_f64_e32 v[36:37], v[38:39], v[52:53]
	v_add_f64 v[38:39], v[16:17], v[60:61]
	v_add_f64 v[36:37], v[36:37], v[18:19]
	ds_read_b128 v[16:19], v31 offset:2064
	s_waitcnt lgkmcnt(1)
	v_mul_f64 v[60:61], v[22:23], v[34:35]
	v_fma_f64 v[60:61], v[20:21], v[32:33], -v[60:61]
	v_mul_f64 v[34:35], v[20:21], v[34:35]
	v_fmac_f64_e32 v[34:35], v[22:23], v[32:33]
	v_add_f64 v[32:33], v[12:13], v[60:61]
	v_mul_f64 v[12:13], v[22:23], v[54:55]
	v_add_f64 v[34:35], v[34:35], v[14:15]
	v_fma_f64 v[60:61], v[20:21], v[52:53], -v[12:13]
	v_mul_f64 v[20:21], v[20:21], v[54:55]
	ds_read_b128 v[12:15], v30 offset:512
	v_fmac_f64_e32 v[20:21], v[22:23], v[52:53]
	v_add_f64 v[22:23], v[10:11], v[60:61]
	v_add_f64 v[20:21], v[20:21], v[8:9]
	ds_read_b128 v[8:11], v30 offset:768
	s_waitcnt lgkmcnt(1)
	v_mul_f64 v[52:53], v[42:43], v[14:15]
	v_fma_f64 v[52:53], v[40:41], v[12:13], -v[52:53]
	v_add_f64 v[52:53], v[56:57], v[52:53]
	v_mul_f64 v[54:55], v[40:41], v[14:15]
	s_waitcnt lgkmcnt(0)
	v_mul_f64 v[56:57], v[42:43], v[10:11]
	v_fma_f64 v[56:57], v[40:41], v[8:9], -v[56:57]
	v_mul_f64 v[40:41], v[40:41], v[10:11]
	v_fmac_f64_e32 v[40:41], v[42:43], v[8:9]
	v_add_f64 v[36:37], v[40:41], v[36:37]
	v_mul_f64 v[40:41], v[18:19], v[14:15]
	v_mul_f64 v[14:15], v[16:17], v[14:15]
	v_fmac_f64_e32 v[54:55], v[42:43], v[12:13]
	v_fma_f64 v[40:41], v[16:17], v[12:13], -v[40:41]
	v_fmac_f64_e32 v[14:15], v[18:19], v[12:13]
	v_mul_f64 v[12:13], v[18:19], v[10:11]
	v_add_f64 v[42:43], v[14:15], v[34:35]
	v_fma_f64 v[14:15], v[16:17], v[8:9], -v[12:13]
	v_mul_f64 v[16:17], v[16:17], v[10:11]
	ds_read_b128 v[10:13], v30 offset:1024
	v_fmac_f64_e32 v[16:17], v[18:19], v[8:9]
	v_add_f64 v[38:39], v[38:39], v[56:57]
	v_add_f64 v[22:23], v[22:23], v[14:15]
	;; [unrolled: 1-line block ×3, first 2 shown]
	ds_read_b128 v[14:17], v30 offset:1280
	s_waitcnt lgkmcnt(1)
	v_mul_f64 v[18:19], v[44:45], v[12:13]
	v_add_f64 v[54:55], v[54:55], v[58:59]
	v_fmac_f64_e32 v[18:19], v[46:47], v[10:11]
	v_add_f64 v[54:55], v[18:19], v[54:55]
	ds_read_b128 v[18:21], v31 offset:2080
	v_mul_f64 v[8:9], v[46:47], v[12:13]
	v_fma_f64 v[8:9], v[44:45], v[10:11], -v[8:9]
	v_add_f64 v[40:41], v[32:33], v[40:41]
	v_add_f64 v[52:53], v[52:53], v[8:9]
	s_waitcnt lgkmcnt(1)
	v_mul_f64 v[8:9], v[46:47], v[16:17]
	v_mul_f64 v[32:33], v[44:45], v[16:17]
	v_fma_f64 v[8:9], v[44:45], v[14:15], -v[8:9]
	v_fmac_f64_e32 v[32:33], v[46:47], v[14:15]
	v_add_f64 v[38:39], v[38:39], v[8:9]
	v_add_f64 v[36:37], v[32:33], v[36:37]
	ds_read_b128 v[32:35], v31 offset:2096
	s_waitcnt lgkmcnt(1)
	v_mul_f64 v[8:9], v[20:21], v[12:13]
	v_fma_f64 v[8:9], v[18:19], v[10:11], -v[8:9]
	v_mul_f64 v[12:13], v[18:19], v[12:13]
	v_fmac_f64_e32 v[12:13], v[20:21], v[10:11]
	v_add_f64 v[40:41], v[40:41], v[8:9]
	v_mul_f64 v[8:9], v[20:21], v[16:17]
	v_add_f64 v[42:43], v[12:13], v[42:43]
	v_fma_f64 v[12:13], v[18:19], v[14:15], -v[8:9]
	ds_read_b128 v[8:11], v30 offset:1536
	v_mul_f64 v[16:17], v[18:19], v[16:17]
	v_fmac_f64_e32 v[16:17], v[20:21], v[14:15]
	v_add_f64 v[18:19], v[22:23], v[12:13]
	ds_read_b128 v[12:15], v30 offset:1792
	s_waitcnt lgkmcnt(1)
	v_mul_f64 v[20:21], v[50:51], v[10:11]
	v_fma_f64 v[20:21], v[48:49], v[8:9], -v[20:21]
	v_mul_f64 v[22:23], v[48:49], v[10:11]
	v_fmac_f64_e32 v[22:23], v[50:51], v[8:9]
	v_add_f64 v[44:45], v[52:53], v[20:21]
	s_waitcnt lgkmcnt(0)
	v_mul_f64 v[20:21], v[50:51], v[14:15]
	v_add_f64 v[46:47], v[22:23], v[54:55]
	v_fma_f64 v[20:21], v[48:49], v[12:13], -v[20:21]
	v_mul_f64 v[22:23], v[48:49], v[14:15]
	v_fmac_f64_e32 v[22:23], v[50:51], v[12:13]
	v_add_f64 v[38:39], v[38:39], v[20:21]
	v_mul_f64 v[20:21], v[34:35], v[10:11]
	v_mul_f64 v[10:11], v[32:33], v[10:11]
	v_add_f64 v[36:37], v[22:23], v[36:37]
	v_fma_f64 v[20:21], v[32:33], v[8:9], -v[20:21]
	v_fmac_f64_e32 v[10:11], v[34:35], v[8:9]
	v_mul_f64 v[8:9], v[34:35], v[14:15]
	v_mul_f64 v[22:23], v[32:33], v[14:15]
	v_add_f64 v[40:41], v[40:41], v[20:21]
	v_add_f64 v[42:43], v[10:11], v[42:43]
	v_fma_f64 v[20:21], v[32:33], v[12:13], -v[8:9]
	v_fmac_f64_e32 v[22:23], v[34:35], v[12:13]
	ds_read_b128 v[8:11], v31 offset:64
	ds_read_b128 v[12:15], v30 offset:2048
	v_add_f64 v[16:17], v[16:17], v[56:57]
	v_add_f64 v[48:49], v[18:19], v[20:21]
	;; [unrolled: 1-line block ×3, first 2 shown]
	ds_read_b128 v[16:19], v30 offset:2304
	ds_read_b128 v[20:23], v31 offset:80
	s_waitcnt lgkmcnt(2)
	v_mul_f64 v[32:33], v[10:11], v[14:15]
	v_fma_f64 v[32:33], v[8:9], v[12:13], -v[32:33]
	v_mul_f64 v[34:35], v[8:9], v[14:15]
	v_fmac_f64_e32 v[34:35], v[10:11], v[12:13]
	v_add_f64 v[44:45], v[44:45], v[32:33]
	s_waitcnt lgkmcnt(1)
	v_mul_f64 v[32:33], v[10:11], v[18:19]
	v_add_f64 v[46:47], v[34:35], v[46:47]
	v_fma_f64 v[52:53], v[8:9], v[16:17], -v[32:33]
	ds_read_b128 v[32:35], v31 offset:2112
	v_mul_f64 v[8:9], v[8:9], v[18:19]
	v_fmac_f64_e32 v[8:9], v[10:11], v[16:17]
	v_add_f64 v[38:39], v[38:39], v[52:53]
	v_add_f64 v[36:37], v[8:9], v[36:37]
	ds_read_b128 v[8:11], v31 offset:2128
	s_waitcnt lgkmcnt(1)
	v_mul_f64 v[52:53], v[34:35], v[14:15]
	v_mul_f64 v[14:15], v[32:33], v[14:15]
	v_fma_f64 v[52:53], v[32:33], v[12:13], -v[52:53]
	v_fmac_f64_e32 v[14:15], v[34:35], v[12:13]
	v_mul_f64 v[12:13], v[34:35], v[18:19]
	v_add_f64 v[40:41], v[40:41], v[52:53]
	v_add_f64 v[42:43], v[14:15], v[42:43]
	v_fma_f64 v[52:53], v[32:33], v[16:17], -v[12:13]
	v_mul_f64 v[18:19], v[32:33], v[18:19]
	ds_read_b128 v[12:15], v30 offset:2560
	v_fmac_f64_e32 v[18:19], v[34:35], v[16:17]
	v_add_f64 v[34:35], v[18:19], v[50:51]
	ds_read_b128 v[16:19], v30 offset:2816
	v_add_f64 v[32:33], v[48:49], v[52:53]
	s_waitcnt lgkmcnt(1)
	v_mul_f64 v[48:49], v[22:23], v[14:15]
	v_fma_f64 v[48:49], v[20:21], v[12:13], -v[48:49]
	v_add_f64 v[44:45], v[44:45], v[48:49]
	s_waitcnt lgkmcnt(0)
	v_mul_f64 v[48:49], v[22:23], v[18:19]
	v_mul_f64 v[50:51], v[20:21], v[14:15]
	v_fma_f64 v[48:49], v[20:21], v[16:17], -v[48:49]
	v_mul_f64 v[20:21], v[20:21], v[18:19]
	v_fmac_f64_e32 v[20:21], v[22:23], v[16:17]
	v_add_f64 v[36:37], v[20:21], v[36:37]
	v_mul_f64 v[20:21], v[10:11], v[14:15]
	v_mul_f64 v[14:15], v[8:9], v[14:15]
	v_fmac_f64_e32 v[50:51], v[22:23], v[12:13]
	v_fma_f64 v[20:21], v[8:9], v[12:13], -v[20:21]
	v_fmac_f64_e32 v[14:15], v[10:11], v[12:13]
	v_mul_f64 v[12:13], v[10:11], v[18:19]
	v_mul_f64 v[18:19], v[8:9], v[18:19]
	v_add_f64 v[40:41], v[40:41], v[20:21]
	v_add_f64 v[42:43], v[14:15], v[42:43]
	v_fma_f64 v[20:21], v[8:9], v[16:17], -v[12:13]
	v_fmac_f64_e32 v[18:19], v[10:11], v[16:17]
	ds_read_b128 v[8:11], v31 offset:96
	ds_read_b128 v[12:15], v30 offset:3072
	v_add_f64 v[46:47], v[50:51], v[46:47]
	v_add_f64 v[38:39], v[38:39], v[48:49]
	;; [unrolled: 1-line block ×4, first 2 shown]
	ds_read_b128 v[16:19], v30 offset:3328
	ds_read_b128 v[32:35], v31 offset:112
	s_waitcnt lgkmcnt(2)
	v_mul_f64 v[20:21], v[10:11], v[14:15]
	v_fma_f64 v[20:21], v[8:9], v[12:13], -v[20:21]
	v_mul_f64 v[22:23], v[8:9], v[14:15]
	v_fmac_f64_e32 v[22:23], v[10:11], v[12:13]
	v_add_f64 v[44:45], v[44:45], v[20:21]
	s_waitcnt lgkmcnt(1)
	v_mul_f64 v[20:21], v[10:11], v[18:19]
	v_add_f64 v[46:47], v[22:23], v[46:47]
	v_fma_f64 v[52:53], v[8:9], v[16:17], -v[20:21]
	ds_read_b128 v[20:23], v31 offset:2144
	v_mul_f64 v[8:9], v[8:9], v[18:19]
	v_fmac_f64_e32 v[8:9], v[10:11], v[16:17]
	v_add_f64 v[54:55], v[8:9], v[36:37]
	ds_read_b128 v[8:11], v31 offset:2160
	s_waitcnt lgkmcnt(1)
	v_mul_f64 v[36:37], v[22:23], v[14:15]
	v_mul_f64 v[14:15], v[20:21], v[14:15]
	v_fma_f64 v[36:37], v[20:21], v[12:13], -v[36:37]
	v_fmac_f64_e32 v[14:15], v[22:23], v[12:13]
	v_mul_f64 v[12:13], v[22:23], v[18:19]
	v_add_f64 v[40:41], v[40:41], v[36:37]
	v_add_f64 v[42:43], v[14:15], v[42:43]
	v_fma_f64 v[36:37], v[20:21], v[16:17], -v[12:13]
	ds_read_b128 v[12:15], v30 offset:3584
	v_add_f64 v[52:53], v[38:39], v[52:53]
	v_add_f64 v[48:49], v[48:49], v[36:37]
	ds_read_b128 v[36:39], v30 offset:3840
	v_mul_f64 v[18:19], v[20:21], v[18:19]
	v_fmac_f64_e32 v[18:19], v[22:23], v[16:17]
	s_waitcnt lgkmcnt(1)
	v_mul_f64 v[16:17], v[34:35], v[14:15]
	v_add_f64 v[50:51], v[18:19], v[50:51]
	v_fma_f64 v[16:17], v[32:33], v[12:13], -v[16:17]
	v_mul_f64 v[18:19], v[32:33], v[14:15]
	v_fmac_f64_e32 v[18:19], v[34:35], v[12:13]
	v_add_f64 v[20:21], v[44:45], v[16:17]
	s_waitcnt lgkmcnt(0)
	v_mul_f64 v[16:17], v[34:35], v[38:39]
	v_add_f64 v[22:23], v[18:19], v[46:47]
	v_fma_f64 v[16:17], v[32:33], v[36:37], -v[16:17]
	v_mul_f64 v[18:19], v[32:33], v[38:39]
	v_mul_f64 v[32:33], v[10:11], v[14:15]
	v_fma_f64 v[32:33], v[8:9], v[12:13], -v[32:33]
	v_mul_f64 v[14:15], v[8:9], v[14:15]
	v_fmac_f64_e32 v[14:15], v[10:11], v[12:13]
	v_add_f64 v[12:13], v[40:41], v[32:33]
	v_mul_f64 v[32:33], v[10:11], v[38:39]
	v_fma_f64 v[32:33], v[8:9], v[36:37], -v[32:33]
	v_mul_f64 v[8:9], v[8:9], v[38:39]
	v_fmac_f64_e32 v[18:19], v[34:35], v[36:37]
	v_fmac_f64_e32 v[8:9], v[10:11], v[36:37]
	s_add_i32 s5, s5, 8
	v_add_f64 v[16:17], v[52:53], v[16:17]
	v_add_f64 v[18:19], v[18:19], v[54:55]
	;; [unrolled: 1-line block ×5, first 2 shown]
	v_lshl_add_u64 v[4:5], v[4:5], 0, s[22:23]
	s_cmp_lt_i32 s5, s7
	v_lshl_add_u64 v[6:7], v[6:7], 0, s[22:23]
	s_barrier
	s_cbranch_scc0 .LBB417_16
.LBB417_8:                              ; =>This Inner Loop Header: Depth=1
	v_add_u32_e32 v32, s5, v27
	v_cmp_le_i32_e32 vcc, s7, v32
	s_or_b64 s[24:25], s[8:9], vcc
	s_and_saveexec_b64 s[28:29], s[24:25]
	s_xor_b64 s[24:25], exec, s[28:29]
; %bb.9:                                ;   in Loop: Header=BB417_8 Depth=1
	ds_write_b128 v28, v[0:3]
; %bb.10:                               ;   in Loop: Header=BB417_8 Depth=1
	s_andn2_saveexec_b64 s[24:25], s[24:25]
	s_cbranch_execz .LBB417_12
; %bb.11:                               ;   in Loop: Header=BB417_8 Depth=1
	flat_load_dwordx4 v[32:35], v[4:5]
	s_waitcnt vmcnt(0) lgkmcnt(0)
	ds_write2_b64 v28, v[32:33], v[34:35] offset1:1
.LBB417_12:                             ;   in Loop: Header=BB417_8 Depth=1
	s_or_b64 exec, exec, s[24:25]
	v_add_u32_e32 v32, s5, v26
	v_cmp_le_i32_e32 vcc, s7, v32
	s_or_b64 s[24:25], vcc, s[2:3]
	s_and_saveexec_b64 s[28:29], s[24:25]
	s_xor_b64 s[24:25], exec, s[28:29]
; %bb.13:                               ;   in Loop: Header=BB417_8 Depth=1
	ds_write_b128 v29, v[0:3]
; %bb.14:                               ;   in Loop: Header=BB417_8 Depth=1
	s_andn2_saveexec_b64 s[24:25], s[24:25]
	s_cbranch_execz .LBB417_7
; %bb.15:                               ;   in Loop: Header=BB417_8 Depth=1
	flat_load_dwordx4 v[32:35], v[6:7]
	s_waitcnt vmcnt(0) lgkmcnt(0)
	ds_write2_b64 v29, v[32:33], v[34:35] offset1:1
	s_branch .LBB417_7
.LBB417_16:
	s_load_dwordx2 s[2:3], s[0:1], 0x68
	s_load_dword s7, s[0:1], 0x60
	v_add_u32_e32 v4, s4, v24
	v_add_u32_e32 v26, s26, v25
	v_cmp_neq_f64_e64 s[0:1], s[10:11], 0
	s_waitcnt lgkmcnt(0)
	s_lshl_b64 s[2:3], s[2:3], 4
	s_add_u32 s4, s14, s2
	s_addc_u32 s5, s15, s3
	s_xor_b64 s[8:9], s[20:21], -1
	v_mad_i64_i32 v[0:1], s[14:15], v26, s7, 0
	s_or_b64 s[0:1], s[0:1], s[8:9]
	v_cmp_gt_i32_e64 s[2:3], s6, v26
	v_lshl_add_u64 v[24:25], v[0:1], 4, s[4:5]
	v_cmp_le_i32_e32 vcc, v4, v26
	v_cndmask_b32_e64 v0, 0, 1, s[0:1]
	s_and_b64 s[14:15], s[2:3], vcc
	v_ashrrev_i32_e32 v5, 31, v4
	v_cmp_ne_u32_e64 s[0:1], 1, v0
	s_and_saveexec_b64 s[8:9], s[14:15]
	s_cbranch_execz .LBB417_20
; %bb.17:
	v_mul_f64 v[0:1], s[18:19], v[22:23]
	v_mul_f64 v[2:3], s[16:17], v[22:23]
	v_fma_f64 v[0:1], s[16:17], v[20:21], -v[0:1]
	v_fmac_f64_e32 v[2:3], s[18:19], v[20:21]
	s_and_b64 vcc, exec, s[0:1]
	v_lshl_add_u64 v[6:7], v[4:5], 4, v[24:25]
	s_cbranch_vccnz .LBB417_19
; %bb.18:
	flat_load_dwordx4 v[20:23], v[6:7]
	s_waitcnt vmcnt(0) lgkmcnt(0)
	v_mul_f64 v[28:29], s[12:13], v[22:23]
	v_mul_f64 v[22:23], s[10:11], v[22:23]
	v_fma_f64 v[28:29], s[10:11], v[20:21], -v[28:29]
	v_fmac_f64_e32 v[22:23], s[12:13], v[20:21]
	v_add_f64 v[0:1], v[0:1], v[28:29]
	v_add_f64 v[2:3], v[2:3], v[22:23]
.LBB417_19:
	flat_store_dwordx4 v[6:7], v[0:3]
.LBB417_20:
	s_or_b64 exec, exec, s[8:9]
	v_add_u32_e32 v6, 16, v4
	v_cmp_le_i32_e32 vcc, v6, v26
	s_and_b64 s[8:9], s[2:3], vcc
	v_ashrrev_i32_e32 v7, 31, v6
	s_and_saveexec_b64 s[2:3], s[8:9]
	s_cbranch_execz .LBB417_24
; %bb.21:
	v_mul_f64 v[0:1], s[18:19], v[18:19]
	v_mul_f64 v[2:3], s[16:17], v[18:19]
	v_fma_f64 v[0:1], s[16:17], v[16:17], -v[0:1]
	v_fmac_f64_e32 v[2:3], s[18:19], v[16:17]
	s_and_b64 vcc, exec, s[0:1]
	v_lshl_add_u64 v[16:17], v[6:7], 4, v[24:25]
	s_cbranch_vccnz .LBB417_23
; %bb.22:
	flat_load_dwordx4 v[18:21], v[16:17]
	s_waitcnt vmcnt(0) lgkmcnt(0)
	v_mul_f64 v[22:23], s[12:13], v[20:21]
	v_mul_f64 v[20:21], s[10:11], v[20:21]
	v_fma_f64 v[22:23], s[10:11], v[18:19], -v[22:23]
	v_fmac_f64_e32 v[20:21], s[12:13], v[18:19]
	v_add_f64 v[0:1], v[0:1], v[22:23]
	v_add_f64 v[2:3], v[2:3], v[20:21]
.LBB417_23:
	flat_store_dwordx4 v[16:17], v[0:3]
.LBB417_24:
	s_or_b64 exec, exec, s[2:3]
	v_add_u32_e32 v18, 16, v26
	v_cmp_gt_i32_e64 s[2:3], s6, v18
	v_mad_i64_i32 v[0:1], s[6:7], v18, s7, 0
	v_cmp_le_i32_e32 vcc, v4, v18
	v_lshl_add_u64 v[16:17], v[0:1], 4, s[4:5]
	s_and_b64 s[6:7], s[2:3], vcc
	s_and_saveexec_b64 s[4:5], s[6:7]
	s_cbranch_execz .LBB417_28
; %bb.25:
	v_mul_f64 v[0:1], s[18:19], v[14:15]
	v_mul_f64 v[2:3], s[16:17], v[14:15]
	v_fma_f64 v[0:1], s[16:17], v[12:13], -v[0:1]
	v_fmac_f64_e32 v[2:3], s[18:19], v[12:13]
	s_and_b64 vcc, exec, s[0:1]
	v_lshl_add_u64 v[4:5], v[4:5], 4, v[16:17]
	s_cbranch_vccnz .LBB417_27
; %bb.26:
	flat_load_dwordx4 v[12:15], v[4:5]
	s_waitcnt vmcnt(0) lgkmcnt(0)
	v_mul_f64 v[20:21], s[12:13], v[14:15]
	v_mul_f64 v[14:15], s[10:11], v[14:15]
	v_fma_f64 v[20:21], s[10:11], v[12:13], -v[20:21]
	v_fmac_f64_e32 v[14:15], s[12:13], v[12:13]
	v_add_f64 v[0:1], v[0:1], v[20:21]
	v_add_f64 v[2:3], v[2:3], v[14:15]
.LBB417_27:
	flat_store_dwordx4 v[4:5], v[0:3]
.LBB417_28:
	s_or_b64 exec, exec, s[4:5]
	v_cmp_le_i32_e32 vcc, v6, v18
	s_and_b64 s[2:3], s[2:3], vcc
	s_and_saveexec_b64 s[4:5], s[2:3]
	s_cbranch_execz .LBB417_32
; %bb.29:
	v_mul_f64 v[0:1], s[18:19], v[8:9]
	v_mul_f64 v[2:3], s[16:17], v[8:9]
	v_fma_f64 v[0:1], s[16:17], v[10:11], -v[0:1]
	v_fmac_f64_e32 v[2:3], s[18:19], v[10:11]
	s_and_b64 vcc, exec, s[0:1]
	v_lshl_add_u64 v[4:5], v[6:7], 4, v[16:17]
	s_cbranch_vccnz .LBB417_31
; %bb.30:
	flat_load_dwordx4 v[6:9], v[4:5]
	s_waitcnt vmcnt(0) lgkmcnt(0)
	v_mul_f64 v[10:11], s[12:13], v[8:9]
	v_mul_f64 v[8:9], s[10:11], v[8:9]
	v_fma_f64 v[10:11], s[10:11], v[6:7], -v[10:11]
	v_fmac_f64_e32 v[8:9], s[12:13], v[6:7]
	v_add_f64 v[0:1], v[0:1], v[10:11]
	v_add_f64 v[2:3], v[2:3], v[8:9]
.LBB417_31:
	flat_store_dwordx4 v[4:5], v[0:3]
.LBB417_32:
	s_endpgm
	.section	.rodata,"a",@progbits
	.p2align	6, 0x0
	.amdhsa_kernel _ZL29rocblas_internal_gemmt_kernelIiLi16ELi32ELi8ELc84ELc78ELc85ELb0ELb0E19rocblas_complex_numIdES1_PKPKS1_PKPS1_EviT_T9_T10_S9_lSB_S9_lSA_T11_S9_li
		.amdhsa_group_segment_fixed_size 8192
		.amdhsa_private_segment_fixed_size 0
		.amdhsa_kernarg_size 116
		.amdhsa_user_sgpr_count 2
		.amdhsa_user_sgpr_dispatch_ptr 0
		.amdhsa_user_sgpr_queue_ptr 0
		.amdhsa_user_sgpr_kernarg_segment_ptr 1
		.amdhsa_user_sgpr_dispatch_id 0
		.amdhsa_user_sgpr_kernarg_preload_length 0
		.amdhsa_user_sgpr_kernarg_preload_offset 0
		.amdhsa_user_sgpr_private_segment_size 0
		.amdhsa_uses_dynamic_stack 0
		.amdhsa_enable_private_segment 0
		.amdhsa_system_sgpr_workgroup_id_x 1
		.amdhsa_system_sgpr_workgroup_id_y 1
		.amdhsa_system_sgpr_workgroup_id_z 1
		.amdhsa_system_sgpr_workgroup_info 0
		.amdhsa_system_vgpr_workitem_id 1
		.amdhsa_next_free_vgpr 62
		.amdhsa_next_free_sgpr 34
		.amdhsa_accum_offset 64
		.amdhsa_reserve_vcc 1
		.amdhsa_float_round_mode_32 0
		.amdhsa_float_round_mode_16_64 0
		.amdhsa_float_denorm_mode_32 3
		.amdhsa_float_denorm_mode_16_64 3
		.amdhsa_dx10_clamp 1
		.amdhsa_ieee_mode 1
		.amdhsa_fp16_overflow 0
		.amdhsa_tg_split 0
		.amdhsa_exception_fp_ieee_invalid_op 0
		.amdhsa_exception_fp_denorm_src 0
		.amdhsa_exception_fp_ieee_div_zero 0
		.amdhsa_exception_fp_ieee_overflow 0
		.amdhsa_exception_fp_ieee_underflow 0
		.amdhsa_exception_fp_ieee_inexact 0
		.amdhsa_exception_int_div_zero 0
	.end_amdhsa_kernel
	.section	.text._ZL29rocblas_internal_gemmt_kernelIiLi16ELi32ELi8ELc84ELc78ELc85ELb0ELb0E19rocblas_complex_numIdES1_PKPKS1_PKPS1_EviT_T9_T10_S9_lSB_S9_lSA_T11_S9_li,"axG",@progbits,_ZL29rocblas_internal_gemmt_kernelIiLi16ELi32ELi8ELc84ELc78ELc85ELb0ELb0E19rocblas_complex_numIdES1_PKPKS1_PKPS1_EviT_T9_T10_S9_lSB_S9_lSA_T11_S9_li,comdat
.Lfunc_end417:
	.size	_ZL29rocblas_internal_gemmt_kernelIiLi16ELi32ELi8ELc84ELc78ELc85ELb0ELb0E19rocblas_complex_numIdES1_PKPKS1_PKPS1_EviT_T9_T10_S9_lSB_S9_lSA_T11_S9_li, .Lfunc_end417-_ZL29rocblas_internal_gemmt_kernelIiLi16ELi32ELi8ELc84ELc78ELc85ELb0ELb0E19rocblas_complex_numIdES1_PKPKS1_PKPS1_EviT_T9_T10_S9_lSB_S9_lSA_T11_S9_li
                                        ; -- End function
	.set _ZL29rocblas_internal_gemmt_kernelIiLi16ELi32ELi8ELc84ELc78ELc85ELb0ELb0E19rocblas_complex_numIdES1_PKPKS1_PKPS1_EviT_T9_T10_S9_lSB_S9_lSA_T11_S9_li.num_vgpr, 62
	.set _ZL29rocblas_internal_gemmt_kernelIiLi16ELi32ELi8ELc84ELc78ELc85ELb0ELb0E19rocblas_complex_numIdES1_PKPKS1_PKPS1_EviT_T9_T10_S9_lSB_S9_lSA_T11_S9_li.num_agpr, 0
	.set _ZL29rocblas_internal_gemmt_kernelIiLi16ELi32ELi8ELc84ELc78ELc85ELb0ELb0E19rocblas_complex_numIdES1_PKPKS1_PKPS1_EviT_T9_T10_S9_lSB_S9_lSA_T11_S9_li.numbered_sgpr, 34
	.set _ZL29rocblas_internal_gemmt_kernelIiLi16ELi32ELi8ELc84ELc78ELc85ELb0ELb0E19rocblas_complex_numIdES1_PKPKS1_PKPS1_EviT_T9_T10_S9_lSB_S9_lSA_T11_S9_li.num_named_barrier, 0
	.set _ZL29rocblas_internal_gemmt_kernelIiLi16ELi32ELi8ELc84ELc78ELc85ELb0ELb0E19rocblas_complex_numIdES1_PKPKS1_PKPS1_EviT_T9_T10_S9_lSB_S9_lSA_T11_S9_li.private_seg_size, 0
	.set _ZL29rocblas_internal_gemmt_kernelIiLi16ELi32ELi8ELc84ELc78ELc85ELb0ELb0E19rocblas_complex_numIdES1_PKPKS1_PKPS1_EviT_T9_T10_S9_lSB_S9_lSA_T11_S9_li.uses_vcc, 1
	.set _ZL29rocblas_internal_gemmt_kernelIiLi16ELi32ELi8ELc84ELc78ELc85ELb0ELb0E19rocblas_complex_numIdES1_PKPKS1_PKPS1_EviT_T9_T10_S9_lSB_S9_lSA_T11_S9_li.uses_flat_scratch, 0
	.set _ZL29rocblas_internal_gemmt_kernelIiLi16ELi32ELi8ELc84ELc78ELc85ELb0ELb0E19rocblas_complex_numIdES1_PKPKS1_PKPS1_EviT_T9_T10_S9_lSB_S9_lSA_T11_S9_li.has_dyn_sized_stack, 0
	.set _ZL29rocblas_internal_gemmt_kernelIiLi16ELi32ELi8ELc84ELc78ELc85ELb0ELb0E19rocblas_complex_numIdES1_PKPKS1_PKPS1_EviT_T9_T10_S9_lSB_S9_lSA_T11_S9_li.has_recursion, 0
	.set _ZL29rocblas_internal_gemmt_kernelIiLi16ELi32ELi8ELc84ELc78ELc85ELb0ELb0E19rocblas_complex_numIdES1_PKPKS1_PKPS1_EviT_T9_T10_S9_lSB_S9_lSA_T11_S9_li.has_indirect_call, 0
	.section	.AMDGPU.csdata,"",@progbits
; Kernel info:
; codeLenInByte = 3100
; TotalNumSgprs: 40
; NumVgprs: 62
; NumAgprs: 0
; TotalNumVgprs: 62
; ScratchSize: 0
; MemoryBound: 0
; FloatMode: 240
; IeeeMode: 1
; LDSByteSize: 8192 bytes/workgroup (compile time only)
; SGPRBlocks: 4
; VGPRBlocks: 7
; NumSGPRsForWavesPerEU: 40
; NumVGPRsForWavesPerEU: 62
; AccumOffset: 64
; Occupancy: 8
; WaveLimiterHint : 1
; COMPUTE_PGM_RSRC2:SCRATCH_EN: 0
; COMPUTE_PGM_RSRC2:USER_SGPR: 2
; COMPUTE_PGM_RSRC2:TRAP_HANDLER: 0
; COMPUTE_PGM_RSRC2:TGID_X_EN: 1
; COMPUTE_PGM_RSRC2:TGID_Y_EN: 1
; COMPUTE_PGM_RSRC2:TGID_Z_EN: 1
; COMPUTE_PGM_RSRC2:TIDIG_COMP_CNT: 1
; COMPUTE_PGM_RSRC3_GFX90A:ACCUM_OFFSET: 15
; COMPUTE_PGM_RSRC3_GFX90A:TG_SPLIT: 0
	.section	.text._ZL29rocblas_internal_gemmt_kernelIiLi16ELi32ELi8ELc84ELc84ELc85ELb0ELb0E19rocblas_complex_numIdES1_PKPKS1_PKPS1_EviT_T9_T10_S9_lSB_S9_lSA_T11_S9_li,"axG",@progbits,_ZL29rocblas_internal_gemmt_kernelIiLi16ELi32ELi8ELc84ELc84ELc85ELb0ELb0E19rocblas_complex_numIdES1_PKPKS1_PKPS1_EviT_T9_T10_S9_lSB_S9_lSA_T11_S9_li,comdat
	.globl	_ZL29rocblas_internal_gemmt_kernelIiLi16ELi32ELi8ELc84ELc84ELc85ELb0ELb0E19rocblas_complex_numIdES1_PKPKS1_PKPS1_EviT_T9_T10_S9_lSB_S9_lSA_T11_S9_li ; -- Begin function _ZL29rocblas_internal_gemmt_kernelIiLi16ELi32ELi8ELc84ELc84ELc85ELb0ELb0E19rocblas_complex_numIdES1_PKPKS1_PKPS1_EviT_T9_T10_S9_lSB_S9_lSA_T11_S9_li
	.p2align	8
	.type	_ZL29rocblas_internal_gemmt_kernelIiLi16ELi32ELi8ELc84ELc84ELc85ELb0ELb0E19rocblas_complex_numIdES1_PKPKS1_PKPS1_EviT_T9_T10_S9_lSB_S9_lSA_T11_S9_li,@function
_ZL29rocblas_internal_gemmt_kernelIiLi16ELi32ELi8ELc84ELc84ELc85ELb0ELb0E19rocblas_complex_numIdES1_PKPKS1_PKPS1_EviT_T9_T10_S9_lSB_S9_lSA_T11_S9_li: ; @_ZL29rocblas_internal_gemmt_kernelIiLi16ELi32ELi8ELc84ELc84ELc85ELb0ELb0E19rocblas_complex_numIdES1_PKPKS1_PKPS1_EviT_T9_T10_S9_lSB_S9_lSA_T11_S9_li
; %bb.0:
	s_load_dwordx8 s[8:15], s[0:1], 0x40
	s_load_dwordx2 s[6:7], s[0:1], 0x0
	s_load_dwordx4 s[16:19], s[0:1], 0x8
	s_mov_b64 s[22:23], 0
	s_waitcnt lgkmcnt(0)
	v_cmp_eq_f64_e64 s[24:25], s[10:11], 1.0
	v_cmp_eq_f64_e64 s[20:21], s[12:13], 0
	s_and_b64 s[24:25], s[24:25], s[20:21]
	s_andn2_b64 vcc, exec, s[24:25]
	s_mov_b64 s[24:25], -1
	s_cbranch_vccnz .LBB418_4
; %bb.1:
	s_cmp_lg_u32 s7, 0
	s_cbranch_scc0 .LBB418_3
; %bb.2:
	v_cmp_neq_f64_e64 s[22:23], s[16:17], 0
	v_cmp_neq_f64_e64 s[24:25], s[18:19], 0
	s_or_b64 s[22:23], s[22:23], s[24:25]
.LBB418_3:
	s_mov_b64 s[24:25], s[22:23]
.LBB418_4:
	s_and_b64 vcc, exec, s[24:25]
	s_cbranch_vccz .LBB418_32
; %bb.5:
	s_mov_b32 s5, 0
	s_lshl_b64 s[22:23], s[4:5], 3
	s_add_u32 s14, s14, s22
	s_addc_u32 s15, s15, s23
	s_lshl_b32 s4, s2, 5
	s_lshl_b32 s28, s3, 5
	v_cmp_eq_f64_e64 s[2:3], s[16:17], 0
	v_cmp_eq_f64_e64 s[24:25], s[18:19], 0
	s_load_dwordx2 s[14:15], s[14:15], 0x0
	s_and_b64 s[2:3], s[2:3], s[24:25]
	s_cmp_lt_i32 s7, 1
	s_cselect_b64 s[24:25], -1, 0
	s_or_b64 s[2:3], s[2:3], s[24:25]
	v_and_b32_e32 v24, 0x3ff, v0
	v_bfe_u32 v25, v0, 10, 10
	v_mov_b64_e32 v[20:21], 0
	s_and_b64 vcc, exec, s[2:3]
	v_mov_b64_e32 v[22:23], 0
	v_mov_b64_e32 v[16:17], 0
	;; [unrolled: 1-line block ×7, first 2 shown]
	s_cbranch_vccnz .LBB418_16
; %bb.6:
	s_load_dwordx4 s[24:27], s[0:1], 0x28
	s_load_dword s30, s[0:1], 0x38
	s_load_dwordx2 s[2:3], s[0:1], 0x18
	s_load_dword s29, s[0:1], 0x20
	v_lshl_add_u32 v0, v25, 4, v24
	v_lshrrev_b32_e32 v27, 5, v0
	v_lshrrev_b32_e32 v1, 3, v0
	s_waitcnt lgkmcnt(0)
	s_ashr_i32 s31, s30, 31
	v_and_b32_e32 v0, 31, v0
	s_add_u32 s26, s26, s22
	v_or_b32_e32 v3, s4, v0
	s_addc_u32 s27, s27, s23
	v_and_b32_e32 v26, 7, v24
	s_add_u32 s2, s2, s22
	v_cmp_gt_i32_e32 vcc, s6, v3
	v_lshlrev_b32_e32 v3, 4, v0
	s_addc_u32 s3, s3, s23
	v_lshl_or_b32 v28, v27, 9, v3
	v_lshlrev_b32_e32 v3, 4, v26
	v_add_u32_e32 v2, s28, v1
	s_load_dwordx2 s[22:23], s[2:3], 0x0
	v_lshl_or_b32 v1, v1, 7, v3
	v_add_u32_e32 v29, 0x1000, v1
	v_mov_b32_e32 v1, 0x1000
	v_add_u32_e32 v0, s4, v0
	v_lshl_add_u32 v31, v25, 7, v1
	v_mad_i64_i32 v[0:1], s[34:35], s29, v0, 0
	s_lshl_b64 s[24:25], s[24:25], 4
	s_load_dwordx2 s[26:27], s[26:27], 0x0
	v_lshl_add_u64 v[4:5], v[0:1], 4, s[24:25]
	v_lshlrev_b32_e32 v0, 4, v27
	v_mov_b32_e32 v1, 0
	v_lshl_add_u64 v[4:5], v[4:5], 0, v[0:1]
	s_waitcnt lgkmcnt(0)
	v_lshl_add_u64 v[4:5], s[22:23], 0, v[4:5]
	v_mad_i64_i32 v[6:7], s[22:23], s30, v26, 0
	s_lshl_b64 s[8:9], s[8:9], 4
	v_ashrrev_i32_e32 v3, 31, v2
	v_lshl_add_u64 v[6:7], v[6:7], 4, s[8:9]
	v_cmp_gt_i32_e64 s[2:3], s6, v2
	v_lshl_add_u64 v[2:3], v[2:3], 4, v[6:7]
	v_lshlrev_b32_e32 v30, 4, v24
	v_lshl_add_u64 v[6:7], s[26:27], 0, v[2:3]
	s_lshl_b64 s[8:9], s[30:31], 7
	v_mov_b64_e32 v[8:9], 0
	s_xor_b64 s[22:23], vcc, -1
	s_xor_b64 s[2:3], s[2:3], -1
	s_mov_b64 s[24:25], 0x80
	v_mov_b32_e32 v0, v1
	v_mov_b32_e32 v2, v1
	;; [unrolled: 1-line block ×3, first 2 shown]
	v_mov_b64_e32 v[10:11], 0
	v_mov_b64_e32 v[14:15], 0
	;; [unrolled: 1-line block ×7, first 2 shown]
	s_branch .LBB418_8
.LBB418_7:                              ;   in Loop: Header=BB418_8 Depth=1
	s_or_b64 exec, exec, s[26:27]
	s_waitcnt lgkmcnt(0)
	s_barrier
	ds_read_b128 v[32:35], v30
	ds_read_b128 v[36:39], v31
	ds_read_b128 v[40:43], v31 offset:16
	ds_read_b128 v[44:47], v31 offset:32
	;; [unrolled: 1-line block ×4, first 2 shown]
	s_waitcnt lgkmcnt(4)
	v_mul_f64 v[56:57], v[38:39], v[34:35]
	v_fma_f64 v[56:57], v[36:37], v[32:33], -v[56:57]
	v_mul_f64 v[58:59], v[36:37], v[34:35]
	v_fmac_f64_e32 v[58:59], v[38:39], v[32:33]
	v_add_f64 v[56:57], v[20:21], v[56:57]
	s_waitcnt lgkmcnt(0)
	v_mul_f64 v[20:21], v[38:39], v[54:55]
	v_add_f64 v[58:59], v[58:59], v[22:23]
	v_fma_f64 v[60:61], v[36:37], v[52:53], -v[20:21]
	ds_read_b128 v[20:23], v31 offset:2048
	v_mul_f64 v[36:37], v[36:37], v[54:55]
	v_fmac_f64_e32 v[36:37], v[38:39], v[52:53]
	v_add_f64 v[38:39], v[16:17], v[60:61]
	v_add_f64 v[36:37], v[36:37], v[18:19]
	ds_read_b128 v[16:19], v31 offset:2064
	s_waitcnt lgkmcnt(1)
	v_mul_f64 v[60:61], v[22:23], v[34:35]
	v_fma_f64 v[60:61], v[20:21], v[32:33], -v[60:61]
	v_mul_f64 v[34:35], v[20:21], v[34:35]
	v_fmac_f64_e32 v[34:35], v[22:23], v[32:33]
	v_add_f64 v[32:33], v[12:13], v[60:61]
	v_mul_f64 v[12:13], v[22:23], v[54:55]
	v_add_f64 v[34:35], v[34:35], v[14:15]
	v_fma_f64 v[60:61], v[20:21], v[52:53], -v[12:13]
	v_mul_f64 v[20:21], v[20:21], v[54:55]
	ds_read_b128 v[12:15], v30 offset:512
	v_fmac_f64_e32 v[20:21], v[22:23], v[52:53]
	v_add_f64 v[22:23], v[10:11], v[60:61]
	v_add_f64 v[20:21], v[20:21], v[8:9]
	ds_read_b128 v[8:11], v30 offset:768
	s_waitcnt lgkmcnt(1)
	v_mul_f64 v[52:53], v[42:43], v[14:15]
	v_fma_f64 v[52:53], v[40:41], v[12:13], -v[52:53]
	v_add_f64 v[52:53], v[56:57], v[52:53]
	v_mul_f64 v[54:55], v[40:41], v[14:15]
	s_waitcnt lgkmcnt(0)
	v_mul_f64 v[56:57], v[42:43], v[10:11]
	v_fma_f64 v[56:57], v[40:41], v[8:9], -v[56:57]
	v_mul_f64 v[40:41], v[40:41], v[10:11]
	v_fmac_f64_e32 v[40:41], v[42:43], v[8:9]
	v_add_f64 v[36:37], v[40:41], v[36:37]
	v_mul_f64 v[40:41], v[18:19], v[14:15]
	v_mul_f64 v[14:15], v[16:17], v[14:15]
	v_fmac_f64_e32 v[54:55], v[42:43], v[12:13]
	v_fma_f64 v[40:41], v[16:17], v[12:13], -v[40:41]
	v_fmac_f64_e32 v[14:15], v[18:19], v[12:13]
	v_mul_f64 v[12:13], v[18:19], v[10:11]
	v_add_f64 v[42:43], v[14:15], v[34:35]
	v_fma_f64 v[14:15], v[16:17], v[8:9], -v[12:13]
	v_mul_f64 v[16:17], v[16:17], v[10:11]
	ds_read_b128 v[10:13], v30 offset:1024
	v_fmac_f64_e32 v[16:17], v[18:19], v[8:9]
	v_add_f64 v[38:39], v[38:39], v[56:57]
	v_add_f64 v[22:23], v[22:23], v[14:15]
	;; [unrolled: 1-line block ×3, first 2 shown]
	ds_read_b128 v[14:17], v30 offset:1280
	s_waitcnt lgkmcnt(1)
	v_mul_f64 v[18:19], v[44:45], v[12:13]
	v_add_f64 v[54:55], v[54:55], v[58:59]
	v_fmac_f64_e32 v[18:19], v[46:47], v[10:11]
	v_add_f64 v[54:55], v[18:19], v[54:55]
	ds_read_b128 v[18:21], v31 offset:2080
	v_mul_f64 v[8:9], v[46:47], v[12:13]
	v_fma_f64 v[8:9], v[44:45], v[10:11], -v[8:9]
	v_add_f64 v[40:41], v[32:33], v[40:41]
	v_add_f64 v[52:53], v[52:53], v[8:9]
	s_waitcnt lgkmcnt(1)
	v_mul_f64 v[8:9], v[46:47], v[16:17]
	v_mul_f64 v[32:33], v[44:45], v[16:17]
	v_fma_f64 v[8:9], v[44:45], v[14:15], -v[8:9]
	v_fmac_f64_e32 v[32:33], v[46:47], v[14:15]
	v_add_f64 v[38:39], v[38:39], v[8:9]
	v_add_f64 v[36:37], v[32:33], v[36:37]
	ds_read_b128 v[32:35], v31 offset:2096
	s_waitcnt lgkmcnt(1)
	v_mul_f64 v[8:9], v[20:21], v[12:13]
	v_fma_f64 v[8:9], v[18:19], v[10:11], -v[8:9]
	v_mul_f64 v[12:13], v[18:19], v[12:13]
	v_fmac_f64_e32 v[12:13], v[20:21], v[10:11]
	v_add_f64 v[40:41], v[40:41], v[8:9]
	v_mul_f64 v[8:9], v[20:21], v[16:17]
	v_add_f64 v[42:43], v[12:13], v[42:43]
	v_fma_f64 v[12:13], v[18:19], v[14:15], -v[8:9]
	ds_read_b128 v[8:11], v30 offset:1536
	v_mul_f64 v[16:17], v[18:19], v[16:17]
	v_fmac_f64_e32 v[16:17], v[20:21], v[14:15]
	v_add_f64 v[18:19], v[22:23], v[12:13]
	ds_read_b128 v[12:15], v30 offset:1792
	s_waitcnt lgkmcnt(1)
	v_mul_f64 v[20:21], v[50:51], v[10:11]
	v_fma_f64 v[20:21], v[48:49], v[8:9], -v[20:21]
	v_mul_f64 v[22:23], v[48:49], v[10:11]
	v_fmac_f64_e32 v[22:23], v[50:51], v[8:9]
	v_add_f64 v[44:45], v[52:53], v[20:21]
	s_waitcnt lgkmcnt(0)
	v_mul_f64 v[20:21], v[50:51], v[14:15]
	v_add_f64 v[46:47], v[22:23], v[54:55]
	v_fma_f64 v[20:21], v[48:49], v[12:13], -v[20:21]
	v_mul_f64 v[22:23], v[48:49], v[14:15]
	v_fmac_f64_e32 v[22:23], v[50:51], v[12:13]
	v_add_f64 v[38:39], v[38:39], v[20:21]
	v_mul_f64 v[20:21], v[34:35], v[10:11]
	v_mul_f64 v[10:11], v[32:33], v[10:11]
	v_add_f64 v[36:37], v[22:23], v[36:37]
	v_fma_f64 v[20:21], v[32:33], v[8:9], -v[20:21]
	v_fmac_f64_e32 v[10:11], v[34:35], v[8:9]
	v_mul_f64 v[8:9], v[34:35], v[14:15]
	v_mul_f64 v[22:23], v[32:33], v[14:15]
	v_add_f64 v[40:41], v[40:41], v[20:21]
	v_add_f64 v[42:43], v[10:11], v[42:43]
	v_fma_f64 v[20:21], v[32:33], v[12:13], -v[8:9]
	v_fmac_f64_e32 v[22:23], v[34:35], v[12:13]
	ds_read_b128 v[8:11], v31 offset:64
	ds_read_b128 v[12:15], v30 offset:2048
	v_add_f64 v[16:17], v[16:17], v[56:57]
	v_add_f64 v[48:49], v[18:19], v[20:21]
	;; [unrolled: 1-line block ×3, first 2 shown]
	ds_read_b128 v[16:19], v30 offset:2304
	ds_read_b128 v[20:23], v31 offset:80
	s_waitcnt lgkmcnt(2)
	v_mul_f64 v[32:33], v[10:11], v[14:15]
	v_fma_f64 v[32:33], v[8:9], v[12:13], -v[32:33]
	v_mul_f64 v[34:35], v[8:9], v[14:15]
	v_fmac_f64_e32 v[34:35], v[10:11], v[12:13]
	v_add_f64 v[44:45], v[44:45], v[32:33]
	s_waitcnt lgkmcnt(1)
	v_mul_f64 v[32:33], v[10:11], v[18:19]
	v_add_f64 v[46:47], v[34:35], v[46:47]
	v_fma_f64 v[52:53], v[8:9], v[16:17], -v[32:33]
	ds_read_b128 v[32:35], v31 offset:2112
	v_mul_f64 v[8:9], v[8:9], v[18:19]
	v_fmac_f64_e32 v[8:9], v[10:11], v[16:17]
	v_add_f64 v[38:39], v[38:39], v[52:53]
	v_add_f64 v[36:37], v[8:9], v[36:37]
	ds_read_b128 v[8:11], v31 offset:2128
	s_waitcnt lgkmcnt(1)
	v_mul_f64 v[52:53], v[34:35], v[14:15]
	v_mul_f64 v[14:15], v[32:33], v[14:15]
	v_fma_f64 v[52:53], v[32:33], v[12:13], -v[52:53]
	v_fmac_f64_e32 v[14:15], v[34:35], v[12:13]
	v_mul_f64 v[12:13], v[34:35], v[18:19]
	v_add_f64 v[40:41], v[40:41], v[52:53]
	v_add_f64 v[42:43], v[14:15], v[42:43]
	v_fma_f64 v[52:53], v[32:33], v[16:17], -v[12:13]
	v_mul_f64 v[18:19], v[32:33], v[18:19]
	ds_read_b128 v[12:15], v30 offset:2560
	v_fmac_f64_e32 v[18:19], v[34:35], v[16:17]
	v_add_f64 v[34:35], v[18:19], v[50:51]
	ds_read_b128 v[16:19], v30 offset:2816
	v_add_f64 v[32:33], v[48:49], v[52:53]
	s_waitcnt lgkmcnt(1)
	v_mul_f64 v[48:49], v[22:23], v[14:15]
	v_fma_f64 v[48:49], v[20:21], v[12:13], -v[48:49]
	v_add_f64 v[44:45], v[44:45], v[48:49]
	s_waitcnt lgkmcnt(0)
	v_mul_f64 v[48:49], v[22:23], v[18:19]
	v_mul_f64 v[50:51], v[20:21], v[14:15]
	v_fma_f64 v[48:49], v[20:21], v[16:17], -v[48:49]
	v_mul_f64 v[20:21], v[20:21], v[18:19]
	v_fmac_f64_e32 v[20:21], v[22:23], v[16:17]
	v_add_f64 v[36:37], v[20:21], v[36:37]
	v_mul_f64 v[20:21], v[10:11], v[14:15]
	v_mul_f64 v[14:15], v[8:9], v[14:15]
	v_fmac_f64_e32 v[50:51], v[22:23], v[12:13]
	v_fma_f64 v[20:21], v[8:9], v[12:13], -v[20:21]
	v_fmac_f64_e32 v[14:15], v[10:11], v[12:13]
	v_mul_f64 v[12:13], v[10:11], v[18:19]
	v_mul_f64 v[18:19], v[8:9], v[18:19]
	v_add_f64 v[40:41], v[40:41], v[20:21]
	v_add_f64 v[42:43], v[14:15], v[42:43]
	v_fma_f64 v[20:21], v[8:9], v[16:17], -v[12:13]
	v_fmac_f64_e32 v[18:19], v[10:11], v[16:17]
	ds_read_b128 v[8:11], v31 offset:96
	ds_read_b128 v[12:15], v30 offset:3072
	v_add_f64 v[46:47], v[50:51], v[46:47]
	v_add_f64 v[38:39], v[38:39], v[48:49]
	;; [unrolled: 1-line block ×4, first 2 shown]
	ds_read_b128 v[16:19], v30 offset:3328
	ds_read_b128 v[32:35], v31 offset:112
	s_waitcnt lgkmcnt(2)
	v_mul_f64 v[20:21], v[10:11], v[14:15]
	v_fma_f64 v[20:21], v[8:9], v[12:13], -v[20:21]
	v_mul_f64 v[22:23], v[8:9], v[14:15]
	v_fmac_f64_e32 v[22:23], v[10:11], v[12:13]
	v_add_f64 v[44:45], v[44:45], v[20:21]
	s_waitcnt lgkmcnt(1)
	v_mul_f64 v[20:21], v[10:11], v[18:19]
	v_add_f64 v[46:47], v[22:23], v[46:47]
	v_fma_f64 v[52:53], v[8:9], v[16:17], -v[20:21]
	ds_read_b128 v[20:23], v31 offset:2144
	v_mul_f64 v[8:9], v[8:9], v[18:19]
	v_fmac_f64_e32 v[8:9], v[10:11], v[16:17]
	v_add_f64 v[54:55], v[8:9], v[36:37]
	ds_read_b128 v[8:11], v31 offset:2160
	s_waitcnt lgkmcnt(1)
	v_mul_f64 v[36:37], v[22:23], v[14:15]
	v_mul_f64 v[14:15], v[20:21], v[14:15]
	v_fma_f64 v[36:37], v[20:21], v[12:13], -v[36:37]
	v_fmac_f64_e32 v[14:15], v[22:23], v[12:13]
	v_mul_f64 v[12:13], v[22:23], v[18:19]
	v_add_f64 v[40:41], v[40:41], v[36:37]
	v_add_f64 v[42:43], v[14:15], v[42:43]
	v_fma_f64 v[36:37], v[20:21], v[16:17], -v[12:13]
	ds_read_b128 v[12:15], v30 offset:3584
	v_add_f64 v[52:53], v[38:39], v[52:53]
	v_add_f64 v[48:49], v[48:49], v[36:37]
	ds_read_b128 v[36:39], v30 offset:3840
	v_mul_f64 v[18:19], v[20:21], v[18:19]
	v_fmac_f64_e32 v[18:19], v[22:23], v[16:17]
	s_waitcnt lgkmcnt(1)
	v_mul_f64 v[16:17], v[34:35], v[14:15]
	v_add_f64 v[50:51], v[18:19], v[50:51]
	v_fma_f64 v[16:17], v[32:33], v[12:13], -v[16:17]
	v_mul_f64 v[18:19], v[32:33], v[14:15]
	v_fmac_f64_e32 v[18:19], v[34:35], v[12:13]
	v_add_f64 v[20:21], v[44:45], v[16:17]
	s_waitcnt lgkmcnt(0)
	v_mul_f64 v[16:17], v[34:35], v[38:39]
	v_add_f64 v[22:23], v[18:19], v[46:47]
	v_fma_f64 v[16:17], v[32:33], v[36:37], -v[16:17]
	v_mul_f64 v[18:19], v[32:33], v[38:39]
	v_mul_f64 v[32:33], v[10:11], v[14:15]
	v_fma_f64 v[32:33], v[8:9], v[12:13], -v[32:33]
	v_mul_f64 v[14:15], v[8:9], v[14:15]
	v_fmac_f64_e32 v[14:15], v[10:11], v[12:13]
	v_add_f64 v[12:13], v[40:41], v[32:33]
	v_mul_f64 v[32:33], v[10:11], v[38:39]
	v_fma_f64 v[32:33], v[8:9], v[36:37], -v[32:33]
	v_mul_f64 v[8:9], v[8:9], v[38:39]
	v_fmac_f64_e32 v[18:19], v[34:35], v[36:37]
	v_fmac_f64_e32 v[8:9], v[10:11], v[36:37]
	s_add_i32 s5, s5, 8
	v_add_f64 v[16:17], v[52:53], v[16:17]
	v_add_f64 v[18:19], v[18:19], v[54:55]
	;; [unrolled: 1-line block ×5, first 2 shown]
	v_lshl_add_u64 v[4:5], v[4:5], 0, s[24:25]
	s_cmp_lt_i32 s5, s7
	v_lshl_add_u64 v[6:7], v[6:7], 0, s[8:9]
	s_barrier
	s_cbranch_scc0 .LBB418_16
.LBB418_8:                              ; =>This Inner Loop Header: Depth=1
	v_add_u32_e32 v32, s5, v27
	v_cmp_le_i32_e32 vcc, s7, v32
	s_or_b64 s[26:27], s[22:23], vcc
	s_and_saveexec_b64 s[30:31], s[26:27]
	s_xor_b64 s[26:27], exec, s[30:31]
; %bb.9:                                ;   in Loop: Header=BB418_8 Depth=1
	ds_write_b128 v28, v[0:3]
; %bb.10:                               ;   in Loop: Header=BB418_8 Depth=1
	s_andn2_saveexec_b64 s[26:27], s[26:27]
	s_cbranch_execz .LBB418_12
; %bb.11:                               ;   in Loop: Header=BB418_8 Depth=1
	flat_load_dwordx4 v[32:35], v[4:5]
	s_waitcnt vmcnt(0) lgkmcnt(0)
	ds_write2_b64 v28, v[32:33], v[34:35] offset1:1
.LBB418_12:                             ;   in Loop: Header=BB418_8 Depth=1
	s_or_b64 exec, exec, s[26:27]
	v_add_u32_e32 v32, s5, v26
	v_cmp_le_i32_e32 vcc, s7, v32
	s_or_b64 s[26:27], vcc, s[2:3]
	s_and_saveexec_b64 s[30:31], s[26:27]
	s_xor_b64 s[26:27], exec, s[30:31]
; %bb.13:                               ;   in Loop: Header=BB418_8 Depth=1
	ds_write_b128 v29, v[0:3]
; %bb.14:                               ;   in Loop: Header=BB418_8 Depth=1
	s_andn2_saveexec_b64 s[26:27], s[26:27]
	s_cbranch_execz .LBB418_7
; %bb.15:                               ;   in Loop: Header=BB418_8 Depth=1
	flat_load_dwordx4 v[32:35], v[6:7]
	s_waitcnt vmcnt(0) lgkmcnt(0)
	ds_write2_b64 v29, v[32:33], v[34:35] offset1:1
	s_branch .LBB418_7
.LBB418_16:
	s_load_dwordx2 s[2:3], s[0:1], 0x68
	s_load_dword s7, s[0:1], 0x60
	v_add_u32_e32 v4, s4, v24
	v_add_u32_e32 v26, s28, v25
	v_cmp_neq_f64_e64 s[0:1], s[10:11], 0
	s_waitcnt lgkmcnt(0)
	s_lshl_b64 s[2:3], s[2:3], 4
	s_add_u32 s4, s14, s2
	s_addc_u32 s5, s15, s3
	s_xor_b64 s[8:9], s[20:21], -1
	v_mad_i64_i32 v[0:1], s[14:15], v26, s7, 0
	s_or_b64 s[0:1], s[0:1], s[8:9]
	v_cmp_gt_i32_e64 s[2:3], s6, v26
	v_lshl_add_u64 v[24:25], v[0:1], 4, s[4:5]
	v_cmp_le_i32_e32 vcc, v4, v26
	v_cndmask_b32_e64 v0, 0, 1, s[0:1]
	s_and_b64 s[14:15], s[2:3], vcc
	v_ashrrev_i32_e32 v5, 31, v4
	v_cmp_ne_u32_e64 s[0:1], 1, v0
	s_and_saveexec_b64 s[8:9], s[14:15]
	s_cbranch_execz .LBB418_20
; %bb.17:
	v_mul_f64 v[0:1], s[18:19], v[22:23]
	v_mul_f64 v[2:3], s[16:17], v[22:23]
	v_fma_f64 v[0:1], s[16:17], v[20:21], -v[0:1]
	v_fmac_f64_e32 v[2:3], s[18:19], v[20:21]
	s_and_b64 vcc, exec, s[0:1]
	v_lshl_add_u64 v[6:7], v[4:5], 4, v[24:25]
	s_cbranch_vccnz .LBB418_19
; %bb.18:
	flat_load_dwordx4 v[20:23], v[6:7]
	s_waitcnt vmcnt(0) lgkmcnt(0)
	v_mul_f64 v[28:29], s[12:13], v[22:23]
	v_mul_f64 v[22:23], s[10:11], v[22:23]
	v_fma_f64 v[28:29], s[10:11], v[20:21], -v[28:29]
	v_fmac_f64_e32 v[22:23], s[12:13], v[20:21]
	v_add_f64 v[0:1], v[0:1], v[28:29]
	v_add_f64 v[2:3], v[2:3], v[22:23]
.LBB418_19:
	flat_store_dwordx4 v[6:7], v[0:3]
.LBB418_20:
	s_or_b64 exec, exec, s[8:9]
	v_add_u32_e32 v6, 16, v4
	v_cmp_le_i32_e32 vcc, v6, v26
	s_and_b64 s[8:9], s[2:3], vcc
	v_ashrrev_i32_e32 v7, 31, v6
	s_and_saveexec_b64 s[2:3], s[8:9]
	s_cbranch_execz .LBB418_24
; %bb.21:
	v_mul_f64 v[0:1], s[18:19], v[18:19]
	v_mul_f64 v[2:3], s[16:17], v[18:19]
	v_fma_f64 v[0:1], s[16:17], v[16:17], -v[0:1]
	v_fmac_f64_e32 v[2:3], s[18:19], v[16:17]
	s_and_b64 vcc, exec, s[0:1]
	v_lshl_add_u64 v[16:17], v[6:7], 4, v[24:25]
	s_cbranch_vccnz .LBB418_23
; %bb.22:
	flat_load_dwordx4 v[18:21], v[16:17]
	s_waitcnt vmcnt(0) lgkmcnt(0)
	v_mul_f64 v[22:23], s[12:13], v[20:21]
	v_mul_f64 v[20:21], s[10:11], v[20:21]
	v_fma_f64 v[22:23], s[10:11], v[18:19], -v[22:23]
	v_fmac_f64_e32 v[20:21], s[12:13], v[18:19]
	v_add_f64 v[0:1], v[0:1], v[22:23]
	v_add_f64 v[2:3], v[2:3], v[20:21]
.LBB418_23:
	flat_store_dwordx4 v[16:17], v[0:3]
.LBB418_24:
	s_or_b64 exec, exec, s[2:3]
	v_add_u32_e32 v18, 16, v26
	v_cmp_gt_i32_e64 s[2:3], s6, v18
	v_mad_i64_i32 v[0:1], s[6:7], v18, s7, 0
	v_cmp_le_i32_e32 vcc, v4, v18
	v_lshl_add_u64 v[16:17], v[0:1], 4, s[4:5]
	s_and_b64 s[6:7], s[2:3], vcc
	s_and_saveexec_b64 s[4:5], s[6:7]
	s_cbranch_execz .LBB418_28
; %bb.25:
	v_mul_f64 v[0:1], s[18:19], v[14:15]
	v_mul_f64 v[2:3], s[16:17], v[14:15]
	v_fma_f64 v[0:1], s[16:17], v[12:13], -v[0:1]
	v_fmac_f64_e32 v[2:3], s[18:19], v[12:13]
	s_and_b64 vcc, exec, s[0:1]
	v_lshl_add_u64 v[4:5], v[4:5], 4, v[16:17]
	s_cbranch_vccnz .LBB418_27
; %bb.26:
	flat_load_dwordx4 v[12:15], v[4:5]
	s_waitcnt vmcnt(0) lgkmcnt(0)
	v_mul_f64 v[20:21], s[12:13], v[14:15]
	v_mul_f64 v[14:15], s[10:11], v[14:15]
	v_fma_f64 v[20:21], s[10:11], v[12:13], -v[20:21]
	v_fmac_f64_e32 v[14:15], s[12:13], v[12:13]
	v_add_f64 v[0:1], v[0:1], v[20:21]
	v_add_f64 v[2:3], v[2:3], v[14:15]
.LBB418_27:
	flat_store_dwordx4 v[4:5], v[0:3]
.LBB418_28:
	s_or_b64 exec, exec, s[4:5]
	v_cmp_le_i32_e32 vcc, v6, v18
	s_and_b64 s[2:3], s[2:3], vcc
	s_and_saveexec_b64 s[4:5], s[2:3]
	s_cbranch_execz .LBB418_32
; %bb.29:
	v_mul_f64 v[0:1], s[18:19], v[8:9]
	v_mul_f64 v[2:3], s[16:17], v[8:9]
	v_fma_f64 v[0:1], s[16:17], v[10:11], -v[0:1]
	v_fmac_f64_e32 v[2:3], s[18:19], v[10:11]
	s_and_b64 vcc, exec, s[0:1]
	v_lshl_add_u64 v[4:5], v[6:7], 4, v[16:17]
	s_cbranch_vccnz .LBB418_31
; %bb.30:
	flat_load_dwordx4 v[6:9], v[4:5]
	s_waitcnt vmcnt(0) lgkmcnt(0)
	v_mul_f64 v[10:11], s[12:13], v[8:9]
	v_mul_f64 v[8:9], s[10:11], v[8:9]
	v_fma_f64 v[10:11], s[10:11], v[6:7], -v[10:11]
	v_fmac_f64_e32 v[8:9], s[12:13], v[6:7]
	v_add_f64 v[0:1], v[0:1], v[10:11]
	v_add_f64 v[2:3], v[2:3], v[8:9]
.LBB418_31:
	flat_store_dwordx4 v[4:5], v[0:3]
.LBB418_32:
	s_endpgm
	.section	.rodata,"a",@progbits
	.p2align	6, 0x0
	.amdhsa_kernel _ZL29rocblas_internal_gemmt_kernelIiLi16ELi32ELi8ELc84ELc84ELc85ELb0ELb0E19rocblas_complex_numIdES1_PKPKS1_PKPS1_EviT_T9_T10_S9_lSB_S9_lSA_T11_S9_li
		.amdhsa_group_segment_fixed_size 8192
		.amdhsa_private_segment_fixed_size 0
		.amdhsa_kernarg_size 116
		.amdhsa_user_sgpr_count 2
		.amdhsa_user_sgpr_dispatch_ptr 0
		.amdhsa_user_sgpr_queue_ptr 0
		.amdhsa_user_sgpr_kernarg_segment_ptr 1
		.amdhsa_user_sgpr_dispatch_id 0
		.amdhsa_user_sgpr_kernarg_preload_length 0
		.amdhsa_user_sgpr_kernarg_preload_offset 0
		.amdhsa_user_sgpr_private_segment_size 0
		.amdhsa_uses_dynamic_stack 0
		.amdhsa_enable_private_segment 0
		.amdhsa_system_sgpr_workgroup_id_x 1
		.amdhsa_system_sgpr_workgroup_id_y 1
		.amdhsa_system_sgpr_workgroup_id_z 1
		.amdhsa_system_sgpr_workgroup_info 0
		.amdhsa_system_vgpr_workitem_id 1
		.amdhsa_next_free_vgpr 62
		.amdhsa_next_free_sgpr 36
		.amdhsa_accum_offset 64
		.amdhsa_reserve_vcc 1
		.amdhsa_float_round_mode_32 0
		.amdhsa_float_round_mode_16_64 0
		.amdhsa_float_denorm_mode_32 3
		.amdhsa_float_denorm_mode_16_64 3
		.amdhsa_dx10_clamp 1
		.amdhsa_ieee_mode 1
		.amdhsa_fp16_overflow 0
		.amdhsa_tg_split 0
		.amdhsa_exception_fp_ieee_invalid_op 0
		.amdhsa_exception_fp_denorm_src 0
		.amdhsa_exception_fp_ieee_div_zero 0
		.amdhsa_exception_fp_ieee_overflow 0
		.amdhsa_exception_fp_ieee_underflow 0
		.amdhsa_exception_fp_ieee_inexact 0
		.amdhsa_exception_int_div_zero 0
	.end_amdhsa_kernel
	.section	.text._ZL29rocblas_internal_gemmt_kernelIiLi16ELi32ELi8ELc84ELc84ELc85ELb0ELb0E19rocblas_complex_numIdES1_PKPKS1_PKPS1_EviT_T9_T10_S9_lSB_S9_lSA_T11_S9_li,"axG",@progbits,_ZL29rocblas_internal_gemmt_kernelIiLi16ELi32ELi8ELc84ELc84ELc85ELb0ELb0E19rocblas_complex_numIdES1_PKPKS1_PKPS1_EviT_T9_T10_S9_lSB_S9_lSA_T11_S9_li,comdat
.Lfunc_end418:
	.size	_ZL29rocblas_internal_gemmt_kernelIiLi16ELi32ELi8ELc84ELc84ELc85ELb0ELb0E19rocblas_complex_numIdES1_PKPKS1_PKPS1_EviT_T9_T10_S9_lSB_S9_lSA_T11_S9_li, .Lfunc_end418-_ZL29rocblas_internal_gemmt_kernelIiLi16ELi32ELi8ELc84ELc84ELc85ELb0ELb0E19rocblas_complex_numIdES1_PKPKS1_PKPS1_EviT_T9_T10_S9_lSB_S9_lSA_T11_S9_li
                                        ; -- End function
	.set _ZL29rocblas_internal_gemmt_kernelIiLi16ELi32ELi8ELc84ELc84ELc85ELb0ELb0E19rocblas_complex_numIdES1_PKPKS1_PKPS1_EviT_T9_T10_S9_lSB_S9_lSA_T11_S9_li.num_vgpr, 62
	.set _ZL29rocblas_internal_gemmt_kernelIiLi16ELi32ELi8ELc84ELc84ELc85ELb0ELb0E19rocblas_complex_numIdES1_PKPKS1_PKPS1_EviT_T9_T10_S9_lSB_S9_lSA_T11_S9_li.num_agpr, 0
	.set _ZL29rocblas_internal_gemmt_kernelIiLi16ELi32ELi8ELc84ELc84ELc85ELb0ELb0E19rocblas_complex_numIdES1_PKPKS1_PKPS1_EviT_T9_T10_S9_lSB_S9_lSA_T11_S9_li.numbered_sgpr, 36
	.set _ZL29rocblas_internal_gemmt_kernelIiLi16ELi32ELi8ELc84ELc84ELc85ELb0ELb0E19rocblas_complex_numIdES1_PKPKS1_PKPS1_EviT_T9_T10_S9_lSB_S9_lSA_T11_S9_li.num_named_barrier, 0
	.set _ZL29rocblas_internal_gemmt_kernelIiLi16ELi32ELi8ELc84ELc84ELc85ELb0ELb0E19rocblas_complex_numIdES1_PKPKS1_PKPS1_EviT_T9_T10_S9_lSB_S9_lSA_T11_S9_li.private_seg_size, 0
	.set _ZL29rocblas_internal_gemmt_kernelIiLi16ELi32ELi8ELc84ELc84ELc85ELb0ELb0E19rocblas_complex_numIdES1_PKPKS1_PKPS1_EviT_T9_T10_S9_lSB_S9_lSA_T11_S9_li.uses_vcc, 1
	.set _ZL29rocblas_internal_gemmt_kernelIiLi16ELi32ELi8ELc84ELc84ELc85ELb0ELb0E19rocblas_complex_numIdES1_PKPKS1_PKPS1_EviT_T9_T10_S9_lSB_S9_lSA_T11_S9_li.uses_flat_scratch, 0
	.set _ZL29rocblas_internal_gemmt_kernelIiLi16ELi32ELi8ELc84ELc84ELc85ELb0ELb0E19rocblas_complex_numIdES1_PKPKS1_PKPS1_EviT_T9_T10_S9_lSB_S9_lSA_T11_S9_li.has_dyn_sized_stack, 0
	.set _ZL29rocblas_internal_gemmt_kernelIiLi16ELi32ELi8ELc84ELc84ELc85ELb0ELb0E19rocblas_complex_numIdES1_PKPKS1_PKPS1_EviT_T9_T10_S9_lSB_S9_lSA_T11_S9_li.has_recursion, 0
	.set _ZL29rocblas_internal_gemmt_kernelIiLi16ELi32ELi8ELc84ELc84ELc85ELb0ELb0E19rocblas_complex_numIdES1_PKPKS1_PKPS1_EviT_T9_T10_S9_lSB_S9_lSA_T11_S9_li.has_indirect_call, 0
	.section	.AMDGPU.csdata,"",@progbits
; Kernel info:
; codeLenInByte = 3108
; TotalNumSgprs: 42
; NumVgprs: 62
; NumAgprs: 0
; TotalNumVgprs: 62
; ScratchSize: 0
; MemoryBound: 0
; FloatMode: 240
; IeeeMode: 1
; LDSByteSize: 8192 bytes/workgroup (compile time only)
; SGPRBlocks: 5
; VGPRBlocks: 7
; NumSGPRsForWavesPerEU: 42
; NumVGPRsForWavesPerEU: 62
; AccumOffset: 64
; Occupancy: 8
; WaveLimiterHint : 1
; COMPUTE_PGM_RSRC2:SCRATCH_EN: 0
; COMPUTE_PGM_RSRC2:USER_SGPR: 2
; COMPUTE_PGM_RSRC2:TRAP_HANDLER: 0
; COMPUTE_PGM_RSRC2:TGID_X_EN: 1
; COMPUTE_PGM_RSRC2:TGID_Y_EN: 1
; COMPUTE_PGM_RSRC2:TGID_Z_EN: 1
; COMPUTE_PGM_RSRC2:TIDIG_COMP_CNT: 1
; COMPUTE_PGM_RSRC3_GFX90A:ACCUM_OFFSET: 15
; COMPUTE_PGM_RSRC3_GFX90A:TG_SPLIT: 0
	.section	.text._ZL29rocblas_internal_gemmt_kernelIiLi16ELi32ELi8ELc84ELc67ELc85ELb0ELb1E19rocblas_complex_numIdES1_PKPKS1_PKPS1_EviT_T9_T10_S9_lSB_S9_lSA_T11_S9_li,"axG",@progbits,_ZL29rocblas_internal_gemmt_kernelIiLi16ELi32ELi8ELc84ELc67ELc85ELb0ELb1E19rocblas_complex_numIdES1_PKPKS1_PKPS1_EviT_T9_T10_S9_lSB_S9_lSA_T11_S9_li,comdat
	.globl	_ZL29rocblas_internal_gemmt_kernelIiLi16ELi32ELi8ELc84ELc67ELc85ELb0ELb1E19rocblas_complex_numIdES1_PKPKS1_PKPS1_EviT_T9_T10_S9_lSB_S9_lSA_T11_S9_li ; -- Begin function _ZL29rocblas_internal_gemmt_kernelIiLi16ELi32ELi8ELc84ELc67ELc85ELb0ELb1E19rocblas_complex_numIdES1_PKPKS1_PKPS1_EviT_T9_T10_S9_lSB_S9_lSA_T11_S9_li
	.p2align	8
	.type	_ZL29rocblas_internal_gemmt_kernelIiLi16ELi32ELi8ELc84ELc67ELc85ELb0ELb1E19rocblas_complex_numIdES1_PKPKS1_PKPS1_EviT_T9_T10_S9_lSB_S9_lSA_T11_S9_li,@function
_ZL29rocblas_internal_gemmt_kernelIiLi16ELi32ELi8ELc84ELc67ELc85ELb0ELb1E19rocblas_complex_numIdES1_PKPKS1_PKPS1_EviT_T9_T10_S9_lSB_S9_lSA_T11_S9_li: ; @_ZL29rocblas_internal_gemmt_kernelIiLi16ELi32ELi8ELc84ELc67ELc85ELb0ELb1E19rocblas_complex_numIdES1_PKPKS1_PKPS1_EviT_T9_T10_S9_lSB_S9_lSA_T11_S9_li
; %bb.0:
	s_load_dwordx8 s[8:15], s[0:1], 0x40
	s_load_dwordx2 s[6:7], s[0:1], 0x0
	s_load_dwordx4 s[16:19], s[0:1], 0x8
	s_mov_b64 s[22:23], 0
	s_waitcnt lgkmcnt(0)
	v_cmp_eq_f64_e64 s[24:25], s[10:11], 1.0
	v_cmp_eq_f64_e64 s[20:21], s[12:13], 0
	s_and_b64 s[24:25], s[24:25], s[20:21]
	s_andn2_b64 vcc, exec, s[24:25]
	s_mov_b64 s[24:25], -1
	s_cbranch_vccnz .LBB419_4
; %bb.1:
	s_cmp_lg_u32 s7, 0
	s_cbranch_scc0 .LBB419_3
; %bb.2:
	v_cmp_neq_f64_e64 s[22:23], s[16:17], 0
	v_cmp_neq_f64_e64 s[24:25], s[18:19], 0
	s_or_b64 s[22:23], s[22:23], s[24:25]
.LBB419_3:
	s_mov_b64 s[24:25], s[22:23]
.LBB419_4:
	s_and_b64 vcc, exec, s[24:25]
	s_cbranch_vccz .LBB419_30
; %bb.5:
	s_mov_b32 s5, 0
	s_lshl_b64 s[22:23], s[4:5], 3
	s_add_u32 s14, s14, s22
	s_addc_u32 s15, s15, s23
	s_lshl_b32 s4, s2, 5
	s_lshl_b32 s26, s3, 5
	v_cmp_eq_f64_e64 s[2:3], s[16:17], 0
	v_cmp_eq_f64_e64 s[24:25], s[18:19], 0
	s_load_dwordx2 s[14:15], s[14:15], 0x0
	s_and_b64 s[2:3], s[2:3], s[24:25]
	s_cmp_lt_i32 s7, 1
	s_cselect_b64 s[24:25], -1, 0
	s_or_b64 s[2:3], s[2:3], s[24:25]
	v_and_b32_e32 v28, 0x3ff, v0
	v_bfe_u32 v29, v0, 10, 10
	v_mov_b64_e32 v[24:25], 0
	s_and_b64 vcc, exec, s[2:3]
	v_mov_b64_e32 v[26:27], 0
	v_mov_b64_e32 v[20:21], 0
	;; [unrolled: 1-line block ×7, first 2 shown]
	s_cbranch_vccnz .LBB419_14
; %bb.6:
	s_load_dwordx4 s[28:31], s[0:1], 0x28
	s_load_dword s24, s[0:1], 0x38
	s_load_dwordx2 s[2:3], s[0:1], 0x18
	s_load_dword s27, s[0:1], 0x20
	v_lshl_add_u32 v0, v29, 4, v28
	v_lshrrev_b32_e32 v31, 5, v0
	v_lshrrev_b32_e32 v1, 3, v0
	s_waitcnt lgkmcnt(0)
	s_ashr_i32 s25, s24, 31
	s_add_u32 s30, s30, s22
	s_addc_u32 s31, s31, s23
	v_and_b32_e32 v0, 31, v0
	s_add_u32 s2, s2, s22
	v_or_b32_e32 v3, s4, v0
	s_addc_u32 s3, s3, s23
	v_and_b32_e32 v30, 7, v28
	s_load_dwordx2 s[22:23], s[2:3], 0x0
	v_cmp_gt_i32_e64 s[2:3], s6, v3
	v_lshlrev_b32_e32 v3, 4, v0
	v_lshl_or_b32 v32, v31, 9, v3
	v_lshlrev_b32_e32 v3, 4, v30
	v_add_u32_e32 v2, s26, v1
	v_lshl_or_b32 v1, v1, 7, v3
	v_add_u32_e32 v33, 0x1000, v1
	v_mov_b32_e32 v1, 0x1000
	v_add_u32_e32 v0, s4, v0
	v_lshl_add_u32 v35, v29, 7, v1
	v_mad_i64_i32 v[0:1], s[34:35], s27, v0, 0
	s_lshl_b64 s[28:29], s[28:29], 4
	s_load_dwordx2 s[30:31], s[30:31], 0x0
	v_lshl_add_u64 v[4:5], v[0:1], 4, s[28:29]
	v_lshlrev_b32_e32 v0, 4, v31
	v_mov_b32_e32 v1, 0
	v_lshl_add_u64 v[4:5], v[4:5], 0, v[0:1]
	s_waitcnt lgkmcnt(0)
	v_lshl_add_u64 v[8:9], s[22:23], 0, v[4:5]
	v_mad_i64_i32 v[4:5], s[22:23], s24, v30, 0
	s_lshl_b64 s[8:9], s[8:9], 4
	v_ashrrev_i32_e32 v3, 31, v2
	v_lshl_add_u64 v[4:5], v[4:5], 4, s[8:9]
	v_cmp_gt_i32_e32 vcc, s6, v2
	v_lshl_add_u64 v[2:3], v[2:3], 4, v[4:5]
	v_lshlrev_b32_e32 v34, 4, v28
	v_lshl_add_u64 v[10:11], s[30:31], 0, v[2:3]
	s_lshl_b64 s[8:9], s[24:25], 7
	v_mov_b64_e32 v[12:13], 0
	s_xor_b64 s[22:23], s[2:3], -1
	s_mov_b64 s[24:25], 0x80
	v_mov_b32_e32 v0, v1
	v_mov_b32_e32 v2, v1
	;; [unrolled: 1-line block ×3, first 2 shown]
	v_mov_b64_e32 v[14:15], 0
	v_mov_b64_e32 v[18:19], 0
	;; [unrolled: 1-line block ×7, first 2 shown]
	s_branch .LBB419_8
.LBB419_7:                              ;   in Loop: Header=BB419_8 Depth=1
	s_or_b64 exec, exec, s[2:3]
	ds_write_b128 v33, v[4:7]
	s_waitcnt lgkmcnt(0)
	s_barrier
	ds_read_b128 v[4:7], v34
	ds_read_b128 v[36:39], v35
	ds_read_b128 v[40:43], v35 offset:16
	ds_read_b128 v[44:47], v35 offset:32
	;; [unrolled: 1-line block ×4, first 2 shown]
	s_waitcnt lgkmcnt(4)
	v_mul_f64 v[56:57], v[38:39], v[6:7]
	v_fma_f64 v[56:57], v[36:37], v[4:5], -v[56:57]
	v_mul_f64 v[58:59], v[36:37], v[6:7]
	v_fmac_f64_e32 v[58:59], v[38:39], v[4:5]
	v_add_f64 v[56:57], v[24:25], v[56:57]
	s_waitcnt lgkmcnt(0)
	v_mul_f64 v[24:25], v[38:39], v[54:55]
	v_add_f64 v[58:59], v[58:59], v[26:27]
	v_fma_f64 v[60:61], v[36:37], v[52:53], -v[24:25]
	ds_read_b128 v[24:27], v35 offset:2048
	v_mul_f64 v[36:37], v[36:37], v[54:55]
	v_fmac_f64_e32 v[36:37], v[38:39], v[52:53]
	v_add_f64 v[38:39], v[20:21], v[60:61]
	v_add_f64 v[36:37], v[36:37], v[22:23]
	ds_read_b128 v[20:23], v35 offset:2064
	s_waitcnt lgkmcnt(1)
	v_mul_f64 v[60:61], v[26:27], v[6:7]
	v_mul_f64 v[6:7], v[24:25], v[6:7]
	v_fma_f64 v[60:61], v[24:25], v[4:5], -v[60:61]
	v_fmac_f64_e32 v[6:7], v[26:27], v[4:5]
	v_mul_f64 v[4:5], v[26:27], v[54:55]
	v_add_f64 v[16:17], v[16:17], v[60:61]
	v_add_f64 v[18:19], v[6:7], v[18:19]
	v_fma_f64 v[60:61], v[24:25], v[52:53], -v[4:5]
	v_mul_f64 v[24:25], v[24:25], v[54:55]
	ds_read_b128 v[4:7], v34 offset:512
	v_fmac_f64_e32 v[24:25], v[26:27], v[52:53]
	v_add_f64 v[26:27], v[14:15], v[60:61]
	v_add_f64 v[24:25], v[24:25], v[12:13]
	ds_read_b128 v[12:15], v34 offset:768
	s_waitcnt lgkmcnt(1)
	v_mul_f64 v[52:53], v[42:43], v[6:7]
	v_fma_f64 v[52:53], v[40:41], v[4:5], -v[52:53]
	v_add_f64 v[52:53], v[56:57], v[52:53]
	v_mul_f64 v[54:55], v[40:41], v[6:7]
	s_waitcnt lgkmcnt(0)
	v_mul_f64 v[56:57], v[42:43], v[14:15]
	v_fma_f64 v[56:57], v[40:41], v[12:13], -v[56:57]
	v_mul_f64 v[40:41], v[40:41], v[14:15]
	v_fmac_f64_e32 v[40:41], v[42:43], v[12:13]
	v_add_f64 v[36:37], v[40:41], v[36:37]
	v_mul_f64 v[40:41], v[22:23], v[6:7]
	v_mul_f64 v[6:7], v[20:21], v[6:7]
	v_fmac_f64_e32 v[54:55], v[42:43], v[4:5]
	v_fma_f64 v[40:41], v[20:21], v[4:5], -v[40:41]
	v_fmac_f64_e32 v[6:7], v[22:23], v[4:5]
	v_mul_f64 v[4:5], v[22:23], v[14:15]
	v_add_f64 v[40:41], v[16:17], v[40:41]
	v_add_f64 v[42:43], v[6:7], v[18:19]
	v_fma_f64 v[16:17], v[20:21], v[12:13], -v[4:5]
	v_mul_f64 v[14:15], v[20:21], v[14:15]
	ds_read_b128 v[4:7], v34 offset:1024
	v_fmac_f64_e32 v[14:15], v[22:23], v[12:13]
	v_add_f64 v[24:25], v[14:15], v[24:25]
	ds_read_b128 v[12:15], v34 offset:1280
	v_add_f64 v[26:27], v[26:27], v[16:17]
	s_waitcnt lgkmcnt(1)
	v_mul_f64 v[16:17], v[46:47], v[6:7]
	v_fma_f64 v[16:17], v[44:45], v[4:5], -v[16:17]
	v_mul_f64 v[18:19], v[44:45], v[6:7]
	v_add_f64 v[54:55], v[54:55], v[58:59]
	v_fmac_f64_e32 v[18:19], v[46:47], v[4:5]
	v_add_f64 v[52:53], v[52:53], v[16:17]
	s_waitcnt lgkmcnt(0)
	v_mul_f64 v[16:17], v[46:47], v[14:15]
	v_add_f64 v[54:55], v[18:19], v[54:55]
	v_fma_f64 v[20:21], v[44:45], v[12:13], -v[16:17]
	ds_read_b128 v[16:19], v35 offset:2080
	v_mul_f64 v[22:23], v[44:45], v[14:15]
	v_add_f64 v[38:39], v[38:39], v[56:57]
	v_fmac_f64_e32 v[22:23], v[46:47], v[12:13]
	v_add_f64 v[38:39], v[38:39], v[20:21]
	v_add_f64 v[36:37], v[22:23], v[36:37]
	ds_read_b128 v[20:23], v35 offset:2096
	s_waitcnt lgkmcnt(1)
	v_mul_f64 v[44:45], v[18:19], v[6:7]
	v_mul_f64 v[6:7], v[16:17], v[6:7]
	v_fma_f64 v[44:45], v[16:17], v[4:5], -v[44:45]
	v_fmac_f64_e32 v[6:7], v[18:19], v[4:5]
	v_mul_f64 v[4:5], v[18:19], v[14:15]
	v_mul_f64 v[14:15], v[16:17], v[14:15]
	v_fmac_f64_e32 v[14:15], v[18:19], v[12:13]
	v_add_f64 v[40:41], v[40:41], v[44:45]
	v_add_f64 v[42:43], v[6:7], v[42:43]
	v_fma_f64 v[44:45], v[16:17], v[12:13], -v[4:5]
	ds_read_b128 v[4:7], v34 offset:1536
	v_add_f64 v[18:19], v[14:15], v[24:25]
	ds_read_b128 v[12:15], v34 offset:1792
	v_add_f64 v[16:17], v[26:27], v[44:45]
	s_add_i32 s5, s5, 8
	s_waitcnt lgkmcnt(1)
	v_mul_f64 v[24:25], v[50:51], v[6:7]
	v_mul_f64 v[26:27], v[48:49], v[6:7]
	s_waitcnt lgkmcnt(0)
	v_mul_f64 v[44:45], v[50:51], v[14:15]
	v_fma_f64 v[44:45], v[48:49], v[12:13], -v[44:45]
	v_add_f64 v[38:39], v[38:39], v[44:45]
	v_mul_f64 v[44:45], v[22:23], v[6:7]
	v_mul_f64 v[6:7], v[20:21], v[6:7]
	v_fma_f64 v[24:25], v[48:49], v[4:5], -v[24:25]
	v_fmac_f64_e32 v[26:27], v[50:51], v[4:5]
	v_fma_f64 v[44:45], v[20:21], v[4:5], -v[44:45]
	v_fmac_f64_e32 v[6:7], v[22:23], v[4:5]
	v_mul_f64 v[4:5], v[22:23], v[14:15]
	v_mul_f64 v[46:47], v[48:49], v[14:15]
	v_add_f64 v[40:41], v[40:41], v[44:45]
	v_fma_f64 v[44:45], v[20:21], v[12:13], -v[4:5]
	v_mul_f64 v[20:21], v[20:21], v[14:15]
	v_fmac_f64_e32 v[46:47], v[50:51], v[12:13]
	v_add_f64 v[42:43], v[6:7], v[42:43]
	v_fmac_f64_e32 v[20:21], v[22:23], v[12:13]
	ds_read_b128 v[4:7], v35 offset:64
	ds_read_b128 v[12:15], v34 offset:2048
	v_add_f64 v[36:37], v[46:47], v[36:37]
	v_add_f64 v[44:45], v[16:17], v[44:45]
	;; [unrolled: 1-line block ×3, first 2 shown]
	ds_read_b128 v[16:19], v34 offset:2304
	ds_read_b128 v[20:23], v35 offset:80
	s_waitcnt lgkmcnt(2)
	v_mul_f64 v[48:49], v[6:7], v[14:15]
	v_add_f64 v[24:25], v[52:53], v[24:25]
	v_fma_f64 v[48:49], v[4:5], v[12:13], -v[48:49]
	v_mul_f64 v[50:51], v[4:5], v[14:15]
	v_add_f64 v[26:27], v[26:27], v[54:55]
	v_fmac_f64_e32 v[50:51], v[6:7], v[12:13]
	v_add_f64 v[48:49], v[24:25], v[48:49]
	s_waitcnt lgkmcnt(1)
	v_mul_f64 v[24:25], v[6:7], v[18:19]
	v_add_f64 v[50:51], v[50:51], v[26:27]
	v_fma_f64 v[52:53], v[4:5], v[16:17], -v[24:25]
	ds_read_b128 v[24:27], v35 offset:2112
	v_mul_f64 v[4:5], v[4:5], v[18:19]
	v_fmac_f64_e32 v[4:5], v[6:7], v[16:17]
	v_add_f64 v[38:39], v[38:39], v[52:53]
	v_add_f64 v[36:37], v[4:5], v[36:37]
	ds_read_b128 v[4:7], v35 offset:2128
	s_waitcnt lgkmcnt(1)
	v_mul_f64 v[52:53], v[26:27], v[14:15]
	v_mul_f64 v[14:15], v[24:25], v[14:15]
	v_fma_f64 v[52:53], v[24:25], v[12:13], -v[52:53]
	v_fmac_f64_e32 v[14:15], v[26:27], v[12:13]
	v_mul_f64 v[12:13], v[26:27], v[18:19]
	v_add_f64 v[40:41], v[40:41], v[52:53]
	v_add_f64 v[42:43], v[14:15], v[42:43]
	v_fma_f64 v[52:53], v[24:25], v[16:17], -v[12:13]
	v_mul_f64 v[18:19], v[24:25], v[18:19]
	ds_read_b128 v[12:15], v34 offset:2560
	v_fmac_f64_e32 v[18:19], v[26:27], v[16:17]
	v_add_f64 v[26:27], v[18:19], v[46:47]
	ds_read_b128 v[16:19], v34 offset:2816
	v_add_f64 v[24:25], v[44:45], v[52:53]
	s_waitcnt lgkmcnt(1)
	v_mul_f64 v[44:45], v[22:23], v[14:15]
	v_fma_f64 v[44:45], v[20:21], v[12:13], -v[44:45]
	v_add_f64 v[44:45], v[48:49], v[44:45]
	s_waitcnt lgkmcnt(0)
	v_mul_f64 v[48:49], v[22:23], v[18:19]
	v_mul_f64 v[46:47], v[20:21], v[14:15]
	v_fma_f64 v[48:49], v[20:21], v[16:17], -v[48:49]
	v_mul_f64 v[20:21], v[20:21], v[18:19]
	v_fmac_f64_e32 v[20:21], v[22:23], v[16:17]
	v_add_f64 v[36:37], v[20:21], v[36:37]
	v_mul_f64 v[20:21], v[6:7], v[14:15]
	v_mul_f64 v[14:15], v[4:5], v[14:15]
	v_fmac_f64_e32 v[46:47], v[22:23], v[12:13]
	v_fma_f64 v[20:21], v[4:5], v[12:13], -v[20:21]
	v_fmac_f64_e32 v[14:15], v[6:7], v[12:13]
	v_mul_f64 v[12:13], v[6:7], v[18:19]
	v_mul_f64 v[18:19], v[4:5], v[18:19]
	v_add_f64 v[40:41], v[40:41], v[20:21]
	v_add_f64 v[42:43], v[14:15], v[42:43]
	v_fma_f64 v[20:21], v[4:5], v[16:17], -v[12:13]
	v_fmac_f64_e32 v[18:19], v[6:7], v[16:17]
	ds_read_b128 v[4:7], v35 offset:96
	ds_read_b128 v[12:15], v34 offset:3072
	v_add_f64 v[46:47], v[46:47], v[50:51]
	v_add_f64 v[38:39], v[38:39], v[48:49]
	v_add_f64 v[48:49], v[24:25], v[20:21]
	v_add_f64 v[50:51], v[18:19], v[26:27]
	ds_read_b128 v[16:19], v34 offset:3328
	ds_read_b128 v[20:23], v35 offset:112
	s_waitcnt lgkmcnt(2)
	v_mul_f64 v[24:25], v[6:7], v[14:15]
	v_fma_f64 v[24:25], v[4:5], v[12:13], -v[24:25]
	v_mul_f64 v[26:27], v[4:5], v[14:15]
	v_fmac_f64_e32 v[26:27], v[6:7], v[12:13]
	v_add_f64 v[44:45], v[44:45], v[24:25]
	s_waitcnt lgkmcnt(1)
	v_mul_f64 v[24:25], v[6:7], v[18:19]
	v_add_f64 v[46:47], v[26:27], v[46:47]
	v_fma_f64 v[52:53], v[4:5], v[16:17], -v[24:25]
	ds_read_b128 v[24:27], v35 offset:2144
	v_mul_f64 v[4:5], v[4:5], v[18:19]
	v_fmac_f64_e32 v[4:5], v[6:7], v[16:17]
	v_add_f64 v[54:55], v[4:5], v[36:37]
	ds_read_b128 v[4:7], v35 offset:2160
	s_waitcnt lgkmcnt(1)
	v_mul_f64 v[36:37], v[26:27], v[14:15]
	v_mul_f64 v[14:15], v[24:25], v[14:15]
	v_fma_f64 v[36:37], v[24:25], v[12:13], -v[36:37]
	v_fmac_f64_e32 v[14:15], v[26:27], v[12:13]
	v_mul_f64 v[12:13], v[26:27], v[18:19]
	v_add_f64 v[40:41], v[40:41], v[36:37]
	v_add_f64 v[42:43], v[14:15], v[42:43]
	v_fma_f64 v[36:37], v[24:25], v[16:17], -v[12:13]
	ds_read_b128 v[12:15], v34 offset:3584
	v_add_f64 v[52:53], v[38:39], v[52:53]
	v_add_f64 v[48:49], v[48:49], v[36:37]
	ds_read_b128 v[36:39], v34 offset:3840
	v_mul_f64 v[18:19], v[24:25], v[18:19]
	v_fmac_f64_e32 v[18:19], v[26:27], v[16:17]
	s_waitcnt lgkmcnt(1)
	v_mul_f64 v[16:17], v[22:23], v[14:15]
	v_fma_f64 v[16:17], v[20:21], v[12:13], -v[16:17]
	v_add_f64 v[50:51], v[18:19], v[50:51]
	v_mul_f64 v[18:19], v[20:21], v[14:15]
	v_add_f64 v[24:25], v[44:45], v[16:17]
	s_waitcnt lgkmcnt(0)
	v_mul_f64 v[16:17], v[22:23], v[38:39]
	v_fmac_f64_e32 v[18:19], v[22:23], v[12:13]
	v_fma_f64 v[16:17], v[20:21], v[36:37], -v[16:17]
	v_add_f64 v[26:27], v[18:19], v[46:47]
	v_mul_f64 v[18:19], v[20:21], v[38:39]
	v_add_f64 v[20:21], v[52:53], v[16:17]
	v_mul_f64 v[16:17], v[6:7], v[14:15]
	v_mul_f64 v[14:15], v[4:5], v[14:15]
	v_fma_f64 v[16:17], v[4:5], v[12:13], -v[16:17]
	v_fmac_f64_e32 v[14:15], v[6:7], v[12:13]
	v_mul_f64 v[12:13], v[6:7], v[38:39]
	v_fma_f64 v[12:13], v[4:5], v[36:37], -v[12:13]
	v_mul_f64 v[4:5], v[4:5], v[38:39]
	v_fmac_f64_e32 v[18:19], v[22:23], v[36:37]
	v_fmac_f64_e32 v[4:5], v[6:7], v[36:37]
	v_add_f64 v[22:23], v[18:19], v[54:55]
	v_add_f64 v[16:17], v[40:41], v[16:17]
	;; [unrolled: 1-line block ×5, first 2 shown]
	v_lshl_add_u64 v[8:9], v[8:9], 0, s[24:25]
	s_cmp_lt_i32 s5, s7
	v_lshl_add_u64 v[10:11], v[10:11], 0, s[8:9]
	s_barrier
	s_cbranch_scc0 .LBB419_14
.LBB419_8:                              ; =>This Inner Loop Header: Depth=1
	v_add_u32_e32 v4, s5, v31
	v_cmp_le_i32_e64 s[2:3], s7, v4
	s_or_b64 s[2:3], s[22:23], s[2:3]
	s_and_saveexec_b64 s[28:29], s[2:3]
	s_xor_b64 s[2:3], exec, s[28:29]
; %bb.9:                                ;   in Loop: Header=BB419_8 Depth=1
	ds_write_b128 v32, v[0:3]
; %bb.10:                               ;   in Loop: Header=BB419_8 Depth=1
	s_andn2_saveexec_b64 s[2:3], s[2:3]
	s_cbranch_execz .LBB419_12
; %bb.11:                               ;   in Loop: Header=BB419_8 Depth=1
	flat_load_dwordx4 v[4:7], v[8:9]
	s_waitcnt vmcnt(0) lgkmcnt(0)
	ds_write2_b64 v32, v[4:5], v[6:7] offset1:1
.LBB419_12:                             ;   in Loop: Header=BB419_8 Depth=1
	s_or_b64 exec, exec, s[2:3]
	v_add_u32_e32 v4, s5, v30
	v_cmp_gt_i32_e64 s[2:3], s7, v4
	s_and_b64 s[28:29], s[2:3], vcc
	v_mov_b64_e32 v[4:5], 0
	v_mov_b64_e32 v[6:7], 0
	s_and_saveexec_b64 s[2:3], s[28:29]
	s_cbranch_execz .LBB419_7
; %bb.13:                               ;   in Loop: Header=BB419_8 Depth=1
	flat_load_dwordx4 v[4:7], v[10:11]
	s_waitcnt vmcnt(0) lgkmcnt(0)
	v_xor_b32_e32 v7, 0x80000000, v7
	s_branch .LBB419_7
.LBB419_14:
	s_load_dwordx2 s[2:3], s[0:1], 0x68
	s_load_dword s7, s[0:1], 0x60
	v_add_u32_e32 v4, s4, v28
	v_add_u32_e32 v10, s26, v29
	v_cmp_neq_f64_e64 s[0:1], s[10:11], 0
	s_waitcnt lgkmcnt(0)
	s_lshl_b64 s[2:3], s[2:3], 4
	s_add_u32 s4, s14, s2
	s_addc_u32 s5, s15, s3
	s_xor_b64 s[8:9], s[20:21], -1
	v_mad_i64_i32 v[0:1], s[14:15], v10, s7, 0
	s_or_b64 s[0:1], s[0:1], s[8:9]
	v_cmp_gt_i32_e64 s[2:3], s6, v10
	v_lshl_add_u64 v[8:9], v[0:1], 4, s[4:5]
	v_cmp_le_i32_e32 vcc, v4, v10
	v_cndmask_b32_e64 v0, 0, 1, s[0:1]
	s_and_b64 s[14:15], s[2:3], vcc
	v_ashrrev_i32_e32 v5, 31, v4
	v_cmp_ne_u32_e64 s[0:1], 1, v0
	s_and_saveexec_b64 s[8:9], s[14:15]
	s_cbranch_execz .LBB419_18
; %bb.15:
	v_mul_f64 v[0:1], s[18:19], v[26:27]
	v_mul_f64 v[2:3], s[16:17], v[26:27]
	v_fma_f64 v[0:1], s[16:17], v[24:25], -v[0:1]
	v_fmac_f64_e32 v[2:3], s[18:19], v[24:25]
	s_and_b64 vcc, exec, s[0:1]
	v_lshl_add_u64 v[6:7], v[4:5], 4, v[8:9]
	s_cbranch_vccnz .LBB419_17
; %bb.16:
	flat_load_dwordx4 v[24:27], v[6:7]
	s_waitcnt vmcnt(0) lgkmcnt(0)
	v_mul_f64 v[28:29], s[12:13], v[26:27]
	v_mul_f64 v[26:27], s[10:11], v[26:27]
	v_fma_f64 v[28:29], s[10:11], v[24:25], -v[28:29]
	v_fmac_f64_e32 v[26:27], s[12:13], v[24:25]
	v_add_f64 v[0:1], v[0:1], v[28:29]
	v_add_f64 v[2:3], v[2:3], v[26:27]
.LBB419_17:
	flat_store_dwordx4 v[6:7], v[0:3]
.LBB419_18:
	s_or_b64 exec, exec, s[8:9]
	v_add_u32_e32 v6, 16, v4
	v_cmp_le_i32_e32 vcc, v6, v10
	s_and_b64 s[8:9], s[2:3], vcc
	v_ashrrev_i32_e32 v7, 31, v6
	s_and_saveexec_b64 s[2:3], s[8:9]
	s_cbranch_execz .LBB419_22
; %bb.19:
	v_mul_f64 v[0:1], s[18:19], v[22:23]
	v_mul_f64 v[2:3], s[16:17], v[22:23]
	v_fma_f64 v[0:1], s[16:17], v[20:21], -v[0:1]
	v_fmac_f64_e32 v[2:3], s[18:19], v[20:21]
	s_and_b64 vcc, exec, s[0:1]
	v_lshl_add_u64 v[8:9], v[6:7], 4, v[8:9]
	s_cbranch_vccnz .LBB419_21
; %bb.20:
	flat_load_dwordx4 v[20:23], v[8:9]
	s_waitcnt vmcnt(0) lgkmcnt(0)
	v_mul_f64 v[24:25], s[12:13], v[22:23]
	v_mul_f64 v[22:23], s[10:11], v[22:23]
	v_fma_f64 v[24:25], s[10:11], v[20:21], -v[24:25]
	v_fmac_f64_e32 v[22:23], s[12:13], v[20:21]
	v_add_f64 v[0:1], v[0:1], v[24:25]
	v_add_f64 v[2:3], v[2:3], v[22:23]
.LBB419_21:
	flat_store_dwordx4 v[8:9], v[0:3]
.LBB419_22:
	s_or_b64 exec, exec, s[2:3]
	v_add_u32_e32 v10, 16, v10
	v_cmp_gt_i32_e64 s[2:3], s6, v10
	v_mad_i64_i32 v[0:1], s[6:7], v10, s7, 0
	v_cmp_le_i32_e32 vcc, v4, v10
	v_lshl_add_u64 v[8:9], v[0:1], 4, s[4:5]
	s_and_b64 s[6:7], s[2:3], vcc
	s_and_saveexec_b64 s[4:5], s[6:7]
	s_cbranch_execz .LBB419_26
; %bb.23:
	v_mul_f64 v[0:1], s[18:19], v[18:19]
	v_mul_f64 v[2:3], s[16:17], v[18:19]
	v_fma_f64 v[0:1], s[16:17], v[16:17], -v[0:1]
	v_fmac_f64_e32 v[2:3], s[18:19], v[16:17]
	s_and_b64 vcc, exec, s[0:1]
	v_lshl_add_u64 v[4:5], v[4:5], 4, v[8:9]
	s_cbranch_vccnz .LBB419_25
; %bb.24:
	flat_load_dwordx4 v[16:19], v[4:5]
	s_waitcnt vmcnt(0) lgkmcnt(0)
	v_mul_f64 v[20:21], s[12:13], v[18:19]
	v_mul_f64 v[18:19], s[10:11], v[18:19]
	v_fma_f64 v[20:21], s[10:11], v[16:17], -v[20:21]
	v_fmac_f64_e32 v[18:19], s[12:13], v[16:17]
	v_add_f64 v[0:1], v[0:1], v[20:21]
	v_add_f64 v[2:3], v[2:3], v[18:19]
.LBB419_25:
	flat_store_dwordx4 v[4:5], v[0:3]
.LBB419_26:
	s_or_b64 exec, exec, s[4:5]
	v_cmp_le_i32_e32 vcc, v6, v10
	s_and_b64 s[2:3], s[2:3], vcc
	s_and_saveexec_b64 s[4:5], s[2:3]
	s_cbranch_execz .LBB419_30
; %bb.27:
	v_mul_f64 v[0:1], s[18:19], v[12:13]
	v_mul_f64 v[2:3], s[16:17], v[12:13]
	v_fma_f64 v[0:1], s[16:17], v[14:15], -v[0:1]
	v_fmac_f64_e32 v[2:3], s[18:19], v[14:15]
	s_and_b64 vcc, exec, s[0:1]
	v_lshl_add_u64 v[4:5], v[6:7], 4, v[8:9]
	s_cbranch_vccnz .LBB419_29
; %bb.28:
	flat_load_dwordx4 v[6:9], v[4:5]
	s_waitcnt vmcnt(0) lgkmcnt(0)
	v_mul_f64 v[10:11], s[12:13], v[8:9]
	v_mul_f64 v[8:9], s[10:11], v[8:9]
	v_fma_f64 v[10:11], s[10:11], v[6:7], -v[10:11]
	v_fmac_f64_e32 v[8:9], s[12:13], v[6:7]
	v_add_f64 v[0:1], v[0:1], v[10:11]
	v_add_f64 v[2:3], v[2:3], v[8:9]
.LBB419_29:
	flat_store_dwordx4 v[4:5], v[0:3]
.LBB419_30:
	s_endpgm
	.section	.rodata,"a",@progbits
	.p2align	6, 0x0
	.amdhsa_kernel _ZL29rocblas_internal_gemmt_kernelIiLi16ELi32ELi8ELc84ELc67ELc85ELb0ELb1E19rocblas_complex_numIdES1_PKPKS1_PKPS1_EviT_T9_T10_S9_lSB_S9_lSA_T11_S9_li
		.amdhsa_group_segment_fixed_size 8192
		.amdhsa_private_segment_fixed_size 0
		.amdhsa_kernarg_size 116
		.amdhsa_user_sgpr_count 2
		.amdhsa_user_sgpr_dispatch_ptr 0
		.amdhsa_user_sgpr_queue_ptr 0
		.amdhsa_user_sgpr_kernarg_segment_ptr 1
		.amdhsa_user_sgpr_dispatch_id 0
		.amdhsa_user_sgpr_kernarg_preload_length 0
		.amdhsa_user_sgpr_kernarg_preload_offset 0
		.amdhsa_user_sgpr_private_segment_size 0
		.amdhsa_uses_dynamic_stack 0
		.amdhsa_enable_private_segment 0
		.amdhsa_system_sgpr_workgroup_id_x 1
		.amdhsa_system_sgpr_workgroup_id_y 1
		.amdhsa_system_sgpr_workgroup_id_z 1
		.amdhsa_system_sgpr_workgroup_info 0
		.amdhsa_system_vgpr_workitem_id 1
		.amdhsa_next_free_vgpr 62
		.amdhsa_next_free_sgpr 36
		.amdhsa_accum_offset 64
		.amdhsa_reserve_vcc 1
		.amdhsa_float_round_mode_32 0
		.amdhsa_float_round_mode_16_64 0
		.amdhsa_float_denorm_mode_32 3
		.amdhsa_float_denorm_mode_16_64 3
		.amdhsa_dx10_clamp 1
		.amdhsa_ieee_mode 1
		.amdhsa_fp16_overflow 0
		.amdhsa_tg_split 0
		.amdhsa_exception_fp_ieee_invalid_op 0
		.amdhsa_exception_fp_denorm_src 0
		.amdhsa_exception_fp_ieee_div_zero 0
		.amdhsa_exception_fp_ieee_overflow 0
		.amdhsa_exception_fp_ieee_underflow 0
		.amdhsa_exception_fp_ieee_inexact 0
		.amdhsa_exception_int_div_zero 0
	.end_amdhsa_kernel
	.section	.text._ZL29rocblas_internal_gemmt_kernelIiLi16ELi32ELi8ELc84ELc67ELc85ELb0ELb1E19rocblas_complex_numIdES1_PKPKS1_PKPS1_EviT_T9_T10_S9_lSB_S9_lSA_T11_S9_li,"axG",@progbits,_ZL29rocblas_internal_gemmt_kernelIiLi16ELi32ELi8ELc84ELc67ELc85ELb0ELb1E19rocblas_complex_numIdES1_PKPKS1_PKPS1_EviT_T9_T10_S9_lSB_S9_lSA_T11_S9_li,comdat
.Lfunc_end419:
	.size	_ZL29rocblas_internal_gemmt_kernelIiLi16ELi32ELi8ELc84ELc67ELc85ELb0ELb1E19rocblas_complex_numIdES1_PKPKS1_PKPS1_EviT_T9_T10_S9_lSB_S9_lSA_T11_S9_li, .Lfunc_end419-_ZL29rocblas_internal_gemmt_kernelIiLi16ELi32ELi8ELc84ELc67ELc85ELb0ELb1E19rocblas_complex_numIdES1_PKPKS1_PKPS1_EviT_T9_T10_S9_lSB_S9_lSA_T11_S9_li
                                        ; -- End function
	.set _ZL29rocblas_internal_gemmt_kernelIiLi16ELi32ELi8ELc84ELc67ELc85ELb0ELb1E19rocblas_complex_numIdES1_PKPKS1_PKPS1_EviT_T9_T10_S9_lSB_S9_lSA_T11_S9_li.num_vgpr, 62
	.set _ZL29rocblas_internal_gemmt_kernelIiLi16ELi32ELi8ELc84ELc67ELc85ELb0ELb1E19rocblas_complex_numIdES1_PKPKS1_PKPS1_EviT_T9_T10_S9_lSB_S9_lSA_T11_S9_li.num_agpr, 0
	.set _ZL29rocblas_internal_gemmt_kernelIiLi16ELi32ELi8ELc84ELc67ELc85ELb0ELb1E19rocblas_complex_numIdES1_PKPKS1_PKPS1_EviT_T9_T10_S9_lSB_S9_lSA_T11_S9_li.numbered_sgpr, 36
	.set _ZL29rocblas_internal_gemmt_kernelIiLi16ELi32ELi8ELc84ELc67ELc85ELb0ELb1E19rocblas_complex_numIdES1_PKPKS1_PKPS1_EviT_T9_T10_S9_lSB_S9_lSA_T11_S9_li.num_named_barrier, 0
	.set _ZL29rocblas_internal_gemmt_kernelIiLi16ELi32ELi8ELc84ELc67ELc85ELb0ELb1E19rocblas_complex_numIdES1_PKPKS1_PKPS1_EviT_T9_T10_S9_lSB_S9_lSA_T11_S9_li.private_seg_size, 0
	.set _ZL29rocblas_internal_gemmt_kernelIiLi16ELi32ELi8ELc84ELc67ELc85ELb0ELb1E19rocblas_complex_numIdES1_PKPKS1_PKPS1_EviT_T9_T10_S9_lSB_S9_lSA_T11_S9_li.uses_vcc, 1
	.set _ZL29rocblas_internal_gemmt_kernelIiLi16ELi32ELi8ELc84ELc67ELc85ELb0ELb1E19rocblas_complex_numIdES1_PKPKS1_PKPS1_EviT_T9_T10_S9_lSB_S9_lSA_T11_S9_li.uses_flat_scratch, 0
	.set _ZL29rocblas_internal_gemmt_kernelIiLi16ELi32ELi8ELc84ELc67ELc85ELb0ELb1E19rocblas_complex_numIdES1_PKPKS1_PKPS1_EviT_T9_T10_S9_lSB_S9_lSA_T11_S9_li.has_dyn_sized_stack, 0
	.set _ZL29rocblas_internal_gemmt_kernelIiLi16ELi32ELi8ELc84ELc67ELc85ELb0ELb1E19rocblas_complex_numIdES1_PKPKS1_PKPS1_EviT_T9_T10_S9_lSB_S9_lSA_T11_S9_li.has_recursion, 0
	.set _ZL29rocblas_internal_gemmt_kernelIiLi16ELi32ELi8ELc84ELc67ELc85ELb0ELb1E19rocblas_complex_numIdES1_PKPKS1_PKPS1_EviT_T9_T10_S9_lSB_S9_lSA_T11_S9_li.has_indirect_call, 0
	.section	.AMDGPU.csdata,"",@progbits
; Kernel info:
; codeLenInByte = 3112
; TotalNumSgprs: 42
; NumVgprs: 62
; NumAgprs: 0
; TotalNumVgprs: 62
; ScratchSize: 0
; MemoryBound: 1
; FloatMode: 240
; IeeeMode: 1
; LDSByteSize: 8192 bytes/workgroup (compile time only)
; SGPRBlocks: 5
; VGPRBlocks: 7
; NumSGPRsForWavesPerEU: 42
; NumVGPRsForWavesPerEU: 62
; AccumOffset: 64
; Occupancy: 8
; WaveLimiterHint : 1
; COMPUTE_PGM_RSRC2:SCRATCH_EN: 0
; COMPUTE_PGM_RSRC2:USER_SGPR: 2
; COMPUTE_PGM_RSRC2:TRAP_HANDLER: 0
; COMPUTE_PGM_RSRC2:TGID_X_EN: 1
; COMPUTE_PGM_RSRC2:TGID_Y_EN: 1
; COMPUTE_PGM_RSRC2:TGID_Z_EN: 1
; COMPUTE_PGM_RSRC2:TIDIG_COMP_CNT: 1
; COMPUTE_PGM_RSRC3_GFX90A:ACCUM_OFFSET: 15
; COMPUTE_PGM_RSRC3_GFX90A:TG_SPLIT: 0
	.section	.text._ZL29rocblas_internal_gemmt_kernelIiLi16ELi32ELi8ELc67ELc78ELc85ELb1ELb0E19rocblas_complex_numIdES1_PKPKS1_PKPS1_EviT_T9_T10_S9_lSB_S9_lSA_T11_S9_li,"axG",@progbits,_ZL29rocblas_internal_gemmt_kernelIiLi16ELi32ELi8ELc67ELc78ELc85ELb1ELb0E19rocblas_complex_numIdES1_PKPKS1_PKPS1_EviT_T9_T10_S9_lSB_S9_lSA_T11_S9_li,comdat
	.globl	_ZL29rocblas_internal_gemmt_kernelIiLi16ELi32ELi8ELc67ELc78ELc85ELb1ELb0E19rocblas_complex_numIdES1_PKPKS1_PKPS1_EviT_T9_T10_S9_lSB_S9_lSA_T11_S9_li ; -- Begin function _ZL29rocblas_internal_gemmt_kernelIiLi16ELi32ELi8ELc67ELc78ELc85ELb1ELb0E19rocblas_complex_numIdES1_PKPKS1_PKPS1_EviT_T9_T10_S9_lSB_S9_lSA_T11_S9_li
	.p2align	8
	.type	_ZL29rocblas_internal_gemmt_kernelIiLi16ELi32ELi8ELc67ELc78ELc85ELb1ELb0E19rocblas_complex_numIdES1_PKPKS1_PKPS1_EviT_T9_T10_S9_lSB_S9_lSA_T11_S9_li,@function
_ZL29rocblas_internal_gemmt_kernelIiLi16ELi32ELi8ELc67ELc78ELc85ELb1ELb0E19rocblas_complex_numIdES1_PKPKS1_PKPS1_EviT_T9_T10_S9_lSB_S9_lSA_T11_S9_li: ; @_ZL29rocblas_internal_gemmt_kernelIiLi16ELi32ELi8ELc67ELc78ELc85ELb1ELb0E19rocblas_complex_numIdES1_PKPKS1_PKPS1_EviT_T9_T10_S9_lSB_S9_lSA_T11_S9_li
; %bb.0:
	s_load_dwordx8 s[8:15], s[0:1], 0x40
	s_load_dwordx2 s[6:7], s[0:1], 0x0
	s_load_dwordx4 s[16:19], s[0:1], 0x8
	s_mov_b64 s[22:23], 0
	s_waitcnt lgkmcnt(0)
	v_cmp_eq_f64_e64 s[24:25], s[10:11], 1.0
	v_cmp_eq_f64_e64 s[20:21], s[12:13], 0
	s_and_b64 s[24:25], s[24:25], s[20:21]
	s_andn2_b64 vcc, exec, s[24:25]
	s_mov_b64 s[24:25], -1
	s_cbranch_vccnz .LBB420_4
; %bb.1:
	s_cmp_lg_u32 s7, 0
	s_cbranch_scc0 .LBB420_3
; %bb.2:
	v_cmp_neq_f64_e64 s[22:23], s[16:17], 0
	v_cmp_neq_f64_e64 s[24:25], s[18:19], 0
	s_or_b64 s[22:23], s[22:23], s[24:25]
.LBB420_3:
	s_mov_b64 s[24:25], s[22:23]
.LBB420_4:
	s_and_b64 vcc, exec, s[24:25]
	s_cbranch_vccz .LBB420_30
; %bb.5:
	s_mov_b32 s5, 0
	s_lshl_b64 s[22:23], s[4:5], 3
	s_add_u32 s14, s14, s22
	s_addc_u32 s15, s15, s23
	s_lshl_b32 s4, s2, 5
	s_lshl_b32 s24, s3, 5
	v_cmp_eq_f64_e64 s[2:3], s[16:17], 0
	v_cmp_eq_f64_e64 s[26:27], s[18:19], 0
	s_load_dwordx2 s[14:15], s[14:15], 0x0
	s_and_b64 s[2:3], s[2:3], s[26:27]
	s_cmp_lt_i32 s7, 1
	s_cselect_b64 s[26:27], -1, 0
	s_or_b64 s[2:3], s[2:3], s[26:27]
	v_and_b32_e32 v28, 0x3ff, v0
	v_bfe_u32 v29, v0, 10, 10
	v_mov_b64_e32 v[24:25], 0
	s_and_b64 vcc, exec, s[2:3]
	v_mov_b64_e32 v[26:27], 0
	v_mov_b64_e32 v[20:21], 0
	;; [unrolled: 1-line block ×7, first 2 shown]
	s_cbranch_vccnz .LBB420_14
; %bb.6:
	s_load_dwordx2 s[2:3], s[0:1], 0x18
	s_load_dword s25, s[0:1], 0x20
	s_load_dwordx4 s[28:31], s[0:1], 0x28
	s_load_dword s33, s[0:1], 0x38
	v_lshl_add_u32 v0, v29, 4, v28
	v_lshrrev_b32_e32 v31, 5, v0
	v_lshrrev_b32_e32 v1, 3, v0
	v_and_b32_e32 v0, 31, v0
	s_waitcnt lgkmcnt(0)
	s_add_u32 s26, s30, s22
	v_or_b32_e32 v2, s4, v0
	s_addc_u32 s27, s31, s23
	v_and_b32_e32 v30, 7, v28
	s_add_u32 s2, s2, s22
	v_cmp_gt_i32_e32 vcc, s6, v2
	v_lshlrev_b32_e32 v2, 4, v0
	s_addc_u32 s3, s3, s23
	v_lshl_or_b32 v32, v31, 9, v2
	v_lshlrev_b32_e32 v2, 4, v30
	v_add_u32_e32 v3, s24, v1
	s_load_dwordx2 s[22:23], s[2:3], 0x0
	v_lshl_or_b32 v1, v1, 7, v2
	v_add_u32_e32 v33, 0x1000, v1
	v_mov_b32_e32 v1, 0x1000
	v_add_u32_e32 v0, s4, v0
	v_lshl_add_u32 v35, v29, 7, v1
	v_mad_i64_i32 v[0:1], s[30:31], s25, v0, 0
	s_lshl_b64 s[28:29], s[28:29], 4
	s_load_dwordx2 s[26:27], s[26:27], 0x0
	v_lshl_add_u64 v[4:5], v[0:1], 4, s[28:29]
	v_lshlrev_b32_e32 v0, 4, v31
	v_mov_b32_e32 v1, 0
	v_lshl_add_u64 v[4:5], v[4:5], 0, v[0:1]
	s_waitcnt lgkmcnt(0)
	v_lshl_add_u64 v[8:9], s[22:23], 0, v[4:5]
	v_mad_i64_i32 v[4:5], s[22:23], s33, v3, 0
	s_lshl_b64 s[8:9], s[8:9], 4
	v_cmp_gt_i32_e64 s[2:3], s6, v3
	v_lshl_add_u64 v[4:5], v[4:5], 4, s[8:9]
	v_mov_b32_e32 v3, v1
	v_lshl_add_u64 v[2:3], v[4:5], 0, v[2:3]
	v_lshlrev_b32_e32 v34, 4, v28
	v_lshl_add_u64 v[10:11], s[26:27], 0, v[2:3]
	v_mov_b64_e32 v[12:13], 0
	s_xor_b64 s[8:9], s[2:3], -1
	s_mov_b64 s[22:23], 0x80
	v_mov_b32_e32 v0, v1
	v_mov_b32_e32 v2, v1
	;; [unrolled: 1-line block ×3, first 2 shown]
	v_mov_b64_e32 v[14:15], 0
	v_mov_b64_e32 v[18:19], 0
	;; [unrolled: 1-line block ×7, first 2 shown]
	s_branch .LBB420_8
.LBB420_7:                              ;   in Loop: Header=BB420_8 Depth=1
	s_or_b64 exec, exec, s[2:3]
	s_waitcnt lgkmcnt(0)
	s_barrier
	ds_read_b128 v[4:7], v34
	ds_read_b128 v[36:39], v35
	ds_read_b128 v[40:43], v35 offset:16
	ds_read_b128 v[44:47], v35 offset:32
	;; [unrolled: 1-line block ×4, first 2 shown]
	s_waitcnt lgkmcnt(4)
	v_mul_f64 v[56:57], v[38:39], v[6:7]
	v_fma_f64 v[56:57], v[36:37], v[4:5], -v[56:57]
	v_mul_f64 v[58:59], v[36:37], v[6:7]
	v_fmac_f64_e32 v[58:59], v[38:39], v[4:5]
	v_add_f64 v[56:57], v[24:25], v[56:57]
	s_waitcnt lgkmcnt(0)
	v_mul_f64 v[24:25], v[38:39], v[54:55]
	v_add_f64 v[58:59], v[58:59], v[26:27]
	v_fma_f64 v[60:61], v[36:37], v[52:53], -v[24:25]
	ds_read_b128 v[24:27], v35 offset:2048
	v_mul_f64 v[36:37], v[36:37], v[54:55]
	v_fmac_f64_e32 v[36:37], v[38:39], v[52:53]
	v_add_f64 v[38:39], v[20:21], v[60:61]
	v_add_f64 v[36:37], v[36:37], v[22:23]
	ds_read_b128 v[20:23], v35 offset:2064
	s_waitcnt lgkmcnt(1)
	v_mul_f64 v[60:61], v[26:27], v[6:7]
	v_mul_f64 v[6:7], v[24:25], v[6:7]
	v_fma_f64 v[60:61], v[24:25], v[4:5], -v[60:61]
	v_fmac_f64_e32 v[6:7], v[26:27], v[4:5]
	v_mul_f64 v[4:5], v[26:27], v[54:55]
	v_add_f64 v[16:17], v[16:17], v[60:61]
	v_add_f64 v[18:19], v[6:7], v[18:19]
	v_fma_f64 v[60:61], v[24:25], v[52:53], -v[4:5]
	v_mul_f64 v[24:25], v[24:25], v[54:55]
	ds_read_b128 v[4:7], v34 offset:512
	v_fmac_f64_e32 v[24:25], v[26:27], v[52:53]
	v_add_f64 v[26:27], v[14:15], v[60:61]
	v_add_f64 v[24:25], v[24:25], v[12:13]
	ds_read_b128 v[12:15], v34 offset:768
	s_waitcnt lgkmcnt(1)
	v_mul_f64 v[52:53], v[42:43], v[6:7]
	v_fma_f64 v[52:53], v[40:41], v[4:5], -v[52:53]
	v_add_f64 v[52:53], v[56:57], v[52:53]
	v_mul_f64 v[54:55], v[40:41], v[6:7]
	s_waitcnt lgkmcnt(0)
	v_mul_f64 v[56:57], v[42:43], v[14:15]
	v_fma_f64 v[56:57], v[40:41], v[12:13], -v[56:57]
	v_mul_f64 v[40:41], v[40:41], v[14:15]
	v_fmac_f64_e32 v[40:41], v[42:43], v[12:13]
	v_add_f64 v[36:37], v[40:41], v[36:37]
	v_mul_f64 v[40:41], v[22:23], v[6:7]
	v_mul_f64 v[6:7], v[20:21], v[6:7]
	v_fmac_f64_e32 v[54:55], v[42:43], v[4:5]
	v_fma_f64 v[40:41], v[20:21], v[4:5], -v[40:41]
	v_fmac_f64_e32 v[6:7], v[22:23], v[4:5]
	v_mul_f64 v[4:5], v[22:23], v[14:15]
	v_add_f64 v[40:41], v[16:17], v[40:41]
	v_add_f64 v[42:43], v[6:7], v[18:19]
	v_fma_f64 v[16:17], v[20:21], v[12:13], -v[4:5]
	v_mul_f64 v[14:15], v[20:21], v[14:15]
	ds_read_b128 v[4:7], v34 offset:1024
	v_fmac_f64_e32 v[14:15], v[22:23], v[12:13]
	v_add_f64 v[24:25], v[14:15], v[24:25]
	ds_read_b128 v[12:15], v34 offset:1280
	v_add_f64 v[26:27], v[26:27], v[16:17]
	s_waitcnt lgkmcnt(1)
	v_mul_f64 v[16:17], v[46:47], v[6:7]
	v_fma_f64 v[16:17], v[44:45], v[4:5], -v[16:17]
	v_mul_f64 v[18:19], v[44:45], v[6:7]
	v_add_f64 v[54:55], v[54:55], v[58:59]
	v_fmac_f64_e32 v[18:19], v[46:47], v[4:5]
	v_add_f64 v[52:53], v[52:53], v[16:17]
	s_waitcnt lgkmcnt(0)
	v_mul_f64 v[16:17], v[46:47], v[14:15]
	v_add_f64 v[54:55], v[18:19], v[54:55]
	v_fma_f64 v[20:21], v[44:45], v[12:13], -v[16:17]
	ds_read_b128 v[16:19], v35 offset:2080
	v_mul_f64 v[22:23], v[44:45], v[14:15]
	v_add_f64 v[38:39], v[38:39], v[56:57]
	v_fmac_f64_e32 v[22:23], v[46:47], v[12:13]
	v_add_f64 v[38:39], v[38:39], v[20:21]
	v_add_f64 v[36:37], v[22:23], v[36:37]
	ds_read_b128 v[20:23], v35 offset:2096
	s_waitcnt lgkmcnt(1)
	v_mul_f64 v[44:45], v[18:19], v[6:7]
	v_mul_f64 v[6:7], v[16:17], v[6:7]
	v_fma_f64 v[44:45], v[16:17], v[4:5], -v[44:45]
	v_fmac_f64_e32 v[6:7], v[18:19], v[4:5]
	v_mul_f64 v[4:5], v[18:19], v[14:15]
	v_mul_f64 v[14:15], v[16:17], v[14:15]
	v_fmac_f64_e32 v[14:15], v[18:19], v[12:13]
	v_add_f64 v[40:41], v[40:41], v[44:45]
	v_add_f64 v[42:43], v[6:7], v[42:43]
	v_fma_f64 v[44:45], v[16:17], v[12:13], -v[4:5]
	ds_read_b128 v[4:7], v34 offset:1536
	v_add_f64 v[18:19], v[14:15], v[24:25]
	ds_read_b128 v[12:15], v34 offset:1792
	v_add_f64 v[16:17], v[26:27], v[44:45]
	s_add_i32 s5, s5, 8
	s_waitcnt lgkmcnt(1)
	v_mul_f64 v[24:25], v[50:51], v[6:7]
	v_mul_f64 v[26:27], v[48:49], v[6:7]
	s_waitcnt lgkmcnt(0)
	v_mul_f64 v[44:45], v[50:51], v[14:15]
	v_fma_f64 v[44:45], v[48:49], v[12:13], -v[44:45]
	v_add_f64 v[38:39], v[38:39], v[44:45]
	v_mul_f64 v[44:45], v[22:23], v[6:7]
	v_mul_f64 v[6:7], v[20:21], v[6:7]
	v_fma_f64 v[24:25], v[48:49], v[4:5], -v[24:25]
	v_fmac_f64_e32 v[26:27], v[50:51], v[4:5]
	v_fma_f64 v[44:45], v[20:21], v[4:5], -v[44:45]
	v_fmac_f64_e32 v[6:7], v[22:23], v[4:5]
	v_mul_f64 v[4:5], v[22:23], v[14:15]
	v_mul_f64 v[46:47], v[48:49], v[14:15]
	v_add_f64 v[40:41], v[40:41], v[44:45]
	v_fma_f64 v[44:45], v[20:21], v[12:13], -v[4:5]
	v_mul_f64 v[20:21], v[20:21], v[14:15]
	v_fmac_f64_e32 v[46:47], v[50:51], v[12:13]
	v_add_f64 v[42:43], v[6:7], v[42:43]
	v_fmac_f64_e32 v[20:21], v[22:23], v[12:13]
	ds_read_b128 v[4:7], v35 offset:64
	ds_read_b128 v[12:15], v34 offset:2048
	v_add_f64 v[36:37], v[46:47], v[36:37]
	v_add_f64 v[44:45], v[16:17], v[44:45]
	;; [unrolled: 1-line block ×3, first 2 shown]
	ds_read_b128 v[16:19], v34 offset:2304
	ds_read_b128 v[20:23], v35 offset:80
	s_waitcnt lgkmcnt(2)
	v_mul_f64 v[48:49], v[6:7], v[14:15]
	v_add_f64 v[24:25], v[52:53], v[24:25]
	v_fma_f64 v[48:49], v[4:5], v[12:13], -v[48:49]
	v_mul_f64 v[50:51], v[4:5], v[14:15]
	v_add_f64 v[26:27], v[26:27], v[54:55]
	v_fmac_f64_e32 v[50:51], v[6:7], v[12:13]
	v_add_f64 v[48:49], v[24:25], v[48:49]
	s_waitcnt lgkmcnt(1)
	v_mul_f64 v[24:25], v[6:7], v[18:19]
	v_add_f64 v[50:51], v[50:51], v[26:27]
	v_fma_f64 v[52:53], v[4:5], v[16:17], -v[24:25]
	ds_read_b128 v[24:27], v35 offset:2112
	v_mul_f64 v[4:5], v[4:5], v[18:19]
	v_fmac_f64_e32 v[4:5], v[6:7], v[16:17]
	v_add_f64 v[38:39], v[38:39], v[52:53]
	v_add_f64 v[36:37], v[4:5], v[36:37]
	ds_read_b128 v[4:7], v35 offset:2128
	s_waitcnt lgkmcnt(1)
	v_mul_f64 v[52:53], v[26:27], v[14:15]
	v_mul_f64 v[14:15], v[24:25], v[14:15]
	v_fma_f64 v[52:53], v[24:25], v[12:13], -v[52:53]
	v_fmac_f64_e32 v[14:15], v[26:27], v[12:13]
	v_mul_f64 v[12:13], v[26:27], v[18:19]
	v_add_f64 v[40:41], v[40:41], v[52:53]
	v_add_f64 v[42:43], v[14:15], v[42:43]
	v_fma_f64 v[52:53], v[24:25], v[16:17], -v[12:13]
	v_mul_f64 v[18:19], v[24:25], v[18:19]
	ds_read_b128 v[12:15], v34 offset:2560
	v_fmac_f64_e32 v[18:19], v[26:27], v[16:17]
	v_add_f64 v[26:27], v[18:19], v[46:47]
	ds_read_b128 v[16:19], v34 offset:2816
	v_add_f64 v[24:25], v[44:45], v[52:53]
	s_waitcnt lgkmcnt(1)
	v_mul_f64 v[44:45], v[22:23], v[14:15]
	v_fma_f64 v[44:45], v[20:21], v[12:13], -v[44:45]
	v_add_f64 v[44:45], v[48:49], v[44:45]
	s_waitcnt lgkmcnt(0)
	v_mul_f64 v[48:49], v[22:23], v[18:19]
	v_mul_f64 v[46:47], v[20:21], v[14:15]
	v_fma_f64 v[48:49], v[20:21], v[16:17], -v[48:49]
	v_mul_f64 v[20:21], v[20:21], v[18:19]
	v_fmac_f64_e32 v[20:21], v[22:23], v[16:17]
	v_add_f64 v[36:37], v[20:21], v[36:37]
	v_mul_f64 v[20:21], v[6:7], v[14:15]
	v_mul_f64 v[14:15], v[4:5], v[14:15]
	v_fmac_f64_e32 v[46:47], v[22:23], v[12:13]
	v_fma_f64 v[20:21], v[4:5], v[12:13], -v[20:21]
	v_fmac_f64_e32 v[14:15], v[6:7], v[12:13]
	v_mul_f64 v[12:13], v[6:7], v[18:19]
	v_mul_f64 v[18:19], v[4:5], v[18:19]
	v_add_f64 v[40:41], v[40:41], v[20:21]
	v_add_f64 v[42:43], v[14:15], v[42:43]
	v_fma_f64 v[20:21], v[4:5], v[16:17], -v[12:13]
	v_fmac_f64_e32 v[18:19], v[6:7], v[16:17]
	ds_read_b128 v[4:7], v35 offset:96
	ds_read_b128 v[12:15], v34 offset:3072
	v_add_f64 v[46:47], v[46:47], v[50:51]
	v_add_f64 v[38:39], v[38:39], v[48:49]
	;; [unrolled: 1-line block ×4, first 2 shown]
	ds_read_b128 v[16:19], v34 offset:3328
	ds_read_b128 v[20:23], v35 offset:112
	s_waitcnt lgkmcnt(2)
	v_mul_f64 v[24:25], v[6:7], v[14:15]
	v_fma_f64 v[24:25], v[4:5], v[12:13], -v[24:25]
	v_mul_f64 v[26:27], v[4:5], v[14:15]
	v_fmac_f64_e32 v[26:27], v[6:7], v[12:13]
	v_add_f64 v[44:45], v[44:45], v[24:25]
	s_waitcnt lgkmcnt(1)
	v_mul_f64 v[24:25], v[6:7], v[18:19]
	v_add_f64 v[46:47], v[26:27], v[46:47]
	v_fma_f64 v[52:53], v[4:5], v[16:17], -v[24:25]
	ds_read_b128 v[24:27], v35 offset:2144
	v_mul_f64 v[4:5], v[4:5], v[18:19]
	v_fmac_f64_e32 v[4:5], v[6:7], v[16:17]
	v_add_f64 v[54:55], v[4:5], v[36:37]
	ds_read_b128 v[4:7], v35 offset:2160
	s_waitcnt lgkmcnt(1)
	v_mul_f64 v[36:37], v[26:27], v[14:15]
	v_mul_f64 v[14:15], v[24:25], v[14:15]
	v_fma_f64 v[36:37], v[24:25], v[12:13], -v[36:37]
	v_fmac_f64_e32 v[14:15], v[26:27], v[12:13]
	v_mul_f64 v[12:13], v[26:27], v[18:19]
	v_add_f64 v[40:41], v[40:41], v[36:37]
	v_add_f64 v[42:43], v[14:15], v[42:43]
	v_fma_f64 v[36:37], v[24:25], v[16:17], -v[12:13]
	ds_read_b128 v[12:15], v34 offset:3584
	v_add_f64 v[52:53], v[38:39], v[52:53]
	v_add_f64 v[48:49], v[48:49], v[36:37]
	ds_read_b128 v[36:39], v34 offset:3840
	v_mul_f64 v[18:19], v[24:25], v[18:19]
	v_fmac_f64_e32 v[18:19], v[26:27], v[16:17]
	s_waitcnt lgkmcnt(1)
	v_mul_f64 v[16:17], v[22:23], v[14:15]
	v_fma_f64 v[16:17], v[20:21], v[12:13], -v[16:17]
	v_add_f64 v[50:51], v[18:19], v[50:51]
	v_mul_f64 v[18:19], v[20:21], v[14:15]
	v_add_f64 v[24:25], v[44:45], v[16:17]
	s_waitcnt lgkmcnt(0)
	v_mul_f64 v[16:17], v[22:23], v[38:39]
	v_fmac_f64_e32 v[18:19], v[22:23], v[12:13]
	v_fma_f64 v[16:17], v[20:21], v[36:37], -v[16:17]
	v_add_f64 v[26:27], v[18:19], v[46:47]
	v_mul_f64 v[18:19], v[20:21], v[38:39]
	v_add_f64 v[20:21], v[52:53], v[16:17]
	v_mul_f64 v[16:17], v[6:7], v[14:15]
	v_mul_f64 v[14:15], v[4:5], v[14:15]
	v_fma_f64 v[16:17], v[4:5], v[12:13], -v[16:17]
	v_fmac_f64_e32 v[14:15], v[6:7], v[12:13]
	v_mul_f64 v[12:13], v[6:7], v[38:39]
	v_fma_f64 v[12:13], v[4:5], v[36:37], -v[12:13]
	v_mul_f64 v[4:5], v[4:5], v[38:39]
	v_fmac_f64_e32 v[18:19], v[22:23], v[36:37]
	v_fmac_f64_e32 v[4:5], v[6:7], v[36:37]
	v_add_f64 v[22:23], v[18:19], v[54:55]
	v_add_f64 v[16:17], v[40:41], v[16:17]
	;; [unrolled: 1-line block ×5, first 2 shown]
	v_lshl_add_u64 v[8:9], v[8:9], 0, s[22:23]
	s_cmp_lt_i32 s5, s7
	v_lshl_add_u64 v[10:11], v[10:11], 0, s[22:23]
	s_barrier
	s_cbranch_scc0 .LBB420_14
.LBB420_8:                              ; =>This Inner Loop Header: Depth=1
	v_add_u32_e32 v4, s5, v31
	v_cmp_gt_i32_e64 s[2:3], s7, v4
	s_and_b64 s[26:27], vcc, s[2:3]
	v_mov_b64_e32 v[4:5], 0
	v_mov_b64_e32 v[6:7], 0
	s_and_saveexec_b64 s[2:3], s[26:27]
	s_cbranch_execz .LBB420_10
; %bb.9:                                ;   in Loop: Header=BB420_8 Depth=1
	flat_load_dwordx4 v[4:7], v[8:9]
	s_waitcnt vmcnt(0) lgkmcnt(0)
	v_xor_b32_e32 v7, 0x80000000, v7
.LBB420_10:                             ;   in Loop: Header=BB420_8 Depth=1
	s_or_b64 exec, exec, s[2:3]
	ds_write_b128 v32, v[4:7]
	v_add_u32_e32 v4, s5, v30
	v_cmp_le_i32_e64 s[2:3], s7, v4
	s_or_b64 s[2:3], s[2:3], s[8:9]
	s_and_saveexec_b64 s[26:27], s[2:3]
	s_xor_b64 s[2:3], exec, s[26:27]
; %bb.11:                               ;   in Loop: Header=BB420_8 Depth=1
	ds_write_b128 v33, v[0:3]
; %bb.12:                               ;   in Loop: Header=BB420_8 Depth=1
	s_andn2_saveexec_b64 s[2:3], s[2:3]
	s_cbranch_execz .LBB420_7
; %bb.13:                               ;   in Loop: Header=BB420_8 Depth=1
	flat_load_dwordx4 v[4:7], v[10:11]
	s_waitcnt vmcnt(0) lgkmcnt(0)
	ds_write2_b64 v33, v[4:5], v[6:7] offset1:1
	s_branch .LBB420_7
.LBB420_14:
	s_load_dwordx2 s[2:3], s[0:1], 0x68
	s_load_dword s7, s[0:1], 0x60
	v_add_u32_e32 v4, s4, v28
	v_add_u32_e32 v10, s24, v29
	v_cmp_neq_f64_e64 s[0:1], s[10:11], 0
	s_waitcnt lgkmcnt(0)
	s_lshl_b64 s[2:3], s[2:3], 4
	s_add_u32 s4, s14, s2
	s_addc_u32 s5, s15, s3
	s_xor_b64 s[8:9], s[20:21], -1
	v_mad_i64_i32 v[0:1], s[14:15], v10, s7, 0
	s_or_b64 s[0:1], s[0:1], s[8:9]
	v_cmp_gt_i32_e64 s[2:3], s6, v10
	v_lshl_add_u64 v[8:9], v[0:1], 4, s[4:5]
	v_cmp_le_i32_e32 vcc, v4, v10
	v_cndmask_b32_e64 v0, 0, 1, s[0:1]
	s_and_b64 s[14:15], s[2:3], vcc
	v_ashrrev_i32_e32 v5, 31, v4
	v_cmp_ne_u32_e64 s[0:1], 1, v0
	s_and_saveexec_b64 s[8:9], s[14:15]
	s_cbranch_execz .LBB420_18
; %bb.15:
	v_mul_f64 v[0:1], s[18:19], v[26:27]
	v_mul_f64 v[2:3], s[16:17], v[26:27]
	v_fma_f64 v[0:1], s[16:17], v[24:25], -v[0:1]
	v_fmac_f64_e32 v[2:3], s[18:19], v[24:25]
	s_and_b64 vcc, exec, s[0:1]
	v_lshl_add_u64 v[6:7], v[4:5], 4, v[8:9]
	s_cbranch_vccnz .LBB420_17
; %bb.16:
	flat_load_dwordx4 v[24:27], v[6:7]
	s_waitcnt vmcnt(0) lgkmcnt(0)
	v_mul_f64 v[28:29], s[12:13], v[26:27]
	v_mul_f64 v[26:27], s[10:11], v[26:27]
	v_fma_f64 v[28:29], s[10:11], v[24:25], -v[28:29]
	v_fmac_f64_e32 v[26:27], s[12:13], v[24:25]
	v_add_f64 v[0:1], v[0:1], v[28:29]
	v_add_f64 v[2:3], v[2:3], v[26:27]
.LBB420_17:
	flat_store_dwordx4 v[6:7], v[0:3]
.LBB420_18:
	s_or_b64 exec, exec, s[8:9]
	v_add_u32_e32 v6, 16, v4
	v_cmp_le_i32_e32 vcc, v6, v10
	s_and_b64 s[8:9], s[2:3], vcc
	v_ashrrev_i32_e32 v7, 31, v6
	s_and_saveexec_b64 s[2:3], s[8:9]
	s_cbranch_execz .LBB420_22
; %bb.19:
	v_mul_f64 v[0:1], s[18:19], v[22:23]
	v_mul_f64 v[2:3], s[16:17], v[22:23]
	v_fma_f64 v[0:1], s[16:17], v[20:21], -v[0:1]
	v_fmac_f64_e32 v[2:3], s[18:19], v[20:21]
	s_and_b64 vcc, exec, s[0:1]
	v_lshl_add_u64 v[8:9], v[6:7], 4, v[8:9]
	s_cbranch_vccnz .LBB420_21
; %bb.20:
	flat_load_dwordx4 v[20:23], v[8:9]
	s_waitcnt vmcnt(0) lgkmcnt(0)
	v_mul_f64 v[24:25], s[12:13], v[22:23]
	v_mul_f64 v[22:23], s[10:11], v[22:23]
	v_fma_f64 v[24:25], s[10:11], v[20:21], -v[24:25]
	v_fmac_f64_e32 v[22:23], s[12:13], v[20:21]
	v_add_f64 v[0:1], v[0:1], v[24:25]
	v_add_f64 v[2:3], v[2:3], v[22:23]
.LBB420_21:
	flat_store_dwordx4 v[8:9], v[0:3]
.LBB420_22:
	s_or_b64 exec, exec, s[2:3]
	v_add_u32_e32 v10, 16, v10
	v_cmp_gt_i32_e64 s[2:3], s6, v10
	v_mad_i64_i32 v[0:1], s[6:7], v10, s7, 0
	v_cmp_le_i32_e32 vcc, v4, v10
	v_lshl_add_u64 v[8:9], v[0:1], 4, s[4:5]
	s_and_b64 s[6:7], s[2:3], vcc
	s_and_saveexec_b64 s[4:5], s[6:7]
	s_cbranch_execz .LBB420_26
; %bb.23:
	v_mul_f64 v[0:1], s[18:19], v[18:19]
	v_mul_f64 v[2:3], s[16:17], v[18:19]
	v_fma_f64 v[0:1], s[16:17], v[16:17], -v[0:1]
	v_fmac_f64_e32 v[2:3], s[18:19], v[16:17]
	s_and_b64 vcc, exec, s[0:1]
	v_lshl_add_u64 v[4:5], v[4:5], 4, v[8:9]
	s_cbranch_vccnz .LBB420_25
; %bb.24:
	flat_load_dwordx4 v[16:19], v[4:5]
	s_waitcnt vmcnt(0) lgkmcnt(0)
	v_mul_f64 v[20:21], s[12:13], v[18:19]
	v_mul_f64 v[18:19], s[10:11], v[18:19]
	v_fma_f64 v[20:21], s[10:11], v[16:17], -v[20:21]
	v_fmac_f64_e32 v[18:19], s[12:13], v[16:17]
	v_add_f64 v[0:1], v[0:1], v[20:21]
	v_add_f64 v[2:3], v[2:3], v[18:19]
.LBB420_25:
	flat_store_dwordx4 v[4:5], v[0:3]
.LBB420_26:
	s_or_b64 exec, exec, s[4:5]
	v_cmp_le_i32_e32 vcc, v6, v10
	s_and_b64 s[2:3], s[2:3], vcc
	s_and_saveexec_b64 s[4:5], s[2:3]
	s_cbranch_execz .LBB420_30
; %bb.27:
	v_mul_f64 v[0:1], s[18:19], v[12:13]
	v_mul_f64 v[2:3], s[16:17], v[12:13]
	v_fma_f64 v[0:1], s[16:17], v[14:15], -v[0:1]
	v_fmac_f64_e32 v[2:3], s[18:19], v[14:15]
	s_and_b64 vcc, exec, s[0:1]
	v_lshl_add_u64 v[4:5], v[6:7], 4, v[8:9]
	s_cbranch_vccnz .LBB420_29
; %bb.28:
	flat_load_dwordx4 v[6:9], v[4:5]
	s_waitcnt vmcnt(0) lgkmcnt(0)
	v_mul_f64 v[10:11], s[12:13], v[8:9]
	v_mul_f64 v[8:9], s[10:11], v[8:9]
	v_fma_f64 v[10:11], s[10:11], v[6:7], -v[10:11]
	v_fmac_f64_e32 v[8:9], s[12:13], v[6:7]
	v_add_f64 v[0:1], v[0:1], v[10:11]
	v_add_f64 v[2:3], v[2:3], v[8:9]
.LBB420_29:
	flat_store_dwordx4 v[4:5], v[0:3]
.LBB420_30:
	s_endpgm
	.section	.rodata,"a",@progbits
	.p2align	6, 0x0
	.amdhsa_kernel _ZL29rocblas_internal_gemmt_kernelIiLi16ELi32ELi8ELc67ELc78ELc85ELb1ELb0E19rocblas_complex_numIdES1_PKPKS1_PKPS1_EviT_T9_T10_S9_lSB_S9_lSA_T11_S9_li
		.amdhsa_group_segment_fixed_size 8192
		.amdhsa_private_segment_fixed_size 0
		.amdhsa_kernarg_size 116
		.amdhsa_user_sgpr_count 2
		.amdhsa_user_sgpr_dispatch_ptr 0
		.amdhsa_user_sgpr_queue_ptr 0
		.amdhsa_user_sgpr_kernarg_segment_ptr 1
		.amdhsa_user_sgpr_dispatch_id 0
		.amdhsa_user_sgpr_kernarg_preload_length 0
		.amdhsa_user_sgpr_kernarg_preload_offset 0
		.amdhsa_user_sgpr_private_segment_size 0
		.amdhsa_uses_dynamic_stack 0
		.amdhsa_enable_private_segment 0
		.amdhsa_system_sgpr_workgroup_id_x 1
		.amdhsa_system_sgpr_workgroup_id_y 1
		.amdhsa_system_sgpr_workgroup_id_z 1
		.amdhsa_system_sgpr_workgroup_info 0
		.amdhsa_system_vgpr_workitem_id 1
		.amdhsa_next_free_vgpr 62
		.amdhsa_next_free_sgpr 34
		.amdhsa_accum_offset 64
		.amdhsa_reserve_vcc 1
		.amdhsa_float_round_mode_32 0
		.amdhsa_float_round_mode_16_64 0
		.amdhsa_float_denorm_mode_32 3
		.amdhsa_float_denorm_mode_16_64 3
		.amdhsa_dx10_clamp 1
		.amdhsa_ieee_mode 1
		.amdhsa_fp16_overflow 0
		.amdhsa_tg_split 0
		.amdhsa_exception_fp_ieee_invalid_op 0
		.amdhsa_exception_fp_denorm_src 0
		.amdhsa_exception_fp_ieee_div_zero 0
		.amdhsa_exception_fp_ieee_overflow 0
		.amdhsa_exception_fp_ieee_underflow 0
		.amdhsa_exception_fp_ieee_inexact 0
		.amdhsa_exception_int_div_zero 0
	.end_amdhsa_kernel
	.section	.text._ZL29rocblas_internal_gemmt_kernelIiLi16ELi32ELi8ELc67ELc78ELc85ELb1ELb0E19rocblas_complex_numIdES1_PKPKS1_PKPS1_EviT_T9_T10_S9_lSB_S9_lSA_T11_S9_li,"axG",@progbits,_ZL29rocblas_internal_gemmt_kernelIiLi16ELi32ELi8ELc67ELc78ELc85ELb1ELb0E19rocblas_complex_numIdES1_PKPKS1_PKPS1_EviT_T9_T10_S9_lSB_S9_lSA_T11_S9_li,comdat
.Lfunc_end420:
	.size	_ZL29rocblas_internal_gemmt_kernelIiLi16ELi32ELi8ELc67ELc78ELc85ELb1ELb0E19rocblas_complex_numIdES1_PKPKS1_PKPS1_EviT_T9_T10_S9_lSB_S9_lSA_T11_S9_li, .Lfunc_end420-_ZL29rocblas_internal_gemmt_kernelIiLi16ELi32ELi8ELc67ELc78ELc85ELb1ELb0E19rocblas_complex_numIdES1_PKPKS1_PKPS1_EviT_T9_T10_S9_lSB_S9_lSA_T11_S9_li
                                        ; -- End function
	.set _ZL29rocblas_internal_gemmt_kernelIiLi16ELi32ELi8ELc67ELc78ELc85ELb1ELb0E19rocblas_complex_numIdES1_PKPKS1_PKPS1_EviT_T9_T10_S9_lSB_S9_lSA_T11_S9_li.num_vgpr, 62
	.set _ZL29rocblas_internal_gemmt_kernelIiLi16ELi32ELi8ELc67ELc78ELc85ELb1ELb0E19rocblas_complex_numIdES1_PKPKS1_PKPS1_EviT_T9_T10_S9_lSB_S9_lSA_T11_S9_li.num_agpr, 0
	.set _ZL29rocblas_internal_gemmt_kernelIiLi16ELi32ELi8ELc67ELc78ELc85ELb1ELb0E19rocblas_complex_numIdES1_PKPKS1_PKPS1_EviT_T9_T10_S9_lSB_S9_lSA_T11_S9_li.numbered_sgpr, 34
	.set _ZL29rocblas_internal_gemmt_kernelIiLi16ELi32ELi8ELc67ELc78ELc85ELb1ELb0E19rocblas_complex_numIdES1_PKPKS1_PKPS1_EviT_T9_T10_S9_lSB_S9_lSA_T11_S9_li.num_named_barrier, 0
	.set _ZL29rocblas_internal_gemmt_kernelIiLi16ELi32ELi8ELc67ELc78ELc85ELb1ELb0E19rocblas_complex_numIdES1_PKPKS1_PKPS1_EviT_T9_T10_S9_lSB_S9_lSA_T11_S9_li.private_seg_size, 0
	.set _ZL29rocblas_internal_gemmt_kernelIiLi16ELi32ELi8ELc67ELc78ELc85ELb1ELb0E19rocblas_complex_numIdES1_PKPKS1_PKPS1_EviT_T9_T10_S9_lSB_S9_lSA_T11_S9_li.uses_vcc, 1
	.set _ZL29rocblas_internal_gemmt_kernelIiLi16ELi32ELi8ELc67ELc78ELc85ELb1ELb0E19rocblas_complex_numIdES1_PKPKS1_PKPS1_EviT_T9_T10_S9_lSB_S9_lSA_T11_S9_li.uses_flat_scratch, 0
	.set _ZL29rocblas_internal_gemmt_kernelIiLi16ELi32ELi8ELc67ELc78ELc85ELb1ELb0E19rocblas_complex_numIdES1_PKPKS1_PKPS1_EviT_T9_T10_S9_lSB_S9_lSA_T11_S9_li.has_dyn_sized_stack, 0
	.set _ZL29rocblas_internal_gemmt_kernelIiLi16ELi32ELi8ELc67ELc78ELc85ELb1ELb0E19rocblas_complex_numIdES1_PKPKS1_PKPS1_EviT_T9_T10_S9_lSB_S9_lSA_T11_S9_li.has_recursion, 0
	.set _ZL29rocblas_internal_gemmt_kernelIiLi16ELi32ELi8ELc67ELc78ELc85ELb1ELb0E19rocblas_complex_numIdES1_PKPKS1_PKPS1_EviT_T9_T10_S9_lSB_S9_lSA_T11_S9_li.has_indirect_call, 0
	.section	.AMDGPU.csdata,"",@progbits
; Kernel info:
; codeLenInByte = 3104
; TotalNumSgprs: 40
; NumVgprs: 62
; NumAgprs: 0
; TotalNumVgprs: 62
; ScratchSize: 0
; MemoryBound: 1
; FloatMode: 240
; IeeeMode: 1
; LDSByteSize: 8192 bytes/workgroup (compile time only)
; SGPRBlocks: 4
; VGPRBlocks: 7
; NumSGPRsForWavesPerEU: 40
; NumVGPRsForWavesPerEU: 62
; AccumOffset: 64
; Occupancy: 8
; WaveLimiterHint : 1
; COMPUTE_PGM_RSRC2:SCRATCH_EN: 0
; COMPUTE_PGM_RSRC2:USER_SGPR: 2
; COMPUTE_PGM_RSRC2:TRAP_HANDLER: 0
; COMPUTE_PGM_RSRC2:TGID_X_EN: 1
; COMPUTE_PGM_RSRC2:TGID_Y_EN: 1
; COMPUTE_PGM_RSRC2:TGID_Z_EN: 1
; COMPUTE_PGM_RSRC2:TIDIG_COMP_CNT: 1
; COMPUTE_PGM_RSRC3_GFX90A:ACCUM_OFFSET: 15
; COMPUTE_PGM_RSRC3_GFX90A:TG_SPLIT: 0
	.section	.text._ZL29rocblas_internal_gemmt_kernelIiLi16ELi32ELi8ELc67ELc84ELc85ELb1ELb0E19rocblas_complex_numIdES1_PKPKS1_PKPS1_EviT_T9_T10_S9_lSB_S9_lSA_T11_S9_li,"axG",@progbits,_ZL29rocblas_internal_gemmt_kernelIiLi16ELi32ELi8ELc67ELc84ELc85ELb1ELb0E19rocblas_complex_numIdES1_PKPKS1_PKPS1_EviT_T9_T10_S9_lSB_S9_lSA_T11_S9_li,comdat
	.globl	_ZL29rocblas_internal_gemmt_kernelIiLi16ELi32ELi8ELc67ELc84ELc85ELb1ELb0E19rocblas_complex_numIdES1_PKPKS1_PKPS1_EviT_T9_T10_S9_lSB_S9_lSA_T11_S9_li ; -- Begin function _ZL29rocblas_internal_gemmt_kernelIiLi16ELi32ELi8ELc67ELc84ELc85ELb1ELb0E19rocblas_complex_numIdES1_PKPKS1_PKPS1_EviT_T9_T10_S9_lSB_S9_lSA_T11_S9_li
	.p2align	8
	.type	_ZL29rocblas_internal_gemmt_kernelIiLi16ELi32ELi8ELc67ELc84ELc85ELb1ELb0E19rocblas_complex_numIdES1_PKPKS1_PKPS1_EviT_T9_T10_S9_lSB_S9_lSA_T11_S9_li,@function
_ZL29rocblas_internal_gemmt_kernelIiLi16ELi32ELi8ELc67ELc84ELc85ELb1ELb0E19rocblas_complex_numIdES1_PKPKS1_PKPS1_EviT_T9_T10_S9_lSB_S9_lSA_T11_S9_li: ; @_ZL29rocblas_internal_gemmt_kernelIiLi16ELi32ELi8ELc67ELc84ELc85ELb1ELb0E19rocblas_complex_numIdES1_PKPKS1_PKPS1_EviT_T9_T10_S9_lSB_S9_lSA_T11_S9_li
; %bb.0:
	s_load_dwordx8 s[8:15], s[0:1], 0x40
	s_load_dwordx2 s[6:7], s[0:1], 0x0
	s_load_dwordx4 s[16:19], s[0:1], 0x8
	s_mov_b64 s[22:23], 0
	s_waitcnt lgkmcnt(0)
	v_cmp_eq_f64_e64 s[24:25], s[10:11], 1.0
	v_cmp_eq_f64_e64 s[20:21], s[12:13], 0
	s_and_b64 s[24:25], s[24:25], s[20:21]
	s_andn2_b64 vcc, exec, s[24:25]
	s_mov_b64 s[24:25], -1
	s_cbranch_vccnz .LBB421_4
; %bb.1:
	s_cmp_lg_u32 s7, 0
	s_cbranch_scc0 .LBB421_3
; %bb.2:
	v_cmp_neq_f64_e64 s[22:23], s[16:17], 0
	v_cmp_neq_f64_e64 s[24:25], s[18:19], 0
	s_or_b64 s[22:23], s[22:23], s[24:25]
.LBB421_3:
	s_mov_b64 s[24:25], s[22:23]
.LBB421_4:
	s_and_b64 vcc, exec, s[24:25]
	s_cbranch_vccz .LBB421_30
; %bb.5:
	s_mov_b32 s5, 0
	s_lshl_b64 s[22:23], s[4:5], 3
	s_add_u32 s14, s14, s22
	s_addc_u32 s15, s15, s23
	s_lshl_b32 s4, s2, 5
	s_lshl_b32 s26, s3, 5
	v_cmp_eq_f64_e64 s[2:3], s[16:17], 0
	v_cmp_eq_f64_e64 s[24:25], s[18:19], 0
	s_load_dwordx2 s[14:15], s[14:15], 0x0
	s_and_b64 s[2:3], s[2:3], s[24:25]
	s_cmp_lt_i32 s7, 1
	s_cselect_b64 s[24:25], -1, 0
	s_or_b64 s[2:3], s[2:3], s[24:25]
	v_and_b32_e32 v28, 0x3ff, v0
	v_bfe_u32 v29, v0, 10, 10
	v_mov_b64_e32 v[24:25], 0
	s_and_b64 vcc, exec, s[2:3]
	v_mov_b64_e32 v[26:27], 0
	v_mov_b64_e32 v[20:21], 0
	;; [unrolled: 1-line block ×7, first 2 shown]
	s_cbranch_vccnz .LBB421_14
; %bb.6:
	s_load_dwordx4 s[28:31], s[0:1], 0x28
	s_load_dword s24, s[0:1], 0x38
	s_load_dwordx2 s[2:3], s[0:1], 0x18
	s_load_dword s27, s[0:1], 0x20
	v_lshl_add_u32 v0, v29, 4, v28
	v_lshrrev_b32_e32 v31, 5, v0
	v_lshrrev_b32_e32 v1, 3, v0
	s_waitcnt lgkmcnt(0)
	s_ashr_i32 s25, s24, 31
	v_and_b32_e32 v0, 31, v0
	s_add_u32 s30, s30, s22
	v_or_b32_e32 v3, s4, v0
	s_addc_u32 s31, s31, s23
	v_and_b32_e32 v30, 7, v28
	s_add_u32 s2, s2, s22
	v_cmp_gt_i32_e32 vcc, s6, v3
	v_lshlrev_b32_e32 v3, 4, v0
	s_addc_u32 s3, s3, s23
	v_lshl_or_b32 v32, v31, 9, v3
	v_lshlrev_b32_e32 v3, 4, v30
	v_add_u32_e32 v2, s26, v1
	s_load_dwordx2 s[22:23], s[2:3], 0x0
	v_lshl_or_b32 v1, v1, 7, v3
	v_add_u32_e32 v33, 0x1000, v1
	v_mov_b32_e32 v1, 0x1000
	v_add_u32_e32 v0, s4, v0
	v_lshl_add_u32 v35, v29, 7, v1
	v_mad_i64_i32 v[0:1], s[34:35], s27, v0, 0
	s_lshl_b64 s[28:29], s[28:29], 4
	s_load_dwordx2 s[30:31], s[30:31], 0x0
	v_lshl_add_u64 v[4:5], v[0:1], 4, s[28:29]
	v_lshlrev_b32_e32 v0, 4, v31
	v_mov_b32_e32 v1, 0
	v_lshl_add_u64 v[4:5], v[4:5], 0, v[0:1]
	s_waitcnt lgkmcnt(0)
	v_lshl_add_u64 v[8:9], s[22:23], 0, v[4:5]
	v_mad_i64_i32 v[4:5], s[22:23], s24, v30, 0
	s_lshl_b64 s[8:9], s[8:9], 4
	v_ashrrev_i32_e32 v3, 31, v2
	v_lshl_add_u64 v[4:5], v[4:5], 4, s[8:9]
	v_cmp_gt_i32_e64 s[2:3], s6, v2
	v_lshl_add_u64 v[2:3], v[2:3], 4, v[4:5]
	v_lshlrev_b32_e32 v34, 4, v28
	v_lshl_add_u64 v[10:11], s[30:31], 0, v[2:3]
	s_lshl_b64 s[8:9], s[24:25], 7
	v_mov_b64_e32 v[12:13], 0
	s_xor_b64 s[22:23], s[2:3], -1
	s_mov_b64 s[24:25], 0x80
	v_mov_b32_e32 v0, v1
	v_mov_b32_e32 v2, v1
	;; [unrolled: 1-line block ×3, first 2 shown]
	v_mov_b64_e32 v[14:15], 0
	v_mov_b64_e32 v[18:19], 0
	;; [unrolled: 1-line block ×7, first 2 shown]
	s_branch .LBB421_8
.LBB421_7:                              ;   in Loop: Header=BB421_8 Depth=1
	s_or_b64 exec, exec, s[2:3]
	s_waitcnt lgkmcnt(0)
	s_barrier
	ds_read_b128 v[4:7], v34
	ds_read_b128 v[36:39], v35
	ds_read_b128 v[40:43], v35 offset:16
	ds_read_b128 v[44:47], v35 offset:32
	;; [unrolled: 1-line block ×4, first 2 shown]
	s_waitcnt lgkmcnt(4)
	v_mul_f64 v[56:57], v[38:39], v[6:7]
	v_fma_f64 v[56:57], v[36:37], v[4:5], -v[56:57]
	v_mul_f64 v[58:59], v[36:37], v[6:7]
	v_fmac_f64_e32 v[58:59], v[38:39], v[4:5]
	v_add_f64 v[56:57], v[24:25], v[56:57]
	s_waitcnt lgkmcnt(0)
	v_mul_f64 v[24:25], v[38:39], v[54:55]
	v_add_f64 v[58:59], v[58:59], v[26:27]
	v_fma_f64 v[60:61], v[36:37], v[52:53], -v[24:25]
	ds_read_b128 v[24:27], v35 offset:2048
	v_mul_f64 v[36:37], v[36:37], v[54:55]
	v_fmac_f64_e32 v[36:37], v[38:39], v[52:53]
	v_add_f64 v[38:39], v[20:21], v[60:61]
	v_add_f64 v[36:37], v[36:37], v[22:23]
	ds_read_b128 v[20:23], v35 offset:2064
	s_waitcnt lgkmcnt(1)
	v_mul_f64 v[60:61], v[26:27], v[6:7]
	v_mul_f64 v[6:7], v[24:25], v[6:7]
	v_fma_f64 v[60:61], v[24:25], v[4:5], -v[60:61]
	v_fmac_f64_e32 v[6:7], v[26:27], v[4:5]
	v_mul_f64 v[4:5], v[26:27], v[54:55]
	v_add_f64 v[16:17], v[16:17], v[60:61]
	v_add_f64 v[18:19], v[6:7], v[18:19]
	v_fma_f64 v[60:61], v[24:25], v[52:53], -v[4:5]
	v_mul_f64 v[24:25], v[24:25], v[54:55]
	ds_read_b128 v[4:7], v34 offset:512
	v_fmac_f64_e32 v[24:25], v[26:27], v[52:53]
	v_add_f64 v[26:27], v[14:15], v[60:61]
	v_add_f64 v[24:25], v[24:25], v[12:13]
	ds_read_b128 v[12:15], v34 offset:768
	s_waitcnt lgkmcnt(1)
	v_mul_f64 v[52:53], v[42:43], v[6:7]
	v_fma_f64 v[52:53], v[40:41], v[4:5], -v[52:53]
	v_add_f64 v[52:53], v[56:57], v[52:53]
	v_mul_f64 v[54:55], v[40:41], v[6:7]
	s_waitcnt lgkmcnt(0)
	v_mul_f64 v[56:57], v[42:43], v[14:15]
	v_fma_f64 v[56:57], v[40:41], v[12:13], -v[56:57]
	v_mul_f64 v[40:41], v[40:41], v[14:15]
	v_fmac_f64_e32 v[40:41], v[42:43], v[12:13]
	v_add_f64 v[36:37], v[40:41], v[36:37]
	v_mul_f64 v[40:41], v[22:23], v[6:7]
	v_mul_f64 v[6:7], v[20:21], v[6:7]
	v_fmac_f64_e32 v[54:55], v[42:43], v[4:5]
	v_fma_f64 v[40:41], v[20:21], v[4:5], -v[40:41]
	v_fmac_f64_e32 v[6:7], v[22:23], v[4:5]
	v_mul_f64 v[4:5], v[22:23], v[14:15]
	v_add_f64 v[40:41], v[16:17], v[40:41]
	v_add_f64 v[42:43], v[6:7], v[18:19]
	v_fma_f64 v[16:17], v[20:21], v[12:13], -v[4:5]
	v_mul_f64 v[14:15], v[20:21], v[14:15]
	ds_read_b128 v[4:7], v34 offset:1024
	v_fmac_f64_e32 v[14:15], v[22:23], v[12:13]
	v_add_f64 v[24:25], v[14:15], v[24:25]
	ds_read_b128 v[12:15], v34 offset:1280
	v_add_f64 v[26:27], v[26:27], v[16:17]
	s_waitcnt lgkmcnt(1)
	v_mul_f64 v[16:17], v[46:47], v[6:7]
	v_fma_f64 v[16:17], v[44:45], v[4:5], -v[16:17]
	v_mul_f64 v[18:19], v[44:45], v[6:7]
	v_add_f64 v[54:55], v[54:55], v[58:59]
	v_fmac_f64_e32 v[18:19], v[46:47], v[4:5]
	v_add_f64 v[52:53], v[52:53], v[16:17]
	s_waitcnt lgkmcnt(0)
	v_mul_f64 v[16:17], v[46:47], v[14:15]
	v_add_f64 v[54:55], v[18:19], v[54:55]
	v_fma_f64 v[20:21], v[44:45], v[12:13], -v[16:17]
	ds_read_b128 v[16:19], v35 offset:2080
	v_mul_f64 v[22:23], v[44:45], v[14:15]
	v_add_f64 v[38:39], v[38:39], v[56:57]
	v_fmac_f64_e32 v[22:23], v[46:47], v[12:13]
	v_add_f64 v[38:39], v[38:39], v[20:21]
	v_add_f64 v[36:37], v[22:23], v[36:37]
	ds_read_b128 v[20:23], v35 offset:2096
	s_waitcnt lgkmcnt(1)
	v_mul_f64 v[44:45], v[18:19], v[6:7]
	v_mul_f64 v[6:7], v[16:17], v[6:7]
	v_fma_f64 v[44:45], v[16:17], v[4:5], -v[44:45]
	v_fmac_f64_e32 v[6:7], v[18:19], v[4:5]
	v_mul_f64 v[4:5], v[18:19], v[14:15]
	v_mul_f64 v[14:15], v[16:17], v[14:15]
	v_fmac_f64_e32 v[14:15], v[18:19], v[12:13]
	v_add_f64 v[40:41], v[40:41], v[44:45]
	v_add_f64 v[42:43], v[6:7], v[42:43]
	v_fma_f64 v[44:45], v[16:17], v[12:13], -v[4:5]
	ds_read_b128 v[4:7], v34 offset:1536
	v_add_f64 v[18:19], v[14:15], v[24:25]
	ds_read_b128 v[12:15], v34 offset:1792
	v_add_f64 v[16:17], v[26:27], v[44:45]
	s_add_i32 s5, s5, 8
	s_waitcnt lgkmcnt(1)
	v_mul_f64 v[24:25], v[50:51], v[6:7]
	v_mul_f64 v[26:27], v[48:49], v[6:7]
	s_waitcnt lgkmcnt(0)
	v_mul_f64 v[44:45], v[50:51], v[14:15]
	v_fma_f64 v[44:45], v[48:49], v[12:13], -v[44:45]
	v_add_f64 v[38:39], v[38:39], v[44:45]
	v_mul_f64 v[44:45], v[22:23], v[6:7]
	v_mul_f64 v[6:7], v[20:21], v[6:7]
	v_fma_f64 v[24:25], v[48:49], v[4:5], -v[24:25]
	v_fmac_f64_e32 v[26:27], v[50:51], v[4:5]
	v_fma_f64 v[44:45], v[20:21], v[4:5], -v[44:45]
	v_fmac_f64_e32 v[6:7], v[22:23], v[4:5]
	v_mul_f64 v[4:5], v[22:23], v[14:15]
	v_mul_f64 v[46:47], v[48:49], v[14:15]
	v_add_f64 v[40:41], v[40:41], v[44:45]
	v_fma_f64 v[44:45], v[20:21], v[12:13], -v[4:5]
	v_mul_f64 v[20:21], v[20:21], v[14:15]
	v_fmac_f64_e32 v[46:47], v[50:51], v[12:13]
	v_add_f64 v[42:43], v[6:7], v[42:43]
	v_fmac_f64_e32 v[20:21], v[22:23], v[12:13]
	ds_read_b128 v[4:7], v35 offset:64
	ds_read_b128 v[12:15], v34 offset:2048
	v_add_f64 v[36:37], v[46:47], v[36:37]
	v_add_f64 v[44:45], v[16:17], v[44:45]
	;; [unrolled: 1-line block ×3, first 2 shown]
	ds_read_b128 v[16:19], v34 offset:2304
	ds_read_b128 v[20:23], v35 offset:80
	s_waitcnt lgkmcnt(2)
	v_mul_f64 v[48:49], v[6:7], v[14:15]
	v_add_f64 v[24:25], v[52:53], v[24:25]
	v_fma_f64 v[48:49], v[4:5], v[12:13], -v[48:49]
	v_mul_f64 v[50:51], v[4:5], v[14:15]
	v_add_f64 v[26:27], v[26:27], v[54:55]
	v_fmac_f64_e32 v[50:51], v[6:7], v[12:13]
	v_add_f64 v[48:49], v[24:25], v[48:49]
	s_waitcnt lgkmcnt(1)
	v_mul_f64 v[24:25], v[6:7], v[18:19]
	v_add_f64 v[50:51], v[50:51], v[26:27]
	v_fma_f64 v[52:53], v[4:5], v[16:17], -v[24:25]
	ds_read_b128 v[24:27], v35 offset:2112
	v_mul_f64 v[4:5], v[4:5], v[18:19]
	v_fmac_f64_e32 v[4:5], v[6:7], v[16:17]
	v_add_f64 v[38:39], v[38:39], v[52:53]
	v_add_f64 v[36:37], v[4:5], v[36:37]
	ds_read_b128 v[4:7], v35 offset:2128
	s_waitcnt lgkmcnt(1)
	v_mul_f64 v[52:53], v[26:27], v[14:15]
	v_mul_f64 v[14:15], v[24:25], v[14:15]
	v_fma_f64 v[52:53], v[24:25], v[12:13], -v[52:53]
	v_fmac_f64_e32 v[14:15], v[26:27], v[12:13]
	v_mul_f64 v[12:13], v[26:27], v[18:19]
	v_add_f64 v[40:41], v[40:41], v[52:53]
	v_add_f64 v[42:43], v[14:15], v[42:43]
	v_fma_f64 v[52:53], v[24:25], v[16:17], -v[12:13]
	v_mul_f64 v[18:19], v[24:25], v[18:19]
	ds_read_b128 v[12:15], v34 offset:2560
	v_fmac_f64_e32 v[18:19], v[26:27], v[16:17]
	v_add_f64 v[26:27], v[18:19], v[46:47]
	ds_read_b128 v[16:19], v34 offset:2816
	v_add_f64 v[24:25], v[44:45], v[52:53]
	s_waitcnt lgkmcnt(1)
	v_mul_f64 v[44:45], v[22:23], v[14:15]
	v_fma_f64 v[44:45], v[20:21], v[12:13], -v[44:45]
	v_add_f64 v[44:45], v[48:49], v[44:45]
	s_waitcnt lgkmcnt(0)
	v_mul_f64 v[48:49], v[22:23], v[18:19]
	v_mul_f64 v[46:47], v[20:21], v[14:15]
	v_fma_f64 v[48:49], v[20:21], v[16:17], -v[48:49]
	v_mul_f64 v[20:21], v[20:21], v[18:19]
	v_fmac_f64_e32 v[20:21], v[22:23], v[16:17]
	v_add_f64 v[36:37], v[20:21], v[36:37]
	v_mul_f64 v[20:21], v[6:7], v[14:15]
	v_mul_f64 v[14:15], v[4:5], v[14:15]
	v_fmac_f64_e32 v[46:47], v[22:23], v[12:13]
	v_fma_f64 v[20:21], v[4:5], v[12:13], -v[20:21]
	v_fmac_f64_e32 v[14:15], v[6:7], v[12:13]
	v_mul_f64 v[12:13], v[6:7], v[18:19]
	v_mul_f64 v[18:19], v[4:5], v[18:19]
	v_add_f64 v[40:41], v[40:41], v[20:21]
	v_add_f64 v[42:43], v[14:15], v[42:43]
	v_fma_f64 v[20:21], v[4:5], v[16:17], -v[12:13]
	v_fmac_f64_e32 v[18:19], v[6:7], v[16:17]
	ds_read_b128 v[4:7], v35 offset:96
	ds_read_b128 v[12:15], v34 offset:3072
	v_add_f64 v[46:47], v[46:47], v[50:51]
	v_add_f64 v[38:39], v[38:39], v[48:49]
	;; [unrolled: 1-line block ×4, first 2 shown]
	ds_read_b128 v[16:19], v34 offset:3328
	ds_read_b128 v[20:23], v35 offset:112
	s_waitcnt lgkmcnt(2)
	v_mul_f64 v[24:25], v[6:7], v[14:15]
	v_fma_f64 v[24:25], v[4:5], v[12:13], -v[24:25]
	v_mul_f64 v[26:27], v[4:5], v[14:15]
	v_fmac_f64_e32 v[26:27], v[6:7], v[12:13]
	v_add_f64 v[44:45], v[44:45], v[24:25]
	s_waitcnt lgkmcnt(1)
	v_mul_f64 v[24:25], v[6:7], v[18:19]
	v_add_f64 v[46:47], v[26:27], v[46:47]
	v_fma_f64 v[52:53], v[4:5], v[16:17], -v[24:25]
	ds_read_b128 v[24:27], v35 offset:2144
	v_mul_f64 v[4:5], v[4:5], v[18:19]
	v_fmac_f64_e32 v[4:5], v[6:7], v[16:17]
	v_add_f64 v[54:55], v[4:5], v[36:37]
	ds_read_b128 v[4:7], v35 offset:2160
	s_waitcnt lgkmcnt(1)
	v_mul_f64 v[36:37], v[26:27], v[14:15]
	v_mul_f64 v[14:15], v[24:25], v[14:15]
	v_fma_f64 v[36:37], v[24:25], v[12:13], -v[36:37]
	v_fmac_f64_e32 v[14:15], v[26:27], v[12:13]
	v_mul_f64 v[12:13], v[26:27], v[18:19]
	v_add_f64 v[40:41], v[40:41], v[36:37]
	v_add_f64 v[42:43], v[14:15], v[42:43]
	v_fma_f64 v[36:37], v[24:25], v[16:17], -v[12:13]
	ds_read_b128 v[12:15], v34 offset:3584
	v_add_f64 v[52:53], v[38:39], v[52:53]
	v_add_f64 v[48:49], v[48:49], v[36:37]
	ds_read_b128 v[36:39], v34 offset:3840
	v_mul_f64 v[18:19], v[24:25], v[18:19]
	v_fmac_f64_e32 v[18:19], v[26:27], v[16:17]
	s_waitcnt lgkmcnt(1)
	v_mul_f64 v[16:17], v[22:23], v[14:15]
	v_fma_f64 v[16:17], v[20:21], v[12:13], -v[16:17]
	v_add_f64 v[50:51], v[18:19], v[50:51]
	v_mul_f64 v[18:19], v[20:21], v[14:15]
	v_add_f64 v[24:25], v[44:45], v[16:17]
	s_waitcnt lgkmcnt(0)
	v_mul_f64 v[16:17], v[22:23], v[38:39]
	v_fmac_f64_e32 v[18:19], v[22:23], v[12:13]
	v_fma_f64 v[16:17], v[20:21], v[36:37], -v[16:17]
	v_add_f64 v[26:27], v[18:19], v[46:47]
	v_mul_f64 v[18:19], v[20:21], v[38:39]
	v_add_f64 v[20:21], v[52:53], v[16:17]
	v_mul_f64 v[16:17], v[6:7], v[14:15]
	v_mul_f64 v[14:15], v[4:5], v[14:15]
	v_fma_f64 v[16:17], v[4:5], v[12:13], -v[16:17]
	v_fmac_f64_e32 v[14:15], v[6:7], v[12:13]
	v_mul_f64 v[12:13], v[6:7], v[38:39]
	v_fma_f64 v[12:13], v[4:5], v[36:37], -v[12:13]
	v_mul_f64 v[4:5], v[4:5], v[38:39]
	v_fmac_f64_e32 v[18:19], v[22:23], v[36:37]
	v_fmac_f64_e32 v[4:5], v[6:7], v[36:37]
	v_add_f64 v[22:23], v[18:19], v[54:55]
	v_add_f64 v[16:17], v[40:41], v[16:17]
	;; [unrolled: 1-line block ×5, first 2 shown]
	v_lshl_add_u64 v[8:9], v[8:9], 0, s[24:25]
	s_cmp_lt_i32 s5, s7
	v_lshl_add_u64 v[10:11], v[10:11], 0, s[8:9]
	s_barrier
	s_cbranch_scc0 .LBB421_14
.LBB421_8:                              ; =>This Inner Loop Header: Depth=1
	v_add_u32_e32 v4, s5, v31
	v_cmp_gt_i32_e64 s[2:3], s7, v4
	s_and_b64 s[28:29], vcc, s[2:3]
	v_mov_b64_e32 v[4:5], 0
	v_mov_b64_e32 v[6:7], 0
	s_and_saveexec_b64 s[2:3], s[28:29]
	s_cbranch_execz .LBB421_10
; %bb.9:                                ;   in Loop: Header=BB421_8 Depth=1
	flat_load_dwordx4 v[4:7], v[8:9]
	s_waitcnt vmcnt(0) lgkmcnt(0)
	v_xor_b32_e32 v7, 0x80000000, v7
.LBB421_10:                             ;   in Loop: Header=BB421_8 Depth=1
	s_or_b64 exec, exec, s[2:3]
	ds_write_b128 v32, v[4:7]
	v_add_u32_e32 v4, s5, v30
	v_cmp_le_i32_e64 s[2:3], s7, v4
	s_or_b64 s[2:3], s[2:3], s[22:23]
	s_and_saveexec_b64 s[28:29], s[2:3]
	s_xor_b64 s[2:3], exec, s[28:29]
; %bb.11:                               ;   in Loop: Header=BB421_8 Depth=1
	ds_write_b128 v33, v[0:3]
; %bb.12:                               ;   in Loop: Header=BB421_8 Depth=1
	s_andn2_saveexec_b64 s[2:3], s[2:3]
	s_cbranch_execz .LBB421_7
; %bb.13:                               ;   in Loop: Header=BB421_8 Depth=1
	flat_load_dwordx4 v[4:7], v[10:11]
	s_waitcnt vmcnt(0) lgkmcnt(0)
	ds_write2_b64 v33, v[4:5], v[6:7] offset1:1
	s_branch .LBB421_7
.LBB421_14:
	s_load_dwordx2 s[2:3], s[0:1], 0x68
	s_load_dword s7, s[0:1], 0x60
	v_add_u32_e32 v4, s4, v28
	v_add_u32_e32 v10, s26, v29
	v_cmp_neq_f64_e64 s[0:1], s[10:11], 0
	s_waitcnt lgkmcnt(0)
	s_lshl_b64 s[2:3], s[2:3], 4
	s_add_u32 s4, s14, s2
	s_addc_u32 s5, s15, s3
	s_xor_b64 s[8:9], s[20:21], -1
	v_mad_i64_i32 v[0:1], s[14:15], v10, s7, 0
	s_or_b64 s[0:1], s[0:1], s[8:9]
	v_cmp_gt_i32_e64 s[2:3], s6, v10
	v_lshl_add_u64 v[8:9], v[0:1], 4, s[4:5]
	v_cmp_le_i32_e32 vcc, v4, v10
	v_cndmask_b32_e64 v0, 0, 1, s[0:1]
	s_and_b64 s[14:15], s[2:3], vcc
	v_ashrrev_i32_e32 v5, 31, v4
	v_cmp_ne_u32_e64 s[0:1], 1, v0
	s_and_saveexec_b64 s[8:9], s[14:15]
	s_cbranch_execz .LBB421_18
; %bb.15:
	v_mul_f64 v[0:1], s[18:19], v[26:27]
	v_mul_f64 v[2:3], s[16:17], v[26:27]
	v_fma_f64 v[0:1], s[16:17], v[24:25], -v[0:1]
	v_fmac_f64_e32 v[2:3], s[18:19], v[24:25]
	s_and_b64 vcc, exec, s[0:1]
	v_lshl_add_u64 v[6:7], v[4:5], 4, v[8:9]
	s_cbranch_vccnz .LBB421_17
; %bb.16:
	flat_load_dwordx4 v[24:27], v[6:7]
	s_waitcnt vmcnt(0) lgkmcnt(0)
	v_mul_f64 v[28:29], s[12:13], v[26:27]
	v_mul_f64 v[26:27], s[10:11], v[26:27]
	v_fma_f64 v[28:29], s[10:11], v[24:25], -v[28:29]
	v_fmac_f64_e32 v[26:27], s[12:13], v[24:25]
	v_add_f64 v[0:1], v[0:1], v[28:29]
	v_add_f64 v[2:3], v[2:3], v[26:27]
.LBB421_17:
	flat_store_dwordx4 v[6:7], v[0:3]
.LBB421_18:
	s_or_b64 exec, exec, s[8:9]
	v_add_u32_e32 v6, 16, v4
	v_cmp_le_i32_e32 vcc, v6, v10
	s_and_b64 s[8:9], s[2:3], vcc
	v_ashrrev_i32_e32 v7, 31, v6
	s_and_saveexec_b64 s[2:3], s[8:9]
	s_cbranch_execz .LBB421_22
; %bb.19:
	v_mul_f64 v[0:1], s[18:19], v[22:23]
	v_mul_f64 v[2:3], s[16:17], v[22:23]
	v_fma_f64 v[0:1], s[16:17], v[20:21], -v[0:1]
	v_fmac_f64_e32 v[2:3], s[18:19], v[20:21]
	s_and_b64 vcc, exec, s[0:1]
	v_lshl_add_u64 v[8:9], v[6:7], 4, v[8:9]
	s_cbranch_vccnz .LBB421_21
; %bb.20:
	flat_load_dwordx4 v[20:23], v[8:9]
	s_waitcnt vmcnt(0) lgkmcnt(0)
	v_mul_f64 v[24:25], s[12:13], v[22:23]
	v_mul_f64 v[22:23], s[10:11], v[22:23]
	v_fma_f64 v[24:25], s[10:11], v[20:21], -v[24:25]
	v_fmac_f64_e32 v[22:23], s[12:13], v[20:21]
	v_add_f64 v[0:1], v[0:1], v[24:25]
	v_add_f64 v[2:3], v[2:3], v[22:23]
.LBB421_21:
	flat_store_dwordx4 v[8:9], v[0:3]
.LBB421_22:
	s_or_b64 exec, exec, s[2:3]
	v_add_u32_e32 v10, 16, v10
	v_cmp_gt_i32_e64 s[2:3], s6, v10
	v_mad_i64_i32 v[0:1], s[6:7], v10, s7, 0
	v_cmp_le_i32_e32 vcc, v4, v10
	v_lshl_add_u64 v[8:9], v[0:1], 4, s[4:5]
	s_and_b64 s[6:7], s[2:3], vcc
	s_and_saveexec_b64 s[4:5], s[6:7]
	s_cbranch_execz .LBB421_26
; %bb.23:
	v_mul_f64 v[0:1], s[18:19], v[18:19]
	v_mul_f64 v[2:3], s[16:17], v[18:19]
	v_fma_f64 v[0:1], s[16:17], v[16:17], -v[0:1]
	v_fmac_f64_e32 v[2:3], s[18:19], v[16:17]
	s_and_b64 vcc, exec, s[0:1]
	v_lshl_add_u64 v[4:5], v[4:5], 4, v[8:9]
	s_cbranch_vccnz .LBB421_25
; %bb.24:
	flat_load_dwordx4 v[16:19], v[4:5]
	s_waitcnt vmcnt(0) lgkmcnt(0)
	v_mul_f64 v[20:21], s[12:13], v[18:19]
	v_mul_f64 v[18:19], s[10:11], v[18:19]
	v_fma_f64 v[20:21], s[10:11], v[16:17], -v[20:21]
	v_fmac_f64_e32 v[18:19], s[12:13], v[16:17]
	v_add_f64 v[0:1], v[0:1], v[20:21]
	v_add_f64 v[2:3], v[2:3], v[18:19]
.LBB421_25:
	flat_store_dwordx4 v[4:5], v[0:3]
.LBB421_26:
	s_or_b64 exec, exec, s[4:5]
	v_cmp_le_i32_e32 vcc, v6, v10
	s_and_b64 s[2:3], s[2:3], vcc
	s_and_saveexec_b64 s[4:5], s[2:3]
	s_cbranch_execz .LBB421_30
; %bb.27:
	v_mul_f64 v[0:1], s[18:19], v[12:13]
	v_mul_f64 v[2:3], s[16:17], v[12:13]
	v_fma_f64 v[0:1], s[16:17], v[14:15], -v[0:1]
	v_fmac_f64_e32 v[2:3], s[18:19], v[14:15]
	s_and_b64 vcc, exec, s[0:1]
	v_lshl_add_u64 v[4:5], v[6:7], 4, v[8:9]
	s_cbranch_vccnz .LBB421_29
; %bb.28:
	flat_load_dwordx4 v[6:9], v[4:5]
	s_waitcnt vmcnt(0) lgkmcnt(0)
	v_mul_f64 v[10:11], s[12:13], v[8:9]
	v_mul_f64 v[8:9], s[10:11], v[8:9]
	v_fma_f64 v[10:11], s[10:11], v[6:7], -v[10:11]
	v_fmac_f64_e32 v[8:9], s[12:13], v[6:7]
	v_add_f64 v[0:1], v[0:1], v[10:11]
	v_add_f64 v[2:3], v[2:3], v[8:9]
.LBB421_29:
	flat_store_dwordx4 v[4:5], v[0:3]
.LBB421_30:
	s_endpgm
	.section	.rodata,"a",@progbits
	.p2align	6, 0x0
	.amdhsa_kernel _ZL29rocblas_internal_gemmt_kernelIiLi16ELi32ELi8ELc67ELc84ELc85ELb1ELb0E19rocblas_complex_numIdES1_PKPKS1_PKPS1_EviT_T9_T10_S9_lSB_S9_lSA_T11_S9_li
		.amdhsa_group_segment_fixed_size 8192
		.amdhsa_private_segment_fixed_size 0
		.amdhsa_kernarg_size 116
		.amdhsa_user_sgpr_count 2
		.amdhsa_user_sgpr_dispatch_ptr 0
		.amdhsa_user_sgpr_queue_ptr 0
		.amdhsa_user_sgpr_kernarg_segment_ptr 1
		.amdhsa_user_sgpr_dispatch_id 0
		.amdhsa_user_sgpr_kernarg_preload_length 0
		.amdhsa_user_sgpr_kernarg_preload_offset 0
		.amdhsa_user_sgpr_private_segment_size 0
		.amdhsa_uses_dynamic_stack 0
		.amdhsa_enable_private_segment 0
		.amdhsa_system_sgpr_workgroup_id_x 1
		.amdhsa_system_sgpr_workgroup_id_y 1
		.amdhsa_system_sgpr_workgroup_id_z 1
		.amdhsa_system_sgpr_workgroup_info 0
		.amdhsa_system_vgpr_workitem_id 1
		.amdhsa_next_free_vgpr 62
		.amdhsa_next_free_sgpr 36
		.amdhsa_accum_offset 64
		.amdhsa_reserve_vcc 1
		.amdhsa_float_round_mode_32 0
		.amdhsa_float_round_mode_16_64 0
		.amdhsa_float_denorm_mode_32 3
		.amdhsa_float_denorm_mode_16_64 3
		.amdhsa_dx10_clamp 1
		.amdhsa_ieee_mode 1
		.amdhsa_fp16_overflow 0
		.amdhsa_tg_split 0
		.amdhsa_exception_fp_ieee_invalid_op 0
		.amdhsa_exception_fp_denorm_src 0
		.amdhsa_exception_fp_ieee_div_zero 0
		.amdhsa_exception_fp_ieee_overflow 0
		.amdhsa_exception_fp_ieee_underflow 0
		.amdhsa_exception_fp_ieee_inexact 0
		.amdhsa_exception_int_div_zero 0
	.end_amdhsa_kernel
	.section	.text._ZL29rocblas_internal_gemmt_kernelIiLi16ELi32ELi8ELc67ELc84ELc85ELb1ELb0E19rocblas_complex_numIdES1_PKPKS1_PKPS1_EviT_T9_T10_S9_lSB_S9_lSA_T11_S9_li,"axG",@progbits,_ZL29rocblas_internal_gemmt_kernelIiLi16ELi32ELi8ELc67ELc84ELc85ELb1ELb0E19rocblas_complex_numIdES1_PKPKS1_PKPS1_EviT_T9_T10_S9_lSB_S9_lSA_T11_S9_li,comdat
.Lfunc_end421:
	.size	_ZL29rocblas_internal_gemmt_kernelIiLi16ELi32ELi8ELc67ELc84ELc85ELb1ELb0E19rocblas_complex_numIdES1_PKPKS1_PKPS1_EviT_T9_T10_S9_lSB_S9_lSA_T11_S9_li, .Lfunc_end421-_ZL29rocblas_internal_gemmt_kernelIiLi16ELi32ELi8ELc67ELc84ELc85ELb1ELb0E19rocblas_complex_numIdES1_PKPKS1_PKPS1_EviT_T9_T10_S9_lSB_S9_lSA_T11_S9_li
                                        ; -- End function
	.set _ZL29rocblas_internal_gemmt_kernelIiLi16ELi32ELi8ELc67ELc84ELc85ELb1ELb0E19rocblas_complex_numIdES1_PKPKS1_PKPS1_EviT_T9_T10_S9_lSB_S9_lSA_T11_S9_li.num_vgpr, 62
	.set _ZL29rocblas_internal_gemmt_kernelIiLi16ELi32ELi8ELc67ELc84ELc85ELb1ELb0E19rocblas_complex_numIdES1_PKPKS1_PKPS1_EviT_T9_T10_S9_lSB_S9_lSA_T11_S9_li.num_agpr, 0
	.set _ZL29rocblas_internal_gemmt_kernelIiLi16ELi32ELi8ELc67ELc84ELc85ELb1ELb0E19rocblas_complex_numIdES1_PKPKS1_PKPS1_EviT_T9_T10_S9_lSB_S9_lSA_T11_S9_li.numbered_sgpr, 36
	.set _ZL29rocblas_internal_gemmt_kernelIiLi16ELi32ELi8ELc67ELc84ELc85ELb1ELb0E19rocblas_complex_numIdES1_PKPKS1_PKPS1_EviT_T9_T10_S9_lSB_S9_lSA_T11_S9_li.num_named_barrier, 0
	.set _ZL29rocblas_internal_gemmt_kernelIiLi16ELi32ELi8ELc67ELc84ELc85ELb1ELb0E19rocblas_complex_numIdES1_PKPKS1_PKPS1_EviT_T9_T10_S9_lSB_S9_lSA_T11_S9_li.private_seg_size, 0
	.set _ZL29rocblas_internal_gemmt_kernelIiLi16ELi32ELi8ELc67ELc84ELc85ELb1ELb0E19rocblas_complex_numIdES1_PKPKS1_PKPS1_EviT_T9_T10_S9_lSB_S9_lSA_T11_S9_li.uses_vcc, 1
	.set _ZL29rocblas_internal_gemmt_kernelIiLi16ELi32ELi8ELc67ELc84ELc85ELb1ELb0E19rocblas_complex_numIdES1_PKPKS1_PKPS1_EviT_T9_T10_S9_lSB_S9_lSA_T11_S9_li.uses_flat_scratch, 0
	.set _ZL29rocblas_internal_gemmt_kernelIiLi16ELi32ELi8ELc67ELc84ELc85ELb1ELb0E19rocblas_complex_numIdES1_PKPKS1_PKPS1_EviT_T9_T10_S9_lSB_S9_lSA_T11_S9_li.has_dyn_sized_stack, 0
	.set _ZL29rocblas_internal_gemmt_kernelIiLi16ELi32ELi8ELc67ELc84ELc85ELb1ELb0E19rocblas_complex_numIdES1_PKPKS1_PKPS1_EviT_T9_T10_S9_lSB_S9_lSA_T11_S9_li.has_recursion, 0
	.set _ZL29rocblas_internal_gemmt_kernelIiLi16ELi32ELi8ELc67ELc84ELc85ELb1ELb0E19rocblas_complex_numIdES1_PKPKS1_PKPS1_EviT_T9_T10_S9_lSB_S9_lSA_T11_S9_li.has_indirect_call, 0
	.section	.AMDGPU.csdata,"",@progbits
; Kernel info:
; codeLenInByte = 3112
; TotalNumSgprs: 42
; NumVgprs: 62
; NumAgprs: 0
; TotalNumVgprs: 62
; ScratchSize: 0
; MemoryBound: 1
; FloatMode: 240
; IeeeMode: 1
; LDSByteSize: 8192 bytes/workgroup (compile time only)
; SGPRBlocks: 5
; VGPRBlocks: 7
; NumSGPRsForWavesPerEU: 42
; NumVGPRsForWavesPerEU: 62
; AccumOffset: 64
; Occupancy: 8
; WaveLimiterHint : 1
; COMPUTE_PGM_RSRC2:SCRATCH_EN: 0
; COMPUTE_PGM_RSRC2:USER_SGPR: 2
; COMPUTE_PGM_RSRC2:TRAP_HANDLER: 0
; COMPUTE_PGM_RSRC2:TGID_X_EN: 1
; COMPUTE_PGM_RSRC2:TGID_Y_EN: 1
; COMPUTE_PGM_RSRC2:TGID_Z_EN: 1
; COMPUTE_PGM_RSRC2:TIDIG_COMP_CNT: 1
; COMPUTE_PGM_RSRC3_GFX90A:ACCUM_OFFSET: 15
; COMPUTE_PGM_RSRC3_GFX90A:TG_SPLIT: 0
	.section	.text._ZL29rocblas_internal_gemmt_kernelIiLi16ELi32ELi8ELc67ELc67ELc85ELb1ELb1E19rocblas_complex_numIdES1_PKPKS1_PKPS1_EviT_T9_T10_S9_lSB_S9_lSA_T11_S9_li,"axG",@progbits,_ZL29rocblas_internal_gemmt_kernelIiLi16ELi32ELi8ELc67ELc67ELc85ELb1ELb1E19rocblas_complex_numIdES1_PKPKS1_PKPS1_EviT_T9_T10_S9_lSB_S9_lSA_T11_S9_li,comdat
	.globl	_ZL29rocblas_internal_gemmt_kernelIiLi16ELi32ELi8ELc67ELc67ELc85ELb1ELb1E19rocblas_complex_numIdES1_PKPKS1_PKPS1_EviT_T9_T10_S9_lSB_S9_lSA_T11_S9_li ; -- Begin function _ZL29rocblas_internal_gemmt_kernelIiLi16ELi32ELi8ELc67ELc67ELc85ELb1ELb1E19rocblas_complex_numIdES1_PKPKS1_PKPS1_EviT_T9_T10_S9_lSB_S9_lSA_T11_S9_li
	.p2align	8
	.type	_ZL29rocblas_internal_gemmt_kernelIiLi16ELi32ELi8ELc67ELc67ELc85ELb1ELb1E19rocblas_complex_numIdES1_PKPKS1_PKPS1_EviT_T9_T10_S9_lSB_S9_lSA_T11_S9_li,@function
_ZL29rocblas_internal_gemmt_kernelIiLi16ELi32ELi8ELc67ELc67ELc85ELb1ELb1E19rocblas_complex_numIdES1_PKPKS1_PKPS1_EviT_T9_T10_S9_lSB_S9_lSA_T11_S9_li: ; @_ZL29rocblas_internal_gemmt_kernelIiLi16ELi32ELi8ELc67ELc67ELc85ELb1ELb1E19rocblas_complex_numIdES1_PKPKS1_PKPS1_EviT_T9_T10_S9_lSB_S9_lSA_T11_S9_li
; %bb.0:
	s_load_dwordx8 s[8:15], s[0:1], 0x40
	s_load_dwordx2 s[20:21], s[0:1], 0x0
	s_load_dwordx4 s[16:19], s[0:1], 0x8
	s_mov_b64 s[6:7], 0
	s_waitcnt lgkmcnt(0)
	v_cmp_eq_f64_e64 s[24:25], s[10:11], 1.0
	v_cmp_eq_f64_e64 s[22:23], s[12:13], 0
	s_and_b64 s[24:25], s[24:25], s[22:23]
	s_andn2_b64 vcc, exec, s[24:25]
	s_mov_b64 s[24:25], -1
	s_cbranch_vccnz .LBB422_4
; %bb.1:
	s_cmp_lg_u32 s21, 0
	s_cbranch_scc0 .LBB422_3
; %bb.2:
	v_cmp_neq_f64_e64 s[6:7], s[16:17], 0
	v_cmp_neq_f64_e64 s[24:25], s[18:19], 0
	s_or_b64 s[6:7], s[6:7], s[24:25]
.LBB422_3:
	s_mov_b64 s[24:25], s[6:7]
.LBB422_4:
	s_and_b64 vcc, exec, s[24:25]
	s_cbranch_vccz .LBB422_28
; %bb.5:
	s_mov_b32 s5, 0
	s_lshl_b64 s[6:7], s[4:5], 3
	s_add_u32 s14, s14, s6
	s_addc_u32 s15, s15, s7
	s_lshl_b32 s4, s2, 5
	s_lshl_b32 s26, s3, 5
	v_cmp_eq_f64_e64 s[2:3], s[16:17], 0
	v_cmp_eq_f64_e64 s[24:25], s[18:19], 0
	s_load_dwordx2 s[14:15], s[14:15], 0x0
	s_and_b64 s[2:3], s[2:3], s[24:25]
	s_cmp_lt_i32 s21, 1
	s_cselect_b64 s[24:25], -1, 0
	s_or_b64 s[2:3], s[2:3], s[24:25]
	v_and_b32_e32 v24, 0x3ff, v0
	v_bfe_u32 v25, v0, 10, 10
	v_mov_b64_e32 v[20:21], 0
	s_and_b64 vcc, exec, s[2:3]
	v_mov_b64_e32 v[22:23], 0
	v_mov_b64_e32 v[16:17], 0
	;; [unrolled: 1-line block ×7, first 2 shown]
	s_cbranch_vccnz .LBB422_12
; %bb.6:
	s_load_dwordx4 s[28:31], s[0:1], 0x28
	s_load_dword s24, s[0:1], 0x38
	s_load_dwordx2 s[2:3], s[0:1], 0x18
	s_load_dword s27, s[0:1], 0x20
	v_lshl_add_u32 v1, v25, 4, v24
	v_and_b32_e32 v3, 31, v1
	v_lshrrev_b32_e32 v27, 5, v1
	s_waitcnt lgkmcnt(0)
	s_ashr_i32 s25, s24, 31
	s_add_u32 s30, s30, s6
	v_lshrrev_b32_e32 v2, 3, v1
	v_or_b32_e32 v1, s4, v3
	s_addc_u32 s31, s31, s7
	v_and_b32_e32 v26, 7, v24
	s_add_u32 s2, s2, s6
	v_cmp_gt_i32_e32 vcc, s20, v1
	v_lshlrev_b32_e32 v1, 4, v3
	s_addc_u32 s3, s3, s7
	v_lshl_or_b32 v28, v27, 9, v1
	v_lshlrev_b32_e32 v1, 4, v26
	v_add_u32_e32 v0, s26, v2
	s_load_dwordx2 s[6:7], s[2:3], 0x0
	v_lshl_or_b32 v1, v2, 7, v1
	v_mov_b32_e32 v2, 0x1000
	v_lshl_add_u32 v31, v25, 7, v2
	v_add_u32_e32 v2, s4, v3
	v_mad_i64_i32 v[2:3], s[34:35], s27, v2, 0
	s_lshl_b64 s[28:29], s[28:29], 4
	v_lshl_add_u64 v[2:3], v[2:3], 4, s[28:29]
	v_lshlrev_b32_e32 v4, 4, v27
	v_mov_b32_e32 v5, 0
	s_load_dwordx2 s[30:31], s[30:31], 0x0
	v_lshl_add_u64 v[2:3], v[2:3], 0, v[4:5]
	s_waitcnt lgkmcnt(0)
	v_lshl_add_u64 v[4:5], s[6:7], 0, v[2:3]
	v_mad_i64_i32 v[2:3], s[6:7], s24, v26, 0
	s_lshl_b64 s[6:7], s[8:9], 4
	v_add_u32_e32 v29, 0x1000, v1
	v_ashrrev_i32_e32 v1, 31, v0
	v_lshl_add_u64 v[2:3], v[2:3], 4, s[6:7]
	v_cmp_gt_i32_e64 s[2:3], s20, v0
	v_lshl_add_u64 v[0:1], v[0:1], 4, v[2:3]
	v_lshlrev_b32_e32 v30, 4, v24
	v_lshl_add_u64 v[6:7], s[30:31], 0, v[0:1]
	s_lshl_b64 s[8:9], s[24:25], 7
	v_mov_b64_e32 v[8:9], 0
	s_mov_b64 s[24:25], 0x80
	v_mov_b64_e32 v[10:11], 0
	v_mov_b64_e32 v[14:15], 0
	;; [unrolled: 1-line block ×7, first 2 shown]
	s_branch .LBB422_8
.LBB422_7:                              ;   in Loop: Header=BB422_8 Depth=1
	s_or_b64 exec, exec, s[6:7]
	ds_write_b128 v29, v[0:3]
	s_waitcnt lgkmcnt(0)
	s_barrier
	ds_read_b128 v[0:3], v30
	ds_read_b128 v[32:35], v31
	ds_read_b128 v[36:39], v31 offset:16
	ds_read_b128 v[40:43], v31 offset:32
	;; [unrolled: 1-line block ×4, first 2 shown]
	s_waitcnt lgkmcnt(4)
	v_mul_f64 v[52:53], v[34:35], v[2:3]
	v_fma_f64 v[52:53], v[32:33], v[0:1], -v[52:53]
	v_mul_f64 v[54:55], v[32:33], v[2:3]
	v_fmac_f64_e32 v[54:55], v[34:35], v[0:1]
	v_add_f64 v[52:53], v[20:21], v[52:53]
	s_waitcnt lgkmcnt(0)
	v_mul_f64 v[20:21], v[34:35], v[50:51]
	v_add_f64 v[54:55], v[54:55], v[22:23]
	v_fma_f64 v[56:57], v[32:33], v[48:49], -v[20:21]
	ds_read_b128 v[20:23], v31 offset:2048
	v_mul_f64 v[32:33], v[32:33], v[50:51]
	v_fmac_f64_e32 v[32:33], v[34:35], v[48:49]
	v_add_f64 v[34:35], v[16:17], v[56:57]
	v_add_f64 v[32:33], v[32:33], v[18:19]
	ds_read_b128 v[16:19], v31 offset:2064
	s_waitcnt lgkmcnt(1)
	v_mul_f64 v[56:57], v[22:23], v[2:3]
	v_mul_f64 v[2:3], v[20:21], v[2:3]
	v_fma_f64 v[56:57], v[20:21], v[0:1], -v[56:57]
	v_fmac_f64_e32 v[2:3], v[22:23], v[0:1]
	v_mul_f64 v[0:1], v[22:23], v[50:51]
	v_add_f64 v[12:13], v[12:13], v[56:57]
	v_add_f64 v[14:15], v[2:3], v[14:15]
	v_fma_f64 v[56:57], v[20:21], v[48:49], -v[0:1]
	v_mul_f64 v[20:21], v[20:21], v[50:51]
	ds_read_b128 v[0:3], v30 offset:512
	v_fmac_f64_e32 v[20:21], v[22:23], v[48:49]
	v_add_f64 v[22:23], v[10:11], v[56:57]
	v_add_f64 v[20:21], v[20:21], v[8:9]
	ds_read_b128 v[8:11], v30 offset:768
	s_waitcnt lgkmcnt(1)
	v_mul_f64 v[48:49], v[38:39], v[2:3]
	v_fma_f64 v[48:49], v[36:37], v[0:1], -v[48:49]
	v_add_f64 v[48:49], v[52:53], v[48:49]
	v_mul_f64 v[50:51], v[36:37], v[2:3]
	s_waitcnt lgkmcnt(0)
	v_mul_f64 v[52:53], v[38:39], v[10:11]
	v_fma_f64 v[52:53], v[36:37], v[8:9], -v[52:53]
	v_mul_f64 v[36:37], v[36:37], v[10:11]
	v_fmac_f64_e32 v[36:37], v[38:39], v[8:9]
	v_add_f64 v[32:33], v[36:37], v[32:33]
	v_mul_f64 v[36:37], v[18:19], v[2:3]
	v_mul_f64 v[2:3], v[16:17], v[2:3]
	v_fmac_f64_e32 v[50:51], v[38:39], v[0:1]
	v_fma_f64 v[36:37], v[16:17], v[0:1], -v[36:37]
	v_fmac_f64_e32 v[2:3], v[18:19], v[0:1]
	v_mul_f64 v[0:1], v[18:19], v[10:11]
	v_add_f64 v[36:37], v[12:13], v[36:37]
	v_add_f64 v[38:39], v[2:3], v[14:15]
	v_fma_f64 v[12:13], v[16:17], v[8:9], -v[0:1]
	v_mul_f64 v[10:11], v[16:17], v[10:11]
	ds_read_b128 v[0:3], v30 offset:1024
	v_fmac_f64_e32 v[10:11], v[18:19], v[8:9]
	v_add_f64 v[20:21], v[10:11], v[20:21]
	ds_read_b128 v[8:11], v30 offset:1280
	v_add_f64 v[22:23], v[22:23], v[12:13]
	s_waitcnt lgkmcnt(1)
	v_mul_f64 v[12:13], v[42:43], v[2:3]
	v_fma_f64 v[12:13], v[40:41], v[0:1], -v[12:13]
	v_mul_f64 v[14:15], v[40:41], v[2:3]
	v_add_f64 v[50:51], v[50:51], v[54:55]
	v_fmac_f64_e32 v[14:15], v[42:43], v[0:1]
	v_add_f64 v[48:49], v[48:49], v[12:13]
	s_waitcnt lgkmcnt(0)
	v_mul_f64 v[12:13], v[42:43], v[10:11]
	v_add_f64 v[50:51], v[14:15], v[50:51]
	v_fma_f64 v[16:17], v[40:41], v[8:9], -v[12:13]
	ds_read_b128 v[12:15], v31 offset:2080
	v_mul_f64 v[18:19], v[40:41], v[10:11]
	v_add_f64 v[34:35], v[34:35], v[52:53]
	v_fmac_f64_e32 v[18:19], v[42:43], v[8:9]
	v_add_f64 v[34:35], v[34:35], v[16:17]
	v_add_f64 v[32:33], v[18:19], v[32:33]
	ds_read_b128 v[16:19], v31 offset:2096
	s_waitcnt lgkmcnt(1)
	v_mul_f64 v[40:41], v[14:15], v[2:3]
	v_mul_f64 v[2:3], v[12:13], v[2:3]
	v_fma_f64 v[40:41], v[12:13], v[0:1], -v[40:41]
	v_fmac_f64_e32 v[2:3], v[14:15], v[0:1]
	v_mul_f64 v[0:1], v[14:15], v[10:11]
	v_mul_f64 v[10:11], v[12:13], v[10:11]
	v_fmac_f64_e32 v[10:11], v[14:15], v[8:9]
	v_add_f64 v[36:37], v[36:37], v[40:41]
	v_add_f64 v[38:39], v[2:3], v[38:39]
	v_fma_f64 v[40:41], v[12:13], v[8:9], -v[0:1]
	ds_read_b128 v[0:3], v30 offset:1536
	v_add_f64 v[14:15], v[10:11], v[20:21]
	ds_read_b128 v[8:11], v30 offset:1792
	v_add_f64 v[12:13], v[22:23], v[40:41]
	s_add_i32 s5, s5, 8
	s_waitcnt lgkmcnt(1)
	v_mul_f64 v[20:21], v[46:47], v[2:3]
	v_mul_f64 v[22:23], v[44:45], v[2:3]
	s_waitcnt lgkmcnt(0)
	v_mul_f64 v[40:41], v[46:47], v[10:11]
	v_fma_f64 v[40:41], v[44:45], v[8:9], -v[40:41]
	v_add_f64 v[34:35], v[34:35], v[40:41]
	v_mul_f64 v[40:41], v[18:19], v[2:3]
	v_mul_f64 v[2:3], v[16:17], v[2:3]
	v_fma_f64 v[20:21], v[44:45], v[0:1], -v[20:21]
	v_fmac_f64_e32 v[22:23], v[46:47], v[0:1]
	v_fma_f64 v[40:41], v[16:17], v[0:1], -v[40:41]
	v_fmac_f64_e32 v[2:3], v[18:19], v[0:1]
	v_mul_f64 v[0:1], v[18:19], v[10:11]
	v_mul_f64 v[42:43], v[44:45], v[10:11]
	v_add_f64 v[36:37], v[36:37], v[40:41]
	v_fma_f64 v[40:41], v[16:17], v[8:9], -v[0:1]
	v_mul_f64 v[16:17], v[16:17], v[10:11]
	v_fmac_f64_e32 v[42:43], v[46:47], v[8:9]
	v_add_f64 v[38:39], v[2:3], v[38:39]
	v_fmac_f64_e32 v[16:17], v[18:19], v[8:9]
	ds_read_b128 v[0:3], v31 offset:64
	ds_read_b128 v[8:11], v30 offset:2048
	v_add_f64 v[32:33], v[42:43], v[32:33]
	v_add_f64 v[40:41], v[12:13], v[40:41]
	;; [unrolled: 1-line block ×3, first 2 shown]
	ds_read_b128 v[12:15], v30 offset:2304
	ds_read_b128 v[16:19], v31 offset:80
	s_waitcnt lgkmcnt(2)
	v_mul_f64 v[44:45], v[2:3], v[10:11]
	v_add_f64 v[20:21], v[48:49], v[20:21]
	v_fma_f64 v[44:45], v[0:1], v[8:9], -v[44:45]
	v_mul_f64 v[46:47], v[0:1], v[10:11]
	v_add_f64 v[22:23], v[22:23], v[50:51]
	v_fmac_f64_e32 v[46:47], v[2:3], v[8:9]
	v_add_f64 v[44:45], v[20:21], v[44:45]
	s_waitcnt lgkmcnt(1)
	v_mul_f64 v[20:21], v[2:3], v[14:15]
	v_add_f64 v[46:47], v[46:47], v[22:23]
	v_fma_f64 v[48:49], v[0:1], v[12:13], -v[20:21]
	ds_read_b128 v[20:23], v31 offset:2112
	v_mul_f64 v[0:1], v[0:1], v[14:15]
	v_fmac_f64_e32 v[0:1], v[2:3], v[12:13]
	v_add_f64 v[34:35], v[34:35], v[48:49]
	v_add_f64 v[32:33], v[0:1], v[32:33]
	ds_read_b128 v[0:3], v31 offset:2128
	s_waitcnt lgkmcnt(1)
	v_mul_f64 v[48:49], v[22:23], v[10:11]
	v_mul_f64 v[10:11], v[20:21], v[10:11]
	v_fma_f64 v[48:49], v[20:21], v[8:9], -v[48:49]
	v_fmac_f64_e32 v[10:11], v[22:23], v[8:9]
	v_mul_f64 v[8:9], v[22:23], v[14:15]
	v_add_f64 v[36:37], v[36:37], v[48:49]
	v_add_f64 v[38:39], v[10:11], v[38:39]
	v_fma_f64 v[48:49], v[20:21], v[12:13], -v[8:9]
	v_mul_f64 v[14:15], v[20:21], v[14:15]
	ds_read_b128 v[8:11], v30 offset:2560
	v_fmac_f64_e32 v[14:15], v[22:23], v[12:13]
	v_add_f64 v[22:23], v[14:15], v[42:43]
	ds_read_b128 v[12:15], v30 offset:2816
	v_add_f64 v[20:21], v[40:41], v[48:49]
	s_waitcnt lgkmcnt(1)
	v_mul_f64 v[40:41], v[18:19], v[10:11]
	v_fma_f64 v[40:41], v[16:17], v[8:9], -v[40:41]
	v_add_f64 v[40:41], v[44:45], v[40:41]
	s_waitcnt lgkmcnt(0)
	v_mul_f64 v[44:45], v[18:19], v[14:15]
	v_mul_f64 v[42:43], v[16:17], v[10:11]
	v_fma_f64 v[44:45], v[16:17], v[12:13], -v[44:45]
	v_mul_f64 v[16:17], v[16:17], v[14:15]
	v_fmac_f64_e32 v[16:17], v[18:19], v[12:13]
	v_add_f64 v[32:33], v[16:17], v[32:33]
	v_mul_f64 v[16:17], v[2:3], v[10:11]
	v_mul_f64 v[10:11], v[0:1], v[10:11]
	v_fmac_f64_e32 v[42:43], v[18:19], v[8:9]
	v_fma_f64 v[16:17], v[0:1], v[8:9], -v[16:17]
	v_fmac_f64_e32 v[10:11], v[2:3], v[8:9]
	v_mul_f64 v[8:9], v[2:3], v[14:15]
	v_mul_f64 v[14:15], v[0:1], v[14:15]
	v_add_f64 v[36:37], v[36:37], v[16:17]
	v_add_f64 v[38:39], v[10:11], v[38:39]
	v_fma_f64 v[16:17], v[0:1], v[12:13], -v[8:9]
	v_fmac_f64_e32 v[14:15], v[2:3], v[12:13]
	ds_read_b128 v[0:3], v31 offset:96
	ds_read_b128 v[8:11], v30 offset:3072
	v_add_f64 v[42:43], v[42:43], v[46:47]
	v_add_f64 v[34:35], v[34:35], v[44:45]
	;; [unrolled: 1-line block ×4, first 2 shown]
	ds_read_b128 v[12:15], v30 offset:3328
	ds_read_b128 v[16:19], v31 offset:112
	s_waitcnt lgkmcnt(2)
	v_mul_f64 v[20:21], v[2:3], v[10:11]
	v_fma_f64 v[20:21], v[0:1], v[8:9], -v[20:21]
	v_mul_f64 v[22:23], v[0:1], v[10:11]
	v_fmac_f64_e32 v[22:23], v[2:3], v[8:9]
	v_add_f64 v[40:41], v[40:41], v[20:21]
	s_waitcnt lgkmcnt(1)
	v_mul_f64 v[20:21], v[2:3], v[14:15]
	v_add_f64 v[42:43], v[22:23], v[42:43]
	v_fma_f64 v[48:49], v[0:1], v[12:13], -v[20:21]
	ds_read_b128 v[20:23], v31 offset:2144
	v_mul_f64 v[0:1], v[0:1], v[14:15]
	v_fmac_f64_e32 v[0:1], v[2:3], v[12:13]
	v_add_f64 v[50:51], v[0:1], v[32:33]
	ds_read_b128 v[0:3], v31 offset:2160
	s_waitcnt lgkmcnt(1)
	v_mul_f64 v[32:33], v[22:23], v[10:11]
	v_mul_f64 v[10:11], v[20:21], v[10:11]
	v_fma_f64 v[32:33], v[20:21], v[8:9], -v[32:33]
	v_fmac_f64_e32 v[10:11], v[22:23], v[8:9]
	v_mul_f64 v[8:9], v[22:23], v[14:15]
	v_add_f64 v[36:37], v[36:37], v[32:33]
	v_add_f64 v[38:39], v[10:11], v[38:39]
	v_fma_f64 v[32:33], v[20:21], v[12:13], -v[8:9]
	ds_read_b128 v[8:11], v30 offset:3584
	v_add_f64 v[48:49], v[34:35], v[48:49]
	v_add_f64 v[44:45], v[44:45], v[32:33]
	ds_read_b128 v[32:35], v30 offset:3840
	v_mul_f64 v[14:15], v[20:21], v[14:15]
	v_fmac_f64_e32 v[14:15], v[22:23], v[12:13]
	s_waitcnt lgkmcnt(1)
	v_mul_f64 v[12:13], v[18:19], v[10:11]
	v_fma_f64 v[12:13], v[16:17], v[8:9], -v[12:13]
	v_add_f64 v[46:47], v[14:15], v[46:47]
	v_mul_f64 v[14:15], v[16:17], v[10:11]
	v_add_f64 v[20:21], v[40:41], v[12:13]
	s_waitcnt lgkmcnt(0)
	v_mul_f64 v[12:13], v[18:19], v[34:35]
	v_fmac_f64_e32 v[14:15], v[18:19], v[8:9]
	v_fma_f64 v[12:13], v[16:17], v[32:33], -v[12:13]
	v_add_f64 v[22:23], v[14:15], v[42:43]
	v_mul_f64 v[14:15], v[16:17], v[34:35]
	v_add_f64 v[16:17], v[48:49], v[12:13]
	v_mul_f64 v[12:13], v[2:3], v[10:11]
	v_mul_f64 v[10:11], v[0:1], v[10:11]
	v_fma_f64 v[12:13], v[0:1], v[8:9], -v[12:13]
	v_fmac_f64_e32 v[10:11], v[2:3], v[8:9]
	v_mul_f64 v[8:9], v[2:3], v[34:35]
	v_fma_f64 v[8:9], v[0:1], v[32:33], -v[8:9]
	v_mul_f64 v[0:1], v[0:1], v[34:35]
	v_fmac_f64_e32 v[14:15], v[18:19], v[32:33]
	v_fmac_f64_e32 v[0:1], v[2:3], v[32:33]
	v_add_f64 v[18:19], v[14:15], v[50:51]
	v_add_f64 v[12:13], v[36:37], v[12:13]
	;; [unrolled: 1-line block ×5, first 2 shown]
	v_lshl_add_u64 v[4:5], v[4:5], 0, s[24:25]
	s_cmp_lt_i32 s5, s21
	v_lshl_add_u64 v[6:7], v[6:7], 0, s[8:9]
	s_barrier
	s_cbranch_scc0 .LBB422_12
.LBB422_8:                              ; =>This Inner Loop Header: Depth=1
	v_add_u32_e32 v0, s5, v27
	v_cmp_gt_i32_e64 s[6:7], s21, v0
	s_and_b64 s[28:29], vcc, s[6:7]
	v_mov_b64_e32 v[0:1], 0
	v_mov_b64_e32 v[2:3], 0
	s_and_saveexec_b64 s[6:7], s[28:29]
	s_cbranch_execz .LBB422_10
; %bb.9:                                ;   in Loop: Header=BB422_8 Depth=1
	flat_load_dwordx4 v[0:3], v[4:5]
	s_waitcnt vmcnt(0) lgkmcnt(0)
	v_xor_b32_e32 v3, 0x80000000, v3
.LBB422_10:                             ;   in Loop: Header=BB422_8 Depth=1
	s_or_b64 exec, exec, s[6:7]
	ds_write_b128 v28, v[0:3]
	v_add_u32_e32 v0, s5, v26
	v_cmp_gt_i32_e64 s[6:7], s21, v0
	s_and_b64 s[28:29], s[6:7], s[2:3]
	v_mov_b64_e32 v[0:1], 0
	v_mov_b64_e32 v[2:3], 0
	s_and_saveexec_b64 s[6:7], s[28:29]
	s_cbranch_execz .LBB422_7
; %bb.11:                               ;   in Loop: Header=BB422_8 Depth=1
	flat_load_dwordx4 v[0:3], v[6:7]
	s_waitcnt vmcnt(0) lgkmcnt(0)
	v_xor_b32_e32 v3, 0x80000000, v3
	s_branch .LBB422_7
.LBB422_12:
	s_load_dwordx2 s[2:3], s[0:1], 0x68
	s_load_dword s8, s[0:1], 0x60
	v_add_u32_e32 v4, s4, v24
	v_add_u32_e32 v26, s26, v25
	v_cmp_neq_f64_e64 s[0:1], s[10:11], 0
	s_waitcnt lgkmcnt(0)
	s_lshl_b64 s[2:3], s[2:3], 4
	s_add_u32 s4, s14, s2
	s_addc_u32 s5, s15, s3
	s_xor_b64 s[6:7], s[22:23], -1
	v_mad_i64_i32 v[0:1], s[14:15], v26, s8, 0
	s_or_b64 s[0:1], s[0:1], s[6:7]
	v_cmp_gt_i32_e64 s[2:3], s20, v26
	v_lshl_add_u64 v[24:25], v[0:1], 4, s[4:5]
	v_cmp_le_i32_e32 vcc, v4, v26
	v_cndmask_b32_e64 v0, 0, 1, s[0:1]
	s_and_b64 s[14:15], s[2:3], vcc
	v_ashrrev_i32_e32 v5, 31, v4
	v_cmp_ne_u32_e64 s[0:1], 1, v0
	s_and_saveexec_b64 s[6:7], s[14:15]
	s_cbranch_execz .LBB422_16
; %bb.13:
	v_mul_f64 v[0:1], s[18:19], v[22:23]
	v_mul_f64 v[2:3], s[16:17], v[22:23]
	v_fma_f64 v[0:1], s[16:17], v[20:21], -v[0:1]
	v_fmac_f64_e32 v[2:3], s[18:19], v[20:21]
	s_and_b64 vcc, exec, s[0:1]
	v_lshl_add_u64 v[6:7], v[4:5], 4, v[24:25]
	s_cbranch_vccnz .LBB422_15
; %bb.14:
	flat_load_dwordx4 v[20:23], v[6:7]
	s_waitcnt vmcnt(0) lgkmcnt(0)
	v_mul_f64 v[28:29], s[12:13], v[22:23]
	v_mul_f64 v[22:23], s[10:11], v[22:23]
	v_fma_f64 v[28:29], s[10:11], v[20:21], -v[28:29]
	v_fmac_f64_e32 v[22:23], s[12:13], v[20:21]
	v_add_f64 v[0:1], v[0:1], v[28:29]
	v_add_f64 v[2:3], v[2:3], v[22:23]
.LBB422_15:
	flat_store_dwordx4 v[6:7], v[0:3]
.LBB422_16:
	s_or_b64 exec, exec, s[6:7]
	v_add_u32_e32 v6, 16, v4
	v_cmp_le_i32_e32 vcc, v6, v26
	s_and_b64 s[6:7], s[2:3], vcc
	v_ashrrev_i32_e32 v7, 31, v6
	s_and_saveexec_b64 s[2:3], s[6:7]
	s_cbranch_execz .LBB422_20
; %bb.17:
	v_mul_f64 v[0:1], s[18:19], v[18:19]
	v_mul_f64 v[2:3], s[16:17], v[18:19]
	v_fma_f64 v[0:1], s[16:17], v[16:17], -v[0:1]
	v_fmac_f64_e32 v[2:3], s[18:19], v[16:17]
	s_and_b64 vcc, exec, s[0:1]
	v_lshl_add_u64 v[16:17], v[6:7], 4, v[24:25]
	s_cbranch_vccnz .LBB422_19
; %bb.18:
	flat_load_dwordx4 v[18:21], v[16:17]
	s_waitcnt vmcnt(0) lgkmcnt(0)
	v_mul_f64 v[22:23], s[12:13], v[20:21]
	v_mul_f64 v[20:21], s[10:11], v[20:21]
	v_fma_f64 v[22:23], s[10:11], v[18:19], -v[22:23]
	v_fmac_f64_e32 v[20:21], s[12:13], v[18:19]
	v_add_f64 v[0:1], v[0:1], v[22:23]
	v_add_f64 v[2:3], v[2:3], v[20:21]
.LBB422_19:
	flat_store_dwordx4 v[16:17], v[0:3]
.LBB422_20:
	s_or_b64 exec, exec, s[2:3]
	v_add_u32_e32 v18, 16, v26
	v_cmp_gt_i32_e64 s[2:3], s20, v18
	v_mad_i64_i32 v[0:1], s[6:7], v18, s8, 0
	v_cmp_le_i32_e32 vcc, v4, v18
	v_lshl_add_u64 v[16:17], v[0:1], 4, s[4:5]
	s_and_b64 s[6:7], s[2:3], vcc
	s_and_saveexec_b64 s[4:5], s[6:7]
	s_cbranch_execz .LBB422_24
; %bb.21:
	v_mul_f64 v[0:1], s[18:19], v[14:15]
	v_mul_f64 v[2:3], s[16:17], v[14:15]
	v_fma_f64 v[0:1], s[16:17], v[12:13], -v[0:1]
	v_fmac_f64_e32 v[2:3], s[18:19], v[12:13]
	s_and_b64 vcc, exec, s[0:1]
	v_lshl_add_u64 v[4:5], v[4:5], 4, v[16:17]
	s_cbranch_vccnz .LBB422_23
; %bb.22:
	flat_load_dwordx4 v[12:15], v[4:5]
	s_waitcnt vmcnt(0) lgkmcnt(0)
	v_mul_f64 v[20:21], s[12:13], v[14:15]
	v_mul_f64 v[14:15], s[10:11], v[14:15]
	v_fma_f64 v[20:21], s[10:11], v[12:13], -v[20:21]
	v_fmac_f64_e32 v[14:15], s[12:13], v[12:13]
	v_add_f64 v[0:1], v[0:1], v[20:21]
	v_add_f64 v[2:3], v[2:3], v[14:15]
.LBB422_23:
	flat_store_dwordx4 v[4:5], v[0:3]
.LBB422_24:
	s_or_b64 exec, exec, s[4:5]
	v_cmp_le_i32_e32 vcc, v6, v18
	s_and_b64 s[2:3], s[2:3], vcc
	s_and_saveexec_b64 s[4:5], s[2:3]
	s_cbranch_execz .LBB422_28
; %bb.25:
	v_mul_f64 v[0:1], s[18:19], v[8:9]
	v_mul_f64 v[2:3], s[16:17], v[8:9]
	v_fma_f64 v[0:1], s[16:17], v[10:11], -v[0:1]
	v_fmac_f64_e32 v[2:3], s[18:19], v[10:11]
	s_and_b64 vcc, exec, s[0:1]
	v_lshl_add_u64 v[4:5], v[6:7], 4, v[16:17]
	s_cbranch_vccnz .LBB422_27
; %bb.26:
	flat_load_dwordx4 v[6:9], v[4:5]
	s_waitcnt vmcnt(0) lgkmcnt(0)
	v_mul_f64 v[10:11], s[12:13], v[8:9]
	v_mul_f64 v[8:9], s[10:11], v[8:9]
	v_fma_f64 v[10:11], s[10:11], v[6:7], -v[10:11]
	v_fmac_f64_e32 v[8:9], s[12:13], v[6:7]
	v_add_f64 v[0:1], v[0:1], v[10:11]
	v_add_f64 v[2:3], v[2:3], v[8:9]
.LBB422_27:
	flat_store_dwordx4 v[4:5], v[0:3]
.LBB422_28:
	s_endpgm
	.section	.rodata,"a",@progbits
	.p2align	6, 0x0
	.amdhsa_kernel _ZL29rocblas_internal_gemmt_kernelIiLi16ELi32ELi8ELc67ELc67ELc85ELb1ELb1E19rocblas_complex_numIdES1_PKPKS1_PKPS1_EviT_T9_T10_S9_lSB_S9_lSA_T11_S9_li
		.amdhsa_group_segment_fixed_size 8192
		.amdhsa_private_segment_fixed_size 0
		.amdhsa_kernarg_size 116
		.amdhsa_user_sgpr_count 2
		.amdhsa_user_sgpr_dispatch_ptr 0
		.amdhsa_user_sgpr_queue_ptr 0
		.amdhsa_user_sgpr_kernarg_segment_ptr 1
		.amdhsa_user_sgpr_dispatch_id 0
		.amdhsa_user_sgpr_kernarg_preload_length 0
		.amdhsa_user_sgpr_kernarg_preload_offset 0
		.amdhsa_user_sgpr_private_segment_size 0
		.amdhsa_uses_dynamic_stack 0
		.amdhsa_enable_private_segment 0
		.amdhsa_system_sgpr_workgroup_id_x 1
		.amdhsa_system_sgpr_workgroup_id_y 1
		.amdhsa_system_sgpr_workgroup_id_z 1
		.amdhsa_system_sgpr_workgroup_info 0
		.amdhsa_system_vgpr_workitem_id 1
		.amdhsa_next_free_vgpr 58
		.amdhsa_next_free_sgpr 36
		.amdhsa_accum_offset 60
		.amdhsa_reserve_vcc 1
		.amdhsa_float_round_mode_32 0
		.amdhsa_float_round_mode_16_64 0
		.amdhsa_float_denorm_mode_32 3
		.amdhsa_float_denorm_mode_16_64 3
		.amdhsa_dx10_clamp 1
		.amdhsa_ieee_mode 1
		.amdhsa_fp16_overflow 0
		.amdhsa_tg_split 0
		.amdhsa_exception_fp_ieee_invalid_op 0
		.amdhsa_exception_fp_denorm_src 0
		.amdhsa_exception_fp_ieee_div_zero 0
		.amdhsa_exception_fp_ieee_overflow 0
		.amdhsa_exception_fp_ieee_underflow 0
		.amdhsa_exception_fp_ieee_inexact 0
		.amdhsa_exception_int_div_zero 0
	.end_amdhsa_kernel
	.section	.text._ZL29rocblas_internal_gemmt_kernelIiLi16ELi32ELi8ELc67ELc67ELc85ELb1ELb1E19rocblas_complex_numIdES1_PKPKS1_PKPS1_EviT_T9_T10_S9_lSB_S9_lSA_T11_S9_li,"axG",@progbits,_ZL29rocblas_internal_gemmt_kernelIiLi16ELi32ELi8ELc67ELc67ELc85ELb1ELb1E19rocblas_complex_numIdES1_PKPKS1_PKPS1_EviT_T9_T10_S9_lSB_S9_lSA_T11_S9_li,comdat
.Lfunc_end422:
	.size	_ZL29rocblas_internal_gemmt_kernelIiLi16ELi32ELi8ELc67ELc67ELc85ELb1ELb1E19rocblas_complex_numIdES1_PKPKS1_PKPS1_EviT_T9_T10_S9_lSB_S9_lSA_T11_S9_li, .Lfunc_end422-_ZL29rocblas_internal_gemmt_kernelIiLi16ELi32ELi8ELc67ELc67ELc85ELb1ELb1E19rocblas_complex_numIdES1_PKPKS1_PKPS1_EviT_T9_T10_S9_lSB_S9_lSA_T11_S9_li
                                        ; -- End function
	.set _ZL29rocblas_internal_gemmt_kernelIiLi16ELi32ELi8ELc67ELc67ELc85ELb1ELb1E19rocblas_complex_numIdES1_PKPKS1_PKPS1_EviT_T9_T10_S9_lSB_S9_lSA_T11_S9_li.num_vgpr, 58
	.set _ZL29rocblas_internal_gemmt_kernelIiLi16ELi32ELi8ELc67ELc67ELc85ELb1ELb1E19rocblas_complex_numIdES1_PKPKS1_PKPS1_EviT_T9_T10_S9_lSB_S9_lSA_T11_S9_li.num_agpr, 0
	.set _ZL29rocblas_internal_gemmt_kernelIiLi16ELi32ELi8ELc67ELc67ELc85ELb1ELb1E19rocblas_complex_numIdES1_PKPKS1_PKPS1_EviT_T9_T10_S9_lSB_S9_lSA_T11_S9_li.numbered_sgpr, 36
	.set _ZL29rocblas_internal_gemmt_kernelIiLi16ELi32ELi8ELc67ELc67ELc85ELb1ELb1E19rocblas_complex_numIdES1_PKPKS1_PKPS1_EviT_T9_T10_S9_lSB_S9_lSA_T11_S9_li.num_named_barrier, 0
	.set _ZL29rocblas_internal_gemmt_kernelIiLi16ELi32ELi8ELc67ELc67ELc85ELb1ELb1E19rocblas_complex_numIdES1_PKPKS1_PKPS1_EviT_T9_T10_S9_lSB_S9_lSA_T11_S9_li.private_seg_size, 0
	.set _ZL29rocblas_internal_gemmt_kernelIiLi16ELi32ELi8ELc67ELc67ELc85ELb1ELb1E19rocblas_complex_numIdES1_PKPKS1_PKPS1_EviT_T9_T10_S9_lSB_S9_lSA_T11_S9_li.uses_vcc, 1
	.set _ZL29rocblas_internal_gemmt_kernelIiLi16ELi32ELi8ELc67ELc67ELc85ELb1ELb1E19rocblas_complex_numIdES1_PKPKS1_PKPS1_EviT_T9_T10_S9_lSB_S9_lSA_T11_S9_li.uses_flat_scratch, 0
	.set _ZL29rocblas_internal_gemmt_kernelIiLi16ELi32ELi8ELc67ELc67ELc85ELb1ELb1E19rocblas_complex_numIdES1_PKPKS1_PKPS1_EviT_T9_T10_S9_lSB_S9_lSA_T11_S9_li.has_dyn_sized_stack, 0
	.set _ZL29rocblas_internal_gemmt_kernelIiLi16ELi32ELi8ELc67ELc67ELc85ELb1ELb1E19rocblas_complex_numIdES1_PKPKS1_PKPS1_EviT_T9_T10_S9_lSB_S9_lSA_T11_S9_li.has_recursion, 0
	.set _ZL29rocblas_internal_gemmt_kernelIiLi16ELi32ELi8ELc67ELc67ELc85ELb1ELb1E19rocblas_complex_numIdES1_PKPKS1_PKPS1_EviT_T9_T10_S9_lSB_S9_lSA_T11_S9_li.has_indirect_call, 0
	.section	.AMDGPU.csdata,"",@progbits
; Kernel info:
; codeLenInByte = 3096
; TotalNumSgprs: 42
; NumVgprs: 58
; NumAgprs: 0
; TotalNumVgprs: 58
; ScratchSize: 0
; MemoryBound: 1
; FloatMode: 240
; IeeeMode: 1
; LDSByteSize: 8192 bytes/workgroup (compile time only)
; SGPRBlocks: 5
; VGPRBlocks: 7
; NumSGPRsForWavesPerEU: 42
; NumVGPRsForWavesPerEU: 58
; AccumOffset: 60
; Occupancy: 8
; WaveLimiterHint : 1
; COMPUTE_PGM_RSRC2:SCRATCH_EN: 0
; COMPUTE_PGM_RSRC2:USER_SGPR: 2
; COMPUTE_PGM_RSRC2:TRAP_HANDLER: 0
; COMPUTE_PGM_RSRC2:TGID_X_EN: 1
; COMPUTE_PGM_RSRC2:TGID_Y_EN: 1
; COMPUTE_PGM_RSRC2:TGID_Z_EN: 1
; COMPUTE_PGM_RSRC2:TIDIG_COMP_CNT: 1
; COMPUTE_PGM_RSRC3_GFX90A:ACCUM_OFFSET: 14
; COMPUTE_PGM_RSRC3_GFX90A:TG_SPLIT: 0
	.section	.text._ZL29rocblas_internal_gemmt_kernelIiLi16ELi32ELi8ELc78ELc78ELc76ELb0ELb0E19rocblas_complex_numIdES1_PKPKS1_PKPS1_EviT_T9_T10_S9_lSB_S9_lSA_T11_S9_li,"axG",@progbits,_ZL29rocblas_internal_gemmt_kernelIiLi16ELi32ELi8ELc78ELc78ELc76ELb0ELb0E19rocblas_complex_numIdES1_PKPKS1_PKPS1_EviT_T9_T10_S9_lSB_S9_lSA_T11_S9_li,comdat
	.globl	_ZL29rocblas_internal_gemmt_kernelIiLi16ELi32ELi8ELc78ELc78ELc76ELb0ELb0E19rocblas_complex_numIdES1_PKPKS1_PKPS1_EviT_T9_T10_S9_lSB_S9_lSA_T11_S9_li ; -- Begin function _ZL29rocblas_internal_gemmt_kernelIiLi16ELi32ELi8ELc78ELc78ELc76ELb0ELb0E19rocblas_complex_numIdES1_PKPKS1_PKPS1_EviT_T9_T10_S9_lSB_S9_lSA_T11_S9_li
	.p2align	8
	.type	_ZL29rocblas_internal_gemmt_kernelIiLi16ELi32ELi8ELc78ELc78ELc76ELb0ELb0E19rocblas_complex_numIdES1_PKPKS1_PKPS1_EviT_T9_T10_S9_lSB_S9_lSA_T11_S9_li,@function
_ZL29rocblas_internal_gemmt_kernelIiLi16ELi32ELi8ELc78ELc78ELc76ELb0ELb0E19rocblas_complex_numIdES1_PKPKS1_PKPS1_EviT_T9_T10_S9_lSB_S9_lSA_T11_S9_li: ; @_ZL29rocblas_internal_gemmt_kernelIiLi16ELi32ELi8ELc78ELc78ELc76ELb0ELb0E19rocblas_complex_numIdES1_PKPKS1_PKPS1_EviT_T9_T10_S9_lSB_S9_lSA_T11_S9_li
; %bb.0:
	s_load_dwordx8 s[8:15], s[0:1], 0x40
	s_load_dwordx2 s[6:7], s[0:1], 0x0
	s_load_dwordx4 s[16:19], s[0:1], 0x8
	s_mov_b64 s[22:23], 0
	s_waitcnt lgkmcnt(0)
	v_cmp_eq_f64_e64 s[24:25], s[10:11], 1.0
	v_cmp_eq_f64_e64 s[20:21], s[12:13], 0
	s_and_b64 s[24:25], s[24:25], s[20:21]
	s_andn2_b64 vcc, exec, s[24:25]
	s_mov_b64 s[24:25], -1
	s_cbranch_vccnz .LBB423_4
; %bb.1:
	s_cmp_lg_u32 s7, 0
	s_cbranch_scc0 .LBB423_3
; %bb.2:
	v_cmp_neq_f64_e64 s[22:23], s[16:17], 0
	v_cmp_neq_f64_e64 s[24:25], s[18:19], 0
	s_or_b64 s[22:23], s[22:23], s[24:25]
.LBB423_3:
	s_mov_b64 s[24:25], s[22:23]
.LBB423_4:
	s_and_b64 vcc, exec, s[24:25]
	s_cbranch_vccz .LBB423_32
; %bb.5:
	s_mov_b32 s5, 0
	s_lshl_b64 s[22:23], s[4:5], 3
	s_add_u32 s14, s14, s22
	s_addc_u32 s15, s15, s23
	s_lshl_b32 s4, s2, 5
	s_lshl_b32 s28, s3, 5
	v_cmp_eq_f64_e64 s[2:3], s[16:17], 0
	v_cmp_eq_f64_e64 s[24:25], s[18:19], 0
	s_load_dwordx2 s[14:15], s[14:15], 0x0
	s_and_b64 s[2:3], s[2:3], s[24:25]
	s_cmp_lt_i32 s7, 1
	s_cselect_b64 s[24:25], -1, 0
	s_or_b64 s[2:3], s[2:3], s[24:25]
	v_and_b32_e32 v24, 0x3ff, v0
	v_bfe_u32 v25, v0, 10, 10
	v_mov_b64_e32 v[20:21], 0
	s_and_b64 vcc, exec, s[2:3]
	v_mov_b64_e32 v[22:23], 0
	v_mov_b64_e32 v[16:17], 0
	;; [unrolled: 1-line block ×7, first 2 shown]
	s_cbranch_vccnz .LBB423_16
; %bb.6:
	s_load_dwordx2 s[2:3], s[0:1], 0x18
	s_load_dword s30, s[0:1], 0x20
	s_load_dwordx4 s[24:27], s[0:1], 0x28
	s_load_dword s29, s[0:1], 0x38
	v_lshl_add_u32 v0, v25, 4, v24
	v_and_b32_e32 v4, 31, v0
	v_lshrrev_b32_e32 v27, 5, v0
	s_waitcnt lgkmcnt(0)
	s_ashr_i32 s31, s30, 31
	s_add_u32 s26, s26, s22
	s_addc_u32 s27, s27, s23
	s_add_u32 s2, s2, s22
	s_addc_u32 s3, s3, s23
	s_load_dwordx2 s[22:23], s[2:3], 0x0
	v_lshrrev_b32_e32 v1, 3, v0
	v_or_b32_e32 v0, s4, v4
	v_and_b32_e32 v26, 7, v24
	v_cmp_gt_i32_e32 vcc, s6, v0
	v_lshlrev_b32_e32 v0, 4, v4
	v_mad_i64_i32 v[2:3], s[34:35], v27, s30, 0
	s_lshl_b64 s[24:25], s[24:25], 4
	v_add_u32_e32 v4, s4, v4
	s_load_dwordx2 s[26:27], s[26:27], 0x0
	v_lshl_or_b32 v28, v27, 9, v0
	v_lshlrev_b32_e32 v0, 4, v26
	v_lshl_add_u64 v[2:3], v[2:3], 4, s[24:25]
	v_ashrrev_i32_e32 v5, 31, v4
	v_add_u32_e32 v6, s28, v1
	v_lshl_or_b32 v1, v1, 7, v0
	v_lshl_add_u64 v[2:3], v[4:5], 4, v[2:3]
	v_add_u32_e32 v29, 0x1000, v1
	v_mov_b32_e32 v1, 0x1000
	s_waitcnt lgkmcnt(0)
	v_lshl_add_u64 v[4:5], s[22:23], 0, v[2:3]
	v_mad_i64_i32 v[2:3], s[24:25], s29, v6, 0
	s_lshl_b64 s[8:9], s[8:9], 4
	v_lshl_add_u32 v31, v25, 7, v1
	v_lshl_add_u64 v[2:3], v[2:3], 4, s[8:9]
	v_mov_b32_e32 v1, 0
	v_cmp_gt_i32_e64 s[2:3], s6, v6
	v_lshl_add_u64 v[2:3], v[2:3], 0, v[0:1]
	v_lshlrev_b32_e32 v30, 4, v24
	s_lshl_b64 s[22:23], s[30:31], 7
	v_lshl_add_u64 v[6:7], s[26:27], 0, v[2:3]
	v_mov_b64_e32 v[8:9], 0
	s_xor_b64 s[8:9], vcc, -1
	s_xor_b64 s[2:3], s[2:3], -1
	s_mov_b64 s[24:25], 0x80
	v_mov_b32_e32 v0, v1
	v_mov_b32_e32 v2, v1
	;; [unrolled: 1-line block ×3, first 2 shown]
	v_mov_b64_e32 v[10:11], 0
	v_mov_b64_e32 v[14:15], 0
	v_mov_b64_e32 v[12:13], 0
	v_mov_b64_e32 v[18:19], 0
	v_mov_b64_e32 v[16:17], 0
	v_mov_b64_e32 v[22:23], 0
	v_mov_b64_e32 v[20:21], 0
	s_branch .LBB423_8
.LBB423_7:                              ;   in Loop: Header=BB423_8 Depth=1
	s_or_b64 exec, exec, s[26:27]
	s_waitcnt lgkmcnt(0)
	s_barrier
	ds_read_b128 v[32:35], v30
	ds_read_b128 v[36:39], v31
	ds_read_b128 v[40:43], v31 offset:16
	ds_read_b128 v[44:47], v31 offset:32
	;; [unrolled: 1-line block ×4, first 2 shown]
	s_waitcnt lgkmcnt(4)
	v_mul_f64 v[56:57], v[38:39], v[34:35]
	v_fma_f64 v[56:57], v[36:37], v[32:33], -v[56:57]
	v_mul_f64 v[58:59], v[36:37], v[34:35]
	v_fmac_f64_e32 v[58:59], v[38:39], v[32:33]
	v_add_f64 v[56:57], v[20:21], v[56:57]
	s_waitcnt lgkmcnt(0)
	v_mul_f64 v[20:21], v[38:39], v[54:55]
	v_add_f64 v[58:59], v[58:59], v[22:23]
	v_fma_f64 v[60:61], v[36:37], v[52:53], -v[20:21]
	ds_read_b128 v[20:23], v31 offset:2048
	v_mul_f64 v[36:37], v[36:37], v[54:55]
	v_fmac_f64_e32 v[36:37], v[38:39], v[52:53]
	v_add_f64 v[38:39], v[16:17], v[60:61]
	v_add_f64 v[36:37], v[36:37], v[18:19]
	ds_read_b128 v[16:19], v31 offset:2064
	s_waitcnt lgkmcnt(1)
	v_mul_f64 v[60:61], v[22:23], v[34:35]
	v_fma_f64 v[60:61], v[20:21], v[32:33], -v[60:61]
	v_mul_f64 v[34:35], v[20:21], v[34:35]
	v_fmac_f64_e32 v[34:35], v[22:23], v[32:33]
	v_add_f64 v[32:33], v[12:13], v[60:61]
	v_mul_f64 v[12:13], v[22:23], v[54:55]
	v_add_f64 v[34:35], v[34:35], v[14:15]
	v_fma_f64 v[60:61], v[20:21], v[52:53], -v[12:13]
	v_mul_f64 v[20:21], v[20:21], v[54:55]
	ds_read_b128 v[12:15], v30 offset:512
	v_fmac_f64_e32 v[20:21], v[22:23], v[52:53]
	v_add_f64 v[22:23], v[10:11], v[60:61]
	v_add_f64 v[20:21], v[20:21], v[8:9]
	ds_read_b128 v[8:11], v30 offset:768
	s_waitcnt lgkmcnt(1)
	v_mul_f64 v[52:53], v[42:43], v[14:15]
	v_fma_f64 v[52:53], v[40:41], v[12:13], -v[52:53]
	v_add_f64 v[52:53], v[56:57], v[52:53]
	v_mul_f64 v[54:55], v[40:41], v[14:15]
	s_waitcnt lgkmcnt(0)
	v_mul_f64 v[56:57], v[42:43], v[10:11]
	v_fma_f64 v[56:57], v[40:41], v[8:9], -v[56:57]
	v_mul_f64 v[40:41], v[40:41], v[10:11]
	v_fmac_f64_e32 v[40:41], v[42:43], v[8:9]
	v_add_f64 v[36:37], v[40:41], v[36:37]
	v_mul_f64 v[40:41], v[18:19], v[14:15]
	v_mul_f64 v[14:15], v[16:17], v[14:15]
	v_fmac_f64_e32 v[54:55], v[42:43], v[12:13]
	v_fma_f64 v[40:41], v[16:17], v[12:13], -v[40:41]
	v_fmac_f64_e32 v[14:15], v[18:19], v[12:13]
	v_mul_f64 v[12:13], v[18:19], v[10:11]
	v_add_f64 v[42:43], v[14:15], v[34:35]
	v_fma_f64 v[14:15], v[16:17], v[8:9], -v[12:13]
	v_mul_f64 v[16:17], v[16:17], v[10:11]
	ds_read_b128 v[10:13], v30 offset:1024
	v_fmac_f64_e32 v[16:17], v[18:19], v[8:9]
	v_add_f64 v[38:39], v[38:39], v[56:57]
	v_add_f64 v[22:23], v[22:23], v[14:15]
	;; [unrolled: 1-line block ×3, first 2 shown]
	ds_read_b128 v[14:17], v30 offset:1280
	s_waitcnt lgkmcnt(1)
	v_mul_f64 v[18:19], v[44:45], v[12:13]
	v_add_f64 v[54:55], v[54:55], v[58:59]
	v_fmac_f64_e32 v[18:19], v[46:47], v[10:11]
	v_add_f64 v[54:55], v[18:19], v[54:55]
	ds_read_b128 v[18:21], v31 offset:2080
	v_mul_f64 v[8:9], v[46:47], v[12:13]
	v_fma_f64 v[8:9], v[44:45], v[10:11], -v[8:9]
	v_add_f64 v[40:41], v[32:33], v[40:41]
	v_add_f64 v[52:53], v[52:53], v[8:9]
	s_waitcnt lgkmcnt(1)
	v_mul_f64 v[8:9], v[46:47], v[16:17]
	v_mul_f64 v[32:33], v[44:45], v[16:17]
	v_fma_f64 v[8:9], v[44:45], v[14:15], -v[8:9]
	v_fmac_f64_e32 v[32:33], v[46:47], v[14:15]
	v_add_f64 v[38:39], v[38:39], v[8:9]
	v_add_f64 v[36:37], v[32:33], v[36:37]
	ds_read_b128 v[32:35], v31 offset:2096
	s_waitcnt lgkmcnt(1)
	v_mul_f64 v[8:9], v[20:21], v[12:13]
	v_fma_f64 v[8:9], v[18:19], v[10:11], -v[8:9]
	v_mul_f64 v[12:13], v[18:19], v[12:13]
	v_fmac_f64_e32 v[12:13], v[20:21], v[10:11]
	v_add_f64 v[40:41], v[40:41], v[8:9]
	v_mul_f64 v[8:9], v[20:21], v[16:17]
	v_add_f64 v[42:43], v[12:13], v[42:43]
	v_fma_f64 v[12:13], v[18:19], v[14:15], -v[8:9]
	ds_read_b128 v[8:11], v30 offset:1536
	v_mul_f64 v[16:17], v[18:19], v[16:17]
	v_fmac_f64_e32 v[16:17], v[20:21], v[14:15]
	v_add_f64 v[18:19], v[22:23], v[12:13]
	ds_read_b128 v[12:15], v30 offset:1792
	s_waitcnt lgkmcnt(1)
	v_mul_f64 v[20:21], v[50:51], v[10:11]
	v_fma_f64 v[20:21], v[48:49], v[8:9], -v[20:21]
	v_mul_f64 v[22:23], v[48:49], v[10:11]
	v_fmac_f64_e32 v[22:23], v[50:51], v[8:9]
	v_add_f64 v[44:45], v[52:53], v[20:21]
	s_waitcnt lgkmcnt(0)
	v_mul_f64 v[20:21], v[50:51], v[14:15]
	v_add_f64 v[46:47], v[22:23], v[54:55]
	v_fma_f64 v[20:21], v[48:49], v[12:13], -v[20:21]
	v_mul_f64 v[22:23], v[48:49], v[14:15]
	v_fmac_f64_e32 v[22:23], v[50:51], v[12:13]
	v_add_f64 v[38:39], v[38:39], v[20:21]
	v_mul_f64 v[20:21], v[34:35], v[10:11]
	v_mul_f64 v[10:11], v[32:33], v[10:11]
	v_add_f64 v[36:37], v[22:23], v[36:37]
	v_fma_f64 v[20:21], v[32:33], v[8:9], -v[20:21]
	v_fmac_f64_e32 v[10:11], v[34:35], v[8:9]
	v_mul_f64 v[8:9], v[34:35], v[14:15]
	v_mul_f64 v[22:23], v[32:33], v[14:15]
	v_add_f64 v[40:41], v[40:41], v[20:21]
	v_add_f64 v[42:43], v[10:11], v[42:43]
	v_fma_f64 v[20:21], v[32:33], v[12:13], -v[8:9]
	v_fmac_f64_e32 v[22:23], v[34:35], v[12:13]
	ds_read_b128 v[8:11], v31 offset:64
	ds_read_b128 v[12:15], v30 offset:2048
	v_add_f64 v[16:17], v[16:17], v[56:57]
	v_add_f64 v[48:49], v[18:19], v[20:21]
	;; [unrolled: 1-line block ×3, first 2 shown]
	ds_read_b128 v[16:19], v30 offset:2304
	ds_read_b128 v[20:23], v31 offset:80
	s_waitcnt lgkmcnt(2)
	v_mul_f64 v[32:33], v[10:11], v[14:15]
	v_fma_f64 v[32:33], v[8:9], v[12:13], -v[32:33]
	v_mul_f64 v[34:35], v[8:9], v[14:15]
	v_fmac_f64_e32 v[34:35], v[10:11], v[12:13]
	v_add_f64 v[44:45], v[44:45], v[32:33]
	s_waitcnt lgkmcnt(1)
	v_mul_f64 v[32:33], v[10:11], v[18:19]
	v_add_f64 v[46:47], v[34:35], v[46:47]
	v_fma_f64 v[52:53], v[8:9], v[16:17], -v[32:33]
	ds_read_b128 v[32:35], v31 offset:2112
	v_mul_f64 v[8:9], v[8:9], v[18:19]
	v_fmac_f64_e32 v[8:9], v[10:11], v[16:17]
	v_add_f64 v[38:39], v[38:39], v[52:53]
	v_add_f64 v[36:37], v[8:9], v[36:37]
	ds_read_b128 v[8:11], v31 offset:2128
	s_waitcnt lgkmcnt(1)
	v_mul_f64 v[52:53], v[34:35], v[14:15]
	v_mul_f64 v[14:15], v[32:33], v[14:15]
	v_fma_f64 v[52:53], v[32:33], v[12:13], -v[52:53]
	v_fmac_f64_e32 v[14:15], v[34:35], v[12:13]
	v_mul_f64 v[12:13], v[34:35], v[18:19]
	v_add_f64 v[40:41], v[40:41], v[52:53]
	v_add_f64 v[42:43], v[14:15], v[42:43]
	v_fma_f64 v[52:53], v[32:33], v[16:17], -v[12:13]
	v_mul_f64 v[18:19], v[32:33], v[18:19]
	ds_read_b128 v[12:15], v30 offset:2560
	v_fmac_f64_e32 v[18:19], v[34:35], v[16:17]
	v_add_f64 v[34:35], v[18:19], v[50:51]
	ds_read_b128 v[16:19], v30 offset:2816
	v_add_f64 v[32:33], v[48:49], v[52:53]
	s_waitcnt lgkmcnt(1)
	v_mul_f64 v[48:49], v[22:23], v[14:15]
	v_fma_f64 v[48:49], v[20:21], v[12:13], -v[48:49]
	v_add_f64 v[44:45], v[44:45], v[48:49]
	s_waitcnt lgkmcnt(0)
	v_mul_f64 v[48:49], v[22:23], v[18:19]
	v_mul_f64 v[50:51], v[20:21], v[14:15]
	v_fma_f64 v[48:49], v[20:21], v[16:17], -v[48:49]
	v_mul_f64 v[20:21], v[20:21], v[18:19]
	v_fmac_f64_e32 v[20:21], v[22:23], v[16:17]
	v_add_f64 v[36:37], v[20:21], v[36:37]
	v_mul_f64 v[20:21], v[10:11], v[14:15]
	v_mul_f64 v[14:15], v[8:9], v[14:15]
	v_fmac_f64_e32 v[50:51], v[22:23], v[12:13]
	v_fma_f64 v[20:21], v[8:9], v[12:13], -v[20:21]
	v_fmac_f64_e32 v[14:15], v[10:11], v[12:13]
	v_mul_f64 v[12:13], v[10:11], v[18:19]
	v_mul_f64 v[18:19], v[8:9], v[18:19]
	v_add_f64 v[40:41], v[40:41], v[20:21]
	v_add_f64 v[42:43], v[14:15], v[42:43]
	v_fma_f64 v[20:21], v[8:9], v[16:17], -v[12:13]
	v_fmac_f64_e32 v[18:19], v[10:11], v[16:17]
	ds_read_b128 v[8:11], v31 offset:96
	ds_read_b128 v[12:15], v30 offset:3072
	v_add_f64 v[46:47], v[50:51], v[46:47]
	v_add_f64 v[38:39], v[38:39], v[48:49]
	;; [unrolled: 1-line block ×4, first 2 shown]
	ds_read_b128 v[16:19], v30 offset:3328
	ds_read_b128 v[32:35], v31 offset:112
	s_waitcnt lgkmcnt(2)
	v_mul_f64 v[20:21], v[10:11], v[14:15]
	v_fma_f64 v[20:21], v[8:9], v[12:13], -v[20:21]
	v_mul_f64 v[22:23], v[8:9], v[14:15]
	v_fmac_f64_e32 v[22:23], v[10:11], v[12:13]
	v_add_f64 v[44:45], v[44:45], v[20:21]
	s_waitcnt lgkmcnt(1)
	v_mul_f64 v[20:21], v[10:11], v[18:19]
	v_add_f64 v[46:47], v[22:23], v[46:47]
	v_fma_f64 v[52:53], v[8:9], v[16:17], -v[20:21]
	ds_read_b128 v[20:23], v31 offset:2144
	v_mul_f64 v[8:9], v[8:9], v[18:19]
	v_fmac_f64_e32 v[8:9], v[10:11], v[16:17]
	v_add_f64 v[54:55], v[8:9], v[36:37]
	ds_read_b128 v[8:11], v31 offset:2160
	s_waitcnt lgkmcnt(1)
	v_mul_f64 v[36:37], v[22:23], v[14:15]
	v_mul_f64 v[14:15], v[20:21], v[14:15]
	v_fma_f64 v[36:37], v[20:21], v[12:13], -v[36:37]
	v_fmac_f64_e32 v[14:15], v[22:23], v[12:13]
	v_mul_f64 v[12:13], v[22:23], v[18:19]
	v_add_f64 v[40:41], v[40:41], v[36:37]
	v_add_f64 v[42:43], v[14:15], v[42:43]
	v_fma_f64 v[36:37], v[20:21], v[16:17], -v[12:13]
	ds_read_b128 v[12:15], v30 offset:3584
	v_add_f64 v[52:53], v[38:39], v[52:53]
	v_add_f64 v[48:49], v[48:49], v[36:37]
	ds_read_b128 v[36:39], v30 offset:3840
	v_mul_f64 v[18:19], v[20:21], v[18:19]
	v_fmac_f64_e32 v[18:19], v[22:23], v[16:17]
	s_waitcnt lgkmcnt(1)
	v_mul_f64 v[16:17], v[34:35], v[14:15]
	v_add_f64 v[50:51], v[18:19], v[50:51]
	v_fma_f64 v[16:17], v[32:33], v[12:13], -v[16:17]
	v_mul_f64 v[18:19], v[32:33], v[14:15]
	v_fmac_f64_e32 v[18:19], v[34:35], v[12:13]
	v_add_f64 v[20:21], v[44:45], v[16:17]
	s_waitcnt lgkmcnt(0)
	v_mul_f64 v[16:17], v[34:35], v[38:39]
	v_add_f64 v[22:23], v[18:19], v[46:47]
	v_fma_f64 v[16:17], v[32:33], v[36:37], -v[16:17]
	v_mul_f64 v[18:19], v[32:33], v[38:39]
	v_mul_f64 v[32:33], v[10:11], v[14:15]
	v_fma_f64 v[32:33], v[8:9], v[12:13], -v[32:33]
	v_mul_f64 v[14:15], v[8:9], v[14:15]
	v_fmac_f64_e32 v[14:15], v[10:11], v[12:13]
	v_add_f64 v[12:13], v[40:41], v[32:33]
	v_mul_f64 v[32:33], v[10:11], v[38:39]
	v_fma_f64 v[32:33], v[8:9], v[36:37], -v[32:33]
	v_mul_f64 v[8:9], v[8:9], v[38:39]
	v_fmac_f64_e32 v[18:19], v[34:35], v[36:37]
	v_fmac_f64_e32 v[8:9], v[10:11], v[36:37]
	s_add_i32 s5, s5, 8
	v_add_f64 v[16:17], v[52:53], v[16:17]
	v_add_f64 v[18:19], v[18:19], v[54:55]
	;; [unrolled: 1-line block ×5, first 2 shown]
	v_lshl_add_u64 v[4:5], v[4:5], 0, s[22:23]
	s_cmp_lt_i32 s5, s7
	v_lshl_add_u64 v[6:7], v[6:7], 0, s[24:25]
	s_barrier
	s_cbranch_scc0 .LBB423_16
.LBB423_8:                              ; =>This Inner Loop Header: Depth=1
	v_add_u32_e32 v32, s5, v27
	v_cmp_le_i32_e32 vcc, s7, v32
	s_or_b64 s[26:27], s[8:9], vcc
	s_and_saveexec_b64 s[30:31], s[26:27]
	s_xor_b64 s[26:27], exec, s[30:31]
; %bb.9:                                ;   in Loop: Header=BB423_8 Depth=1
	ds_write_b128 v28, v[0:3]
; %bb.10:                               ;   in Loop: Header=BB423_8 Depth=1
	s_andn2_saveexec_b64 s[26:27], s[26:27]
	s_cbranch_execz .LBB423_12
; %bb.11:                               ;   in Loop: Header=BB423_8 Depth=1
	flat_load_dwordx4 v[32:35], v[4:5]
	s_waitcnt vmcnt(0) lgkmcnt(0)
	ds_write2_b64 v28, v[32:33], v[34:35] offset1:1
.LBB423_12:                             ;   in Loop: Header=BB423_8 Depth=1
	s_or_b64 exec, exec, s[26:27]
	v_add_u32_e32 v32, s5, v26
	v_cmp_le_i32_e32 vcc, s7, v32
	s_or_b64 s[26:27], vcc, s[2:3]
	s_and_saveexec_b64 s[30:31], s[26:27]
	s_xor_b64 s[26:27], exec, s[30:31]
; %bb.13:                               ;   in Loop: Header=BB423_8 Depth=1
	ds_write_b128 v29, v[0:3]
; %bb.14:                               ;   in Loop: Header=BB423_8 Depth=1
	s_andn2_saveexec_b64 s[26:27], s[26:27]
	s_cbranch_execz .LBB423_7
; %bb.15:                               ;   in Loop: Header=BB423_8 Depth=1
	flat_load_dwordx4 v[32:35], v[6:7]
	s_waitcnt vmcnt(0) lgkmcnt(0)
	ds_write2_b64 v29, v[32:33], v[34:35] offset1:1
	s_branch .LBB423_7
.LBB423_16:
	s_load_dwordx2 s[2:3], s[0:1], 0x68
	s_load_dword s22, s[0:1], 0x60
	v_add_u32_e32 v4, s4, v24
	v_add_u32_e32 v26, s28, v25
	v_cmp_neq_f64_e64 s[0:1], s[10:11], 0
	s_waitcnt lgkmcnt(0)
	s_lshl_b64 s[2:3], s[2:3], 4
	s_add_u32 s8, s14, s2
	s_addc_u32 s9, s15, s3
	s_xor_b64 s[4:5], s[20:21], -1
	v_mad_i64_i32 v[0:1], s[2:3], v26, s22, 0
	s_or_b64 s[0:1], s[0:1], s[4:5]
	v_lshl_add_u64 v[24:25], v[0:1], 4, s[8:9]
	v_cmp_le_i32_e32 vcc, v26, v4
	v_cmp_gt_i32_e64 s[2:3], s6, v4
	v_cndmask_b32_e64 v0, 0, 1, s[0:1]
	s_and_b64 s[14:15], vcc, s[2:3]
	v_ashrrev_i32_e32 v5, 31, v4
	v_cmp_ne_u32_e64 s[0:1], 1, v0
	s_and_saveexec_b64 s[4:5], s[14:15]
	s_cbranch_execz .LBB423_20
; %bb.17:
	v_mul_f64 v[0:1], s[18:19], v[22:23]
	v_mul_f64 v[2:3], s[16:17], v[22:23]
	v_fma_f64 v[0:1], s[16:17], v[20:21], -v[0:1]
	v_fmac_f64_e32 v[2:3], s[18:19], v[20:21]
	s_and_b64 vcc, exec, s[0:1]
	v_lshl_add_u64 v[6:7], v[4:5], 4, v[24:25]
	s_cbranch_vccnz .LBB423_19
; %bb.18:
	flat_load_dwordx4 v[20:23], v[6:7]
	s_waitcnt vmcnt(0) lgkmcnt(0)
	v_mul_f64 v[28:29], s[12:13], v[22:23]
	v_mul_f64 v[22:23], s[10:11], v[22:23]
	v_fma_f64 v[28:29], s[10:11], v[20:21], -v[28:29]
	v_fmac_f64_e32 v[22:23], s[12:13], v[20:21]
	v_add_f64 v[0:1], v[0:1], v[28:29]
	v_add_f64 v[2:3], v[2:3], v[22:23]
.LBB423_19:
	flat_store_dwordx4 v[6:7], v[0:3]
.LBB423_20:
	s_or_b64 exec, exec, s[4:5]
	v_add_u32_e32 v6, 16, v4
	v_cmp_le_i32_e32 vcc, v26, v6
	v_cmp_gt_i32_e64 s[4:5], s6, v6
	s_and_b64 s[14:15], vcc, s[4:5]
	v_ashrrev_i32_e32 v7, 31, v6
	s_and_saveexec_b64 s[6:7], s[14:15]
	s_cbranch_execz .LBB423_24
; %bb.21:
	v_mul_f64 v[0:1], s[18:19], v[18:19]
	v_mul_f64 v[2:3], s[16:17], v[18:19]
	v_fma_f64 v[0:1], s[16:17], v[16:17], -v[0:1]
	v_fmac_f64_e32 v[2:3], s[18:19], v[16:17]
	s_and_b64 vcc, exec, s[0:1]
	v_lshl_add_u64 v[16:17], v[6:7], 4, v[24:25]
	s_cbranch_vccnz .LBB423_23
; %bb.22:
	flat_load_dwordx4 v[18:21], v[16:17]
	s_waitcnt vmcnt(0) lgkmcnt(0)
	v_mul_f64 v[22:23], s[12:13], v[20:21]
	v_mul_f64 v[20:21], s[10:11], v[20:21]
	v_fma_f64 v[22:23], s[10:11], v[18:19], -v[22:23]
	v_fmac_f64_e32 v[20:21], s[12:13], v[18:19]
	v_add_f64 v[0:1], v[0:1], v[22:23]
	v_add_f64 v[2:3], v[2:3], v[20:21]
.LBB423_23:
	flat_store_dwordx4 v[16:17], v[0:3]
.LBB423_24:
	s_or_b64 exec, exec, s[6:7]
	v_add_u32_e32 v18, 16, v26
	v_mad_i64_i32 v[0:1], s[6:7], v18, s22, 0
	v_cmp_le_i32_e32 vcc, v18, v4
	v_lshl_add_u64 v[16:17], v[0:1], 4, s[8:9]
	s_and_b64 s[6:7], vcc, s[2:3]
	s_and_saveexec_b64 s[2:3], s[6:7]
	s_cbranch_execz .LBB423_28
; %bb.25:
	v_mul_f64 v[0:1], s[18:19], v[14:15]
	v_mul_f64 v[2:3], s[16:17], v[14:15]
	v_fma_f64 v[0:1], s[16:17], v[12:13], -v[0:1]
	v_fmac_f64_e32 v[2:3], s[18:19], v[12:13]
	s_and_b64 vcc, exec, s[0:1]
	v_lshl_add_u64 v[4:5], v[4:5], 4, v[16:17]
	s_cbranch_vccnz .LBB423_27
; %bb.26:
	flat_load_dwordx4 v[12:15], v[4:5]
	s_waitcnt vmcnt(0) lgkmcnt(0)
	v_mul_f64 v[20:21], s[12:13], v[14:15]
	v_mul_f64 v[14:15], s[10:11], v[14:15]
	v_fma_f64 v[20:21], s[10:11], v[12:13], -v[20:21]
	v_fmac_f64_e32 v[14:15], s[12:13], v[12:13]
	v_add_f64 v[0:1], v[0:1], v[20:21]
	v_add_f64 v[2:3], v[2:3], v[14:15]
.LBB423_27:
	flat_store_dwordx4 v[4:5], v[0:3]
.LBB423_28:
	s_or_b64 exec, exec, s[2:3]
	v_cmp_le_i32_e32 vcc, v18, v6
	s_and_b64 s[2:3], vcc, s[4:5]
	s_and_saveexec_b64 s[4:5], s[2:3]
	s_cbranch_execz .LBB423_32
; %bb.29:
	v_mul_f64 v[0:1], s[18:19], v[8:9]
	v_mul_f64 v[2:3], s[16:17], v[8:9]
	v_fma_f64 v[0:1], s[16:17], v[10:11], -v[0:1]
	v_fmac_f64_e32 v[2:3], s[18:19], v[10:11]
	s_and_b64 vcc, exec, s[0:1]
	v_lshl_add_u64 v[4:5], v[6:7], 4, v[16:17]
	s_cbranch_vccnz .LBB423_31
; %bb.30:
	flat_load_dwordx4 v[6:9], v[4:5]
	s_waitcnt vmcnt(0) lgkmcnt(0)
	v_mul_f64 v[10:11], s[12:13], v[8:9]
	v_mul_f64 v[8:9], s[10:11], v[8:9]
	v_fma_f64 v[10:11], s[10:11], v[6:7], -v[10:11]
	v_fmac_f64_e32 v[8:9], s[12:13], v[6:7]
	v_add_f64 v[0:1], v[0:1], v[10:11]
	v_add_f64 v[2:3], v[2:3], v[8:9]
.LBB423_31:
	flat_store_dwordx4 v[4:5], v[0:3]
.LBB423_32:
	s_endpgm
	.section	.rodata,"a",@progbits
	.p2align	6, 0x0
	.amdhsa_kernel _ZL29rocblas_internal_gemmt_kernelIiLi16ELi32ELi8ELc78ELc78ELc76ELb0ELb0E19rocblas_complex_numIdES1_PKPKS1_PKPS1_EviT_T9_T10_S9_lSB_S9_lSA_T11_S9_li
		.amdhsa_group_segment_fixed_size 8192
		.amdhsa_private_segment_fixed_size 0
		.amdhsa_kernarg_size 116
		.amdhsa_user_sgpr_count 2
		.amdhsa_user_sgpr_dispatch_ptr 0
		.amdhsa_user_sgpr_queue_ptr 0
		.amdhsa_user_sgpr_kernarg_segment_ptr 1
		.amdhsa_user_sgpr_dispatch_id 0
		.amdhsa_user_sgpr_kernarg_preload_length 0
		.amdhsa_user_sgpr_kernarg_preload_offset 0
		.amdhsa_user_sgpr_private_segment_size 0
		.amdhsa_uses_dynamic_stack 0
		.amdhsa_enable_private_segment 0
		.amdhsa_system_sgpr_workgroup_id_x 1
		.amdhsa_system_sgpr_workgroup_id_y 1
		.amdhsa_system_sgpr_workgroup_id_z 1
		.amdhsa_system_sgpr_workgroup_info 0
		.amdhsa_system_vgpr_workitem_id 1
		.amdhsa_next_free_vgpr 62
		.amdhsa_next_free_sgpr 36
		.amdhsa_accum_offset 64
		.amdhsa_reserve_vcc 1
		.amdhsa_float_round_mode_32 0
		.amdhsa_float_round_mode_16_64 0
		.amdhsa_float_denorm_mode_32 3
		.amdhsa_float_denorm_mode_16_64 3
		.amdhsa_dx10_clamp 1
		.amdhsa_ieee_mode 1
		.amdhsa_fp16_overflow 0
		.amdhsa_tg_split 0
		.amdhsa_exception_fp_ieee_invalid_op 0
		.amdhsa_exception_fp_denorm_src 0
		.amdhsa_exception_fp_ieee_div_zero 0
		.amdhsa_exception_fp_ieee_overflow 0
		.amdhsa_exception_fp_ieee_underflow 0
		.amdhsa_exception_fp_ieee_inexact 0
		.amdhsa_exception_int_div_zero 0
	.end_amdhsa_kernel
	.section	.text._ZL29rocblas_internal_gemmt_kernelIiLi16ELi32ELi8ELc78ELc78ELc76ELb0ELb0E19rocblas_complex_numIdES1_PKPKS1_PKPS1_EviT_T9_T10_S9_lSB_S9_lSA_T11_S9_li,"axG",@progbits,_ZL29rocblas_internal_gemmt_kernelIiLi16ELi32ELi8ELc78ELc78ELc76ELb0ELb0E19rocblas_complex_numIdES1_PKPKS1_PKPS1_EviT_T9_T10_S9_lSB_S9_lSA_T11_S9_li,comdat
.Lfunc_end423:
	.size	_ZL29rocblas_internal_gemmt_kernelIiLi16ELi32ELi8ELc78ELc78ELc76ELb0ELb0E19rocblas_complex_numIdES1_PKPKS1_PKPS1_EviT_T9_T10_S9_lSB_S9_lSA_T11_S9_li, .Lfunc_end423-_ZL29rocblas_internal_gemmt_kernelIiLi16ELi32ELi8ELc78ELc78ELc76ELb0ELb0E19rocblas_complex_numIdES1_PKPKS1_PKPS1_EviT_T9_T10_S9_lSB_S9_lSA_T11_S9_li
                                        ; -- End function
	.set _ZL29rocblas_internal_gemmt_kernelIiLi16ELi32ELi8ELc78ELc78ELc76ELb0ELb0E19rocblas_complex_numIdES1_PKPKS1_PKPS1_EviT_T9_T10_S9_lSB_S9_lSA_T11_S9_li.num_vgpr, 62
	.set _ZL29rocblas_internal_gemmt_kernelIiLi16ELi32ELi8ELc78ELc78ELc76ELb0ELb0E19rocblas_complex_numIdES1_PKPKS1_PKPS1_EviT_T9_T10_S9_lSB_S9_lSA_T11_S9_li.num_agpr, 0
	.set _ZL29rocblas_internal_gemmt_kernelIiLi16ELi32ELi8ELc78ELc78ELc76ELb0ELb0E19rocblas_complex_numIdES1_PKPKS1_PKPS1_EviT_T9_T10_S9_lSB_S9_lSA_T11_S9_li.numbered_sgpr, 36
	.set _ZL29rocblas_internal_gemmt_kernelIiLi16ELi32ELi8ELc78ELc78ELc76ELb0ELb0E19rocblas_complex_numIdES1_PKPKS1_PKPS1_EviT_T9_T10_S9_lSB_S9_lSA_T11_S9_li.num_named_barrier, 0
	.set _ZL29rocblas_internal_gemmt_kernelIiLi16ELi32ELi8ELc78ELc78ELc76ELb0ELb0E19rocblas_complex_numIdES1_PKPKS1_PKPS1_EviT_T9_T10_S9_lSB_S9_lSA_T11_S9_li.private_seg_size, 0
	.set _ZL29rocblas_internal_gemmt_kernelIiLi16ELi32ELi8ELc78ELc78ELc76ELb0ELb0E19rocblas_complex_numIdES1_PKPKS1_PKPS1_EviT_T9_T10_S9_lSB_S9_lSA_T11_S9_li.uses_vcc, 1
	.set _ZL29rocblas_internal_gemmt_kernelIiLi16ELi32ELi8ELc78ELc78ELc76ELb0ELb0E19rocblas_complex_numIdES1_PKPKS1_PKPS1_EviT_T9_T10_S9_lSB_S9_lSA_T11_S9_li.uses_flat_scratch, 0
	.set _ZL29rocblas_internal_gemmt_kernelIiLi16ELi32ELi8ELc78ELc78ELc76ELb0ELb0E19rocblas_complex_numIdES1_PKPKS1_PKPS1_EviT_T9_T10_S9_lSB_S9_lSA_T11_S9_li.has_dyn_sized_stack, 0
	.set _ZL29rocblas_internal_gemmt_kernelIiLi16ELi32ELi8ELc78ELc78ELc76ELb0ELb0E19rocblas_complex_numIdES1_PKPKS1_PKPS1_EviT_T9_T10_S9_lSB_S9_lSA_T11_S9_li.has_recursion, 0
	.set _ZL29rocblas_internal_gemmt_kernelIiLi16ELi32ELi8ELc78ELc78ELc76ELb0ELb0E19rocblas_complex_numIdES1_PKPKS1_PKPS1_EviT_T9_T10_S9_lSB_S9_lSA_T11_S9_li.has_indirect_call, 0
	.section	.AMDGPU.csdata,"",@progbits
; Kernel info:
; codeLenInByte = 3104
; TotalNumSgprs: 42
; NumVgprs: 62
; NumAgprs: 0
; TotalNumVgprs: 62
; ScratchSize: 0
; MemoryBound: 0
; FloatMode: 240
; IeeeMode: 1
; LDSByteSize: 8192 bytes/workgroup (compile time only)
; SGPRBlocks: 5
; VGPRBlocks: 7
; NumSGPRsForWavesPerEU: 42
; NumVGPRsForWavesPerEU: 62
; AccumOffset: 64
; Occupancy: 8
; WaveLimiterHint : 1
; COMPUTE_PGM_RSRC2:SCRATCH_EN: 0
; COMPUTE_PGM_RSRC2:USER_SGPR: 2
; COMPUTE_PGM_RSRC2:TRAP_HANDLER: 0
; COMPUTE_PGM_RSRC2:TGID_X_EN: 1
; COMPUTE_PGM_RSRC2:TGID_Y_EN: 1
; COMPUTE_PGM_RSRC2:TGID_Z_EN: 1
; COMPUTE_PGM_RSRC2:TIDIG_COMP_CNT: 1
; COMPUTE_PGM_RSRC3_GFX90A:ACCUM_OFFSET: 15
; COMPUTE_PGM_RSRC3_GFX90A:TG_SPLIT: 0
	.section	.text._ZL29rocblas_internal_gemmt_kernelIiLi16ELi32ELi8ELc78ELc84ELc76ELb0ELb0E19rocblas_complex_numIdES1_PKPKS1_PKPS1_EviT_T9_T10_S9_lSB_S9_lSA_T11_S9_li,"axG",@progbits,_ZL29rocblas_internal_gemmt_kernelIiLi16ELi32ELi8ELc78ELc84ELc76ELb0ELb0E19rocblas_complex_numIdES1_PKPKS1_PKPS1_EviT_T9_T10_S9_lSB_S9_lSA_T11_S9_li,comdat
	.globl	_ZL29rocblas_internal_gemmt_kernelIiLi16ELi32ELi8ELc78ELc84ELc76ELb0ELb0E19rocblas_complex_numIdES1_PKPKS1_PKPS1_EviT_T9_T10_S9_lSB_S9_lSA_T11_S9_li ; -- Begin function _ZL29rocblas_internal_gemmt_kernelIiLi16ELi32ELi8ELc78ELc84ELc76ELb0ELb0E19rocblas_complex_numIdES1_PKPKS1_PKPS1_EviT_T9_T10_S9_lSB_S9_lSA_T11_S9_li
	.p2align	8
	.type	_ZL29rocblas_internal_gemmt_kernelIiLi16ELi32ELi8ELc78ELc84ELc76ELb0ELb0E19rocblas_complex_numIdES1_PKPKS1_PKPS1_EviT_T9_T10_S9_lSB_S9_lSA_T11_S9_li,@function
_ZL29rocblas_internal_gemmt_kernelIiLi16ELi32ELi8ELc78ELc84ELc76ELb0ELb0E19rocblas_complex_numIdES1_PKPKS1_PKPS1_EviT_T9_T10_S9_lSB_S9_lSA_T11_S9_li: ; @_ZL29rocblas_internal_gemmt_kernelIiLi16ELi32ELi8ELc78ELc84ELc76ELb0ELb0E19rocblas_complex_numIdES1_PKPKS1_PKPS1_EviT_T9_T10_S9_lSB_S9_lSA_T11_S9_li
; %bb.0:
	s_load_dwordx8 s[8:15], s[0:1], 0x40
	s_load_dwordx2 s[6:7], s[0:1], 0x0
	s_load_dwordx4 s[16:19], s[0:1], 0x8
	s_mov_b64 s[22:23], 0
	s_waitcnt lgkmcnt(0)
	v_cmp_eq_f64_e64 s[24:25], s[10:11], 1.0
	v_cmp_eq_f64_e64 s[20:21], s[12:13], 0
	s_and_b64 s[24:25], s[24:25], s[20:21]
	s_andn2_b64 vcc, exec, s[24:25]
	s_mov_b64 s[24:25], -1
	s_cbranch_vccnz .LBB424_4
; %bb.1:
	s_cmp_lg_u32 s7, 0
	s_cbranch_scc0 .LBB424_3
; %bb.2:
	v_cmp_neq_f64_e64 s[22:23], s[16:17], 0
	v_cmp_neq_f64_e64 s[24:25], s[18:19], 0
	s_or_b64 s[22:23], s[22:23], s[24:25]
.LBB424_3:
	s_mov_b64 s[24:25], s[22:23]
.LBB424_4:
	s_and_b64 vcc, exec, s[24:25]
	s_cbranch_vccz .LBB424_32
; %bb.5:
	s_mov_b32 s5, 0
	s_lshl_b64 s[22:23], s[4:5], 3
	s_add_u32 s14, s14, s22
	s_addc_u32 s15, s15, s23
	s_lshl_b32 s4, s2, 5
	s_lshl_b32 s28, s3, 5
	v_cmp_eq_f64_e64 s[2:3], s[16:17], 0
	v_cmp_eq_f64_e64 s[24:25], s[18:19], 0
	s_load_dwordx2 s[14:15], s[14:15], 0x0
	s_and_b64 s[2:3], s[2:3], s[24:25]
	s_cmp_lt_i32 s7, 1
	s_cselect_b64 s[24:25], -1, 0
	s_or_b64 s[2:3], s[2:3], s[24:25]
	v_and_b32_e32 v20, 0x3ff, v0
	v_bfe_u32 v21, v0, 10, 10
	v_mov_b64_e32 v[16:17], 0
	s_and_b64 vcc, exec, s[2:3]
	v_mov_b64_e32 v[18:19], 0
	v_mov_b64_e32 v[12:13], 0
	;; [unrolled: 1-line block ×7, first 2 shown]
	s_cbranch_vccnz .LBB424_16
; %bb.6:
	s_load_dwordx2 s[2:3], s[0:1], 0x18
	s_load_dword s30, s[0:1], 0x20
	s_load_dwordx4 s[24:27], s[0:1], 0x28
	s_load_dword s34, s[0:1], 0x38
	v_lshl_add_u32 v0, v21, 4, v20
	v_and_b32_e32 v4, 31, v0
	v_lshrrev_b32_e32 v23, 5, v0
	s_waitcnt lgkmcnt(0)
	s_ashr_i32 s31, s30, 31
	s_ashr_i32 s35, s34, 31
	v_lshrrev_b32_e32 v1, 3, v0
	v_or_b32_e32 v0, s4, v4
	v_and_b32_e32 v22, 7, v20
	s_add_u32 s26, s26, s22
	v_cmp_gt_i32_e32 vcc, s6, v0
	v_lshlrev_b32_e32 v0, 4, v4
	s_addc_u32 s27, s27, s23
	v_lshl_or_b32 v24, v23, 9, v0
	v_lshlrev_b32_e32 v0, 4, v22
	s_add_u32 s2, s2, s22
	v_lshl_or_b32 v0, v1, 7, v0
	s_addc_u32 s3, s3, s23
	v_add_u32_e32 v25, 0x1000, v0
	v_mov_b32_e32 v0, 0x1000
	v_add_u32_e32 v2, s28, v1
	s_load_dwordx2 s[26:27], s[26:27], 0x0
	v_lshl_add_u32 v27, v21, 7, v0
	s_load_dwordx2 s[22:23], s[2:3], 0x0
	v_mad_i64_i32 v[0:1], s[36:37], v23, s30, 0
	s_lshl_b64 s[24:25], s[24:25], 4
	v_add_u32_e32 v4, s4, v4
	v_lshl_add_u64 v[0:1], v[0:1], 4, s[24:25]
	v_ashrrev_i32_e32 v5, 31, v4
	v_lshl_add_u64 v[0:1], v[4:5], 4, v[0:1]
	v_mad_i64_i32 v[4:5], s[24:25], s34, v22, 0
	s_lshl_b64 s[8:9], s[8:9], 4
	v_ashrrev_i32_e32 v3, 31, v2
	v_lshl_add_u64 v[4:5], v[4:5], 4, s[8:9]
	v_cmp_gt_i32_e64 s[2:3], s6, v2
	v_lshl_add_u64 v[2:3], v[2:3], 4, v[4:5]
	v_mov_b32_e32 v28, 0
	v_lshlrev_b32_e32 v26, 4, v20
	s_waitcnt lgkmcnt(0)
	v_lshl_add_u64 v[0:1], s[22:23], 0, v[0:1]
	s_lshl_b64 s[22:23], s[30:31], 7
	v_lshl_add_u64 v[2:3], s[26:27], 0, v[2:3]
	s_lshl_b64 s[8:9], s[34:35], 7
	v_mov_b64_e32 v[4:5], 0
	s_xor_b64 s[24:25], vcc, -1
	s_xor_b64 s[2:3], s[2:3], -1
	v_mov_b32_e32 v29, v28
	v_mov_b32_e32 v30, v28
	;; [unrolled: 1-line block ×3, first 2 shown]
	v_mov_b64_e32 v[6:7], 0
	v_mov_b64_e32 v[10:11], 0
	;; [unrolled: 1-line block ×7, first 2 shown]
	s_branch .LBB424_8
.LBB424_7:                              ;   in Loop: Header=BB424_8 Depth=1
	s_or_b64 exec, exec, s[26:27]
	s_waitcnt lgkmcnt(0)
	s_barrier
	ds_read_b128 v[32:35], v26
	ds_read_b128 v[36:39], v27
	ds_read_b128 v[40:43], v27 offset:16
	ds_read_b128 v[44:47], v27 offset:32
	;; [unrolled: 1-line block ×4, first 2 shown]
	s_waitcnt lgkmcnt(4)
	v_mul_f64 v[56:57], v[38:39], v[34:35]
	v_fma_f64 v[56:57], v[36:37], v[32:33], -v[56:57]
	v_mul_f64 v[58:59], v[36:37], v[34:35]
	v_fmac_f64_e32 v[58:59], v[38:39], v[32:33]
	v_add_f64 v[56:57], v[16:17], v[56:57]
	s_waitcnt lgkmcnt(0)
	v_mul_f64 v[16:17], v[38:39], v[54:55]
	v_add_f64 v[58:59], v[58:59], v[18:19]
	v_fma_f64 v[60:61], v[36:37], v[52:53], -v[16:17]
	ds_read_b128 v[16:19], v27 offset:2048
	v_mul_f64 v[36:37], v[36:37], v[54:55]
	v_fmac_f64_e32 v[36:37], v[38:39], v[52:53]
	v_add_f64 v[38:39], v[12:13], v[60:61]
	v_add_f64 v[36:37], v[36:37], v[14:15]
	ds_read_b128 v[12:15], v27 offset:2064
	s_waitcnt lgkmcnt(1)
	v_mul_f64 v[60:61], v[18:19], v[34:35]
	v_fma_f64 v[60:61], v[16:17], v[32:33], -v[60:61]
	v_mul_f64 v[34:35], v[16:17], v[34:35]
	v_fmac_f64_e32 v[34:35], v[18:19], v[32:33]
	v_add_f64 v[32:33], v[8:9], v[60:61]
	v_mul_f64 v[8:9], v[18:19], v[54:55]
	v_add_f64 v[34:35], v[34:35], v[10:11]
	v_fma_f64 v[60:61], v[16:17], v[52:53], -v[8:9]
	v_mul_f64 v[16:17], v[16:17], v[54:55]
	ds_read_b128 v[8:11], v26 offset:512
	v_fmac_f64_e32 v[16:17], v[18:19], v[52:53]
	v_add_f64 v[18:19], v[6:7], v[60:61]
	v_add_f64 v[16:17], v[16:17], v[4:5]
	ds_read_b128 v[4:7], v26 offset:768
	s_waitcnt lgkmcnt(1)
	v_mul_f64 v[52:53], v[42:43], v[10:11]
	v_fma_f64 v[52:53], v[40:41], v[8:9], -v[52:53]
	v_add_f64 v[52:53], v[56:57], v[52:53]
	v_mul_f64 v[54:55], v[40:41], v[10:11]
	s_waitcnt lgkmcnt(0)
	v_mul_f64 v[56:57], v[42:43], v[6:7]
	v_fma_f64 v[56:57], v[40:41], v[4:5], -v[56:57]
	v_mul_f64 v[40:41], v[40:41], v[6:7]
	v_fmac_f64_e32 v[40:41], v[42:43], v[4:5]
	v_add_f64 v[36:37], v[40:41], v[36:37]
	v_mul_f64 v[40:41], v[14:15], v[10:11]
	v_mul_f64 v[10:11], v[12:13], v[10:11]
	v_fmac_f64_e32 v[54:55], v[42:43], v[8:9]
	v_fma_f64 v[40:41], v[12:13], v[8:9], -v[40:41]
	v_fmac_f64_e32 v[10:11], v[14:15], v[8:9]
	v_mul_f64 v[8:9], v[14:15], v[6:7]
	v_add_f64 v[42:43], v[10:11], v[34:35]
	v_fma_f64 v[10:11], v[12:13], v[4:5], -v[8:9]
	v_mul_f64 v[12:13], v[12:13], v[6:7]
	ds_read_b128 v[6:9], v26 offset:1024
	v_fmac_f64_e32 v[12:13], v[14:15], v[4:5]
	v_add_f64 v[38:39], v[38:39], v[56:57]
	v_add_f64 v[18:19], v[18:19], v[10:11]
	;; [unrolled: 1-line block ×3, first 2 shown]
	ds_read_b128 v[10:13], v26 offset:1280
	s_waitcnt lgkmcnt(1)
	v_mul_f64 v[14:15], v[44:45], v[8:9]
	v_add_f64 v[54:55], v[54:55], v[58:59]
	v_fmac_f64_e32 v[14:15], v[46:47], v[6:7]
	v_add_f64 v[54:55], v[14:15], v[54:55]
	ds_read_b128 v[14:17], v27 offset:2080
	v_mul_f64 v[4:5], v[46:47], v[8:9]
	v_fma_f64 v[4:5], v[44:45], v[6:7], -v[4:5]
	v_add_f64 v[40:41], v[32:33], v[40:41]
	v_add_f64 v[52:53], v[52:53], v[4:5]
	s_waitcnt lgkmcnt(1)
	v_mul_f64 v[4:5], v[46:47], v[12:13]
	v_mul_f64 v[32:33], v[44:45], v[12:13]
	v_fma_f64 v[4:5], v[44:45], v[10:11], -v[4:5]
	v_fmac_f64_e32 v[32:33], v[46:47], v[10:11]
	v_add_f64 v[38:39], v[38:39], v[4:5]
	v_add_f64 v[36:37], v[32:33], v[36:37]
	ds_read_b128 v[32:35], v27 offset:2096
	s_waitcnt lgkmcnt(1)
	v_mul_f64 v[4:5], v[16:17], v[8:9]
	v_fma_f64 v[4:5], v[14:15], v[6:7], -v[4:5]
	v_mul_f64 v[8:9], v[14:15], v[8:9]
	v_fmac_f64_e32 v[8:9], v[16:17], v[6:7]
	v_add_f64 v[40:41], v[40:41], v[4:5]
	v_mul_f64 v[4:5], v[16:17], v[12:13]
	v_add_f64 v[42:43], v[8:9], v[42:43]
	v_fma_f64 v[8:9], v[14:15], v[10:11], -v[4:5]
	ds_read_b128 v[4:7], v26 offset:1536
	v_mul_f64 v[12:13], v[14:15], v[12:13]
	v_fmac_f64_e32 v[12:13], v[16:17], v[10:11]
	v_add_f64 v[14:15], v[18:19], v[8:9]
	ds_read_b128 v[8:11], v26 offset:1792
	s_waitcnt lgkmcnt(1)
	v_mul_f64 v[16:17], v[50:51], v[6:7]
	v_fma_f64 v[16:17], v[48:49], v[4:5], -v[16:17]
	v_mul_f64 v[18:19], v[48:49], v[6:7]
	v_fmac_f64_e32 v[18:19], v[50:51], v[4:5]
	v_add_f64 v[44:45], v[52:53], v[16:17]
	s_waitcnt lgkmcnt(0)
	v_mul_f64 v[16:17], v[50:51], v[10:11]
	v_add_f64 v[46:47], v[18:19], v[54:55]
	v_fma_f64 v[16:17], v[48:49], v[8:9], -v[16:17]
	v_mul_f64 v[18:19], v[48:49], v[10:11]
	v_fmac_f64_e32 v[18:19], v[50:51], v[8:9]
	v_add_f64 v[38:39], v[38:39], v[16:17]
	v_mul_f64 v[16:17], v[34:35], v[6:7]
	v_mul_f64 v[6:7], v[32:33], v[6:7]
	v_add_f64 v[36:37], v[18:19], v[36:37]
	v_fma_f64 v[16:17], v[32:33], v[4:5], -v[16:17]
	v_fmac_f64_e32 v[6:7], v[34:35], v[4:5]
	v_mul_f64 v[4:5], v[34:35], v[10:11]
	v_mul_f64 v[18:19], v[32:33], v[10:11]
	v_add_f64 v[40:41], v[40:41], v[16:17]
	v_add_f64 v[42:43], v[6:7], v[42:43]
	v_fma_f64 v[16:17], v[32:33], v[8:9], -v[4:5]
	v_fmac_f64_e32 v[18:19], v[34:35], v[8:9]
	ds_read_b128 v[4:7], v27 offset:64
	ds_read_b128 v[8:11], v26 offset:2048
	v_add_f64 v[12:13], v[12:13], v[56:57]
	v_add_f64 v[48:49], v[14:15], v[16:17]
	;; [unrolled: 1-line block ×3, first 2 shown]
	ds_read_b128 v[12:15], v26 offset:2304
	ds_read_b128 v[16:19], v27 offset:80
	s_waitcnt lgkmcnt(2)
	v_mul_f64 v[32:33], v[6:7], v[10:11]
	v_fma_f64 v[32:33], v[4:5], v[8:9], -v[32:33]
	v_mul_f64 v[34:35], v[4:5], v[10:11]
	v_fmac_f64_e32 v[34:35], v[6:7], v[8:9]
	v_add_f64 v[44:45], v[44:45], v[32:33]
	s_waitcnt lgkmcnt(1)
	v_mul_f64 v[32:33], v[6:7], v[14:15]
	v_add_f64 v[46:47], v[34:35], v[46:47]
	v_fma_f64 v[52:53], v[4:5], v[12:13], -v[32:33]
	ds_read_b128 v[32:35], v27 offset:2112
	v_mul_f64 v[4:5], v[4:5], v[14:15]
	v_fmac_f64_e32 v[4:5], v[6:7], v[12:13]
	v_add_f64 v[38:39], v[38:39], v[52:53]
	v_add_f64 v[36:37], v[4:5], v[36:37]
	ds_read_b128 v[4:7], v27 offset:2128
	s_waitcnt lgkmcnt(1)
	v_mul_f64 v[52:53], v[34:35], v[10:11]
	v_mul_f64 v[10:11], v[32:33], v[10:11]
	v_fma_f64 v[52:53], v[32:33], v[8:9], -v[52:53]
	v_fmac_f64_e32 v[10:11], v[34:35], v[8:9]
	v_mul_f64 v[8:9], v[34:35], v[14:15]
	v_add_f64 v[40:41], v[40:41], v[52:53]
	v_add_f64 v[42:43], v[10:11], v[42:43]
	v_fma_f64 v[52:53], v[32:33], v[12:13], -v[8:9]
	v_mul_f64 v[14:15], v[32:33], v[14:15]
	ds_read_b128 v[8:11], v26 offset:2560
	v_fmac_f64_e32 v[14:15], v[34:35], v[12:13]
	v_add_f64 v[34:35], v[14:15], v[50:51]
	ds_read_b128 v[12:15], v26 offset:2816
	v_add_f64 v[32:33], v[48:49], v[52:53]
	s_waitcnt lgkmcnt(1)
	v_mul_f64 v[48:49], v[18:19], v[10:11]
	v_fma_f64 v[48:49], v[16:17], v[8:9], -v[48:49]
	v_add_f64 v[44:45], v[44:45], v[48:49]
	s_waitcnt lgkmcnt(0)
	v_mul_f64 v[48:49], v[18:19], v[14:15]
	v_mul_f64 v[50:51], v[16:17], v[10:11]
	v_fma_f64 v[48:49], v[16:17], v[12:13], -v[48:49]
	v_mul_f64 v[16:17], v[16:17], v[14:15]
	v_fmac_f64_e32 v[16:17], v[18:19], v[12:13]
	v_add_f64 v[36:37], v[16:17], v[36:37]
	v_mul_f64 v[16:17], v[6:7], v[10:11]
	v_mul_f64 v[10:11], v[4:5], v[10:11]
	v_fmac_f64_e32 v[50:51], v[18:19], v[8:9]
	v_fma_f64 v[16:17], v[4:5], v[8:9], -v[16:17]
	v_fmac_f64_e32 v[10:11], v[6:7], v[8:9]
	v_mul_f64 v[8:9], v[6:7], v[14:15]
	v_mul_f64 v[14:15], v[4:5], v[14:15]
	v_add_f64 v[40:41], v[40:41], v[16:17]
	v_add_f64 v[42:43], v[10:11], v[42:43]
	v_fma_f64 v[16:17], v[4:5], v[12:13], -v[8:9]
	v_fmac_f64_e32 v[14:15], v[6:7], v[12:13]
	ds_read_b128 v[4:7], v27 offset:96
	ds_read_b128 v[8:11], v26 offset:3072
	v_add_f64 v[46:47], v[50:51], v[46:47]
	v_add_f64 v[38:39], v[38:39], v[48:49]
	;; [unrolled: 1-line block ×4, first 2 shown]
	ds_read_b128 v[12:15], v26 offset:3328
	ds_read_b128 v[32:35], v27 offset:112
	s_waitcnt lgkmcnt(2)
	v_mul_f64 v[16:17], v[6:7], v[10:11]
	v_fma_f64 v[16:17], v[4:5], v[8:9], -v[16:17]
	v_mul_f64 v[18:19], v[4:5], v[10:11]
	v_fmac_f64_e32 v[18:19], v[6:7], v[8:9]
	v_add_f64 v[44:45], v[44:45], v[16:17]
	s_waitcnt lgkmcnt(1)
	v_mul_f64 v[16:17], v[6:7], v[14:15]
	v_add_f64 v[46:47], v[18:19], v[46:47]
	v_fma_f64 v[52:53], v[4:5], v[12:13], -v[16:17]
	ds_read_b128 v[16:19], v27 offset:2144
	v_mul_f64 v[4:5], v[4:5], v[14:15]
	v_fmac_f64_e32 v[4:5], v[6:7], v[12:13]
	v_add_f64 v[54:55], v[4:5], v[36:37]
	ds_read_b128 v[4:7], v27 offset:2160
	s_waitcnt lgkmcnt(1)
	v_mul_f64 v[36:37], v[18:19], v[10:11]
	v_mul_f64 v[10:11], v[16:17], v[10:11]
	v_fma_f64 v[36:37], v[16:17], v[8:9], -v[36:37]
	v_fmac_f64_e32 v[10:11], v[18:19], v[8:9]
	v_mul_f64 v[8:9], v[18:19], v[14:15]
	v_add_f64 v[40:41], v[40:41], v[36:37]
	v_add_f64 v[42:43], v[10:11], v[42:43]
	v_fma_f64 v[36:37], v[16:17], v[12:13], -v[8:9]
	ds_read_b128 v[8:11], v26 offset:3584
	v_add_f64 v[52:53], v[38:39], v[52:53]
	v_add_f64 v[48:49], v[48:49], v[36:37]
	ds_read_b128 v[36:39], v26 offset:3840
	v_mul_f64 v[14:15], v[16:17], v[14:15]
	v_fmac_f64_e32 v[14:15], v[18:19], v[12:13]
	s_waitcnt lgkmcnt(1)
	v_mul_f64 v[12:13], v[34:35], v[10:11]
	v_add_f64 v[50:51], v[14:15], v[50:51]
	v_fma_f64 v[12:13], v[32:33], v[8:9], -v[12:13]
	v_mul_f64 v[14:15], v[32:33], v[10:11]
	v_fmac_f64_e32 v[14:15], v[34:35], v[8:9]
	v_add_f64 v[16:17], v[44:45], v[12:13]
	s_waitcnt lgkmcnt(0)
	v_mul_f64 v[12:13], v[34:35], v[38:39]
	v_add_f64 v[18:19], v[14:15], v[46:47]
	v_fma_f64 v[12:13], v[32:33], v[36:37], -v[12:13]
	v_mul_f64 v[14:15], v[32:33], v[38:39]
	v_mul_f64 v[32:33], v[6:7], v[10:11]
	v_fma_f64 v[32:33], v[4:5], v[8:9], -v[32:33]
	v_mul_f64 v[10:11], v[4:5], v[10:11]
	v_fmac_f64_e32 v[10:11], v[6:7], v[8:9]
	v_add_f64 v[8:9], v[40:41], v[32:33]
	v_mul_f64 v[32:33], v[6:7], v[38:39]
	v_fma_f64 v[32:33], v[4:5], v[36:37], -v[32:33]
	v_mul_f64 v[4:5], v[4:5], v[38:39]
	v_fmac_f64_e32 v[14:15], v[34:35], v[36:37]
	v_fmac_f64_e32 v[4:5], v[6:7], v[36:37]
	s_add_i32 s5, s5, 8
	v_add_f64 v[12:13], v[52:53], v[12:13]
	v_add_f64 v[14:15], v[14:15], v[54:55]
	;; [unrolled: 1-line block ×5, first 2 shown]
	v_lshl_add_u64 v[0:1], v[0:1], 0, s[22:23]
	s_cmp_lt_i32 s5, s7
	v_lshl_add_u64 v[2:3], v[2:3], 0, s[8:9]
	s_barrier
	s_cbranch_scc0 .LBB424_16
.LBB424_8:                              ; =>This Inner Loop Header: Depth=1
	v_add_u32_e32 v32, s5, v23
	v_cmp_le_i32_e32 vcc, s7, v32
	s_or_b64 s[26:27], s[24:25], vcc
	s_and_saveexec_b64 s[30:31], s[26:27]
	s_xor_b64 s[26:27], exec, s[30:31]
; %bb.9:                                ;   in Loop: Header=BB424_8 Depth=1
	ds_write_b128 v24, v[28:31]
; %bb.10:                               ;   in Loop: Header=BB424_8 Depth=1
	s_andn2_saveexec_b64 s[26:27], s[26:27]
	s_cbranch_execz .LBB424_12
; %bb.11:                               ;   in Loop: Header=BB424_8 Depth=1
	flat_load_dwordx4 v[32:35], v[0:1]
	s_waitcnt vmcnt(0) lgkmcnt(0)
	ds_write2_b64 v24, v[32:33], v[34:35] offset1:1
.LBB424_12:                             ;   in Loop: Header=BB424_8 Depth=1
	s_or_b64 exec, exec, s[26:27]
	v_add_u32_e32 v32, s5, v22
	v_cmp_le_i32_e32 vcc, s7, v32
	s_or_b64 s[26:27], vcc, s[2:3]
	s_and_saveexec_b64 s[30:31], s[26:27]
	s_xor_b64 s[26:27], exec, s[30:31]
; %bb.13:                               ;   in Loop: Header=BB424_8 Depth=1
	ds_write_b128 v25, v[28:31]
; %bb.14:                               ;   in Loop: Header=BB424_8 Depth=1
	s_andn2_saveexec_b64 s[26:27], s[26:27]
	s_cbranch_execz .LBB424_7
; %bb.15:                               ;   in Loop: Header=BB424_8 Depth=1
	flat_load_dwordx4 v[32:35], v[2:3]
	s_waitcnt vmcnt(0) lgkmcnt(0)
	ds_write2_b64 v25, v[32:33], v[34:35] offset1:1
	s_branch .LBB424_7
.LBB424_16:
	s_load_dwordx2 s[2:3], s[0:1], 0x68
	s_load_dword s22, s[0:1], 0x60
	v_add_u32_e32 v20, s4, v20
	v_add_u32_e32 v24, s28, v21
	v_cmp_neq_f64_e64 s[0:1], s[10:11], 0
	s_waitcnt lgkmcnt(0)
	s_lshl_b64 s[2:3], s[2:3], 4
	s_add_u32 s8, s14, s2
	s_addc_u32 s9, s15, s3
	s_xor_b64 s[4:5], s[20:21], -1
	v_mad_i64_i32 v[0:1], s[2:3], v24, s22, 0
	s_or_b64 s[0:1], s[0:1], s[4:5]
	v_lshl_add_u64 v[22:23], v[0:1], 4, s[8:9]
	v_cmp_le_i32_e32 vcc, v24, v20
	v_cmp_gt_i32_e64 s[2:3], s6, v20
	v_cndmask_b32_e64 v0, 0, 1, s[0:1]
	s_and_b64 s[14:15], vcc, s[2:3]
	v_ashrrev_i32_e32 v21, 31, v20
	v_cmp_ne_u32_e64 s[0:1], 1, v0
	s_and_saveexec_b64 s[4:5], s[14:15]
	s_cbranch_execz .LBB424_20
; %bb.17:
	v_mul_f64 v[0:1], s[18:19], v[18:19]
	v_mul_f64 v[2:3], s[16:17], v[18:19]
	v_fma_f64 v[0:1], s[16:17], v[16:17], -v[0:1]
	v_fmac_f64_e32 v[2:3], s[18:19], v[16:17]
	s_and_b64 vcc, exec, s[0:1]
	v_lshl_add_u64 v[16:17], v[20:21], 4, v[22:23]
	s_cbranch_vccnz .LBB424_19
; %bb.18:
	flat_load_dwordx4 v[26:29], v[16:17]
	s_waitcnt vmcnt(0) lgkmcnt(0)
	v_mul_f64 v[18:19], s[12:13], v[28:29]
	v_mul_f64 v[28:29], s[10:11], v[28:29]
	v_fma_f64 v[18:19], s[10:11], v[26:27], -v[18:19]
	v_fmac_f64_e32 v[28:29], s[12:13], v[26:27]
	v_add_f64 v[0:1], v[0:1], v[18:19]
	v_add_f64 v[2:3], v[2:3], v[28:29]
.LBB424_19:
	flat_store_dwordx4 v[16:17], v[0:3]
.LBB424_20:
	s_or_b64 exec, exec, s[4:5]
	v_add_u32_e32 v16, 16, v20
	v_cmp_le_i32_e32 vcc, v24, v16
	v_cmp_gt_i32_e64 s[4:5], s6, v16
	s_and_b64 s[14:15], vcc, s[4:5]
	v_ashrrev_i32_e32 v17, 31, v16
	s_and_saveexec_b64 s[6:7], s[14:15]
	s_cbranch_execz .LBB424_24
; %bb.21:
	v_mul_f64 v[0:1], s[18:19], v[14:15]
	v_mul_f64 v[2:3], s[16:17], v[14:15]
	v_fma_f64 v[0:1], s[16:17], v[12:13], -v[0:1]
	v_fmac_f64_e32 v[2:3], s[18:19], v[12:13]
	s_and_b64 vcc, exec, s[0:1]
	v_lshl_add_u64 v[12:13], v[16:17], 4, v[22:23]
	s_cbranch_vccnz .LBB424_23
; %bb.22:
	flat_load_dwordx4 v[26:29], v[12:13]
	s_waitcnt vmcnt(0) lgkmcnt(0)
	v_mul_f64 v[14:15], s[12:13], v[28:29]
	v_mul_f64 v[18:19], s[10:11], v[28:29]
	v_fma_f64 v[14:15], s[10:11], v[26:27], -v[14:15]
	v_fmac_f64_e32 v[18:19], s[12:13], v[26:27]
	v_add_f64 v[0:1], v[0:1], v[14:15]
	v_add_f64 v[2:3], v[2:3], v[18:19]
.LBB424_23:
	flat_store_dwordx4 v[12:13], v[0:3]
.LBB424_24:
	s_or_b64 exec, exec, s[6:7]
	v_add_u32_e32 v14, 16, v24
	v_mad_i64_i32 v[0:1], s[6:7], v14, s22, 0
	v_cmp_le_i32_e32 vcc, v14, v20
	v_lshl_add_u64 v[12:13], v[0:1], 4, s[8:9]
	s_and_b64 s[6:7], vcc, s[2:3]
	s_and_saveexec_b64 s[2:3], s[6:7]
	s_cbranch_execz .LBB424_28
; %bb.25:
	v_mul_f64 v[0:1], s[18:19], v[10:11]
	v_mul_f64 v[2:3], s[16:17], v[10:11]
	v_fma_f64 v[0:1], s[16:17], v[8:9], -v[0:1]
	v_fmac_f64_e32 v[2:3], s[18:19], v[8:9]
	s_and_b64 vcc, exec, s[0:1]
	v_lshl_add_u64 v[8:9], v[20:21], 4, v[12:13]
	s_cbranch_vccnz .LBB424_27
; %bb.26:
	flat_load_dwordx4 v[18:21], v[8:9]
	s_waitcnt vmcnt(0) lgkmcnt(0)
	v_mul_f64 v[10:11], s[12:13], v[20:21]
	v_mul_f64 v[20:21], s[10:11], v[20:21]
	v_fma_f64 v[10:11], s[10:11], v[18:19], -v[10:11]
	v_fmac_f64_e32 v[20:21], s[12:13], v[18:19]
	v_add_f64 v[0:1], v[0:1], v[10:11]
	v_add_f64 v[2:3], v[2:3], v[20:21]
.LBB424_27:
	flat_store_dwordx4 v[8:9], v[0:3]
.LBB424_28:
	s_or_b64 exec, exec, s[2:3]
	v_cmp_le_i32_e32 vcc, v14, v16
	s_and_b64 s[2:3], vcc, s[4:5]
	s_and_saveexec_b64 s[4:5], s[2:3]
	s_cbranch_execz .LBB424_32
; %bb.29:
	v_mul_f64 v[0:1], s[18:19], v[4:5]
	v_mul_f64 v[2:3], s[16:17], v[4:5]
	v_fma_f64 v[0:1], s[16:17], v[6:7], -v[0:1]
	v_fmac_f64_e32 v[2:3], s[18:19], v[6:7]
	s_and_b64 vcc, exec, s[0:1]
	v_lshl_add_u64 v[4:5], v[16:17], 4, v[12:13]
	s_cbranch_vccnz .LBB424_31
; %bb.30:
	flat_load_dwordx4 v[6:9], v[4:5]
	s_waitcnt vmcnt(0) lgkmcnt(0)
	v_mul_f64 v[10:11], s[12:13], v[8:9]
	v_mul_f64 v[8:9], s[10:11], v[8:9]
	v_fma_f64 v[10:11], s[10:11], v[6:7], -v[10:11]
	v_fmac_f64_e32 v[8:9], s[12:13], v[6:7]
	v_add_f64 v[0:1], v[0:1], v[10:11]
	v_add_f64 v[2:3], v[2:3], v[8:9]
.LBB424_31:
	flat_store_dwordx4 v[4:5], v[0:3]
.LBB424_32:
	s_endpgm
	.section	.rodata,"a",@progbits
	.p2align	6, 0x0
	.amdhsa_kernel _ZL29rocblas_internal_gemmt_kernelIiLi16ELi32ELi8ELc78ELc84ELc76ELb0ELb0E19rocblas_complex_numIdES1_PKPKS1_PKPS1_EviT_T9_T10_S9_lSB_S9_lSA_T11_S9_li
		.amdhsa_group_segment_fixed_size 8192
		.amdhsa_private_segment_fixed_size 0
		.amdhsa_kernarg_size 116
		.amdhsa_user_sgpr_count 2
		.amdhsa_user_sgpr_dispatch_ptr 0
		.amdhsa_user_sgpr_queue_ptr 0
		.amdhsa_user_sgpr_kernarg_segment_ptr 1
		.amdhsa_user_sgpr_dispatch_id 0
		.amdhsa_user_sgpr_kernarg_preload_length 0
		.amdhsa_user_sgpr_kernarg_preload_offset 0
		.amdhsa_user_sgpr_private_segment_size 0
		.amdhsa_uses_dynamic_stack 0
		.amdhsa_enable_private_segment 0
		.amdhsa_system_sgpr_workgroup_id_x 1
		.amdhsa_system_sgpr_workgroup_id_y 1
		.amdhsa_system_sgpr_workgroup_id_z 1
		.amdhsa_system_sgpr_workgroup_info 0
		.amdhsa_system_vgpr_workitem_id 1
		.amdhsa_next_free_vgpr 62
		.amdhsa_next_free_sgpr 38
		.amdhsa_accum_offset 64
		.amdhsa_reserve_vcc 1
		.amdhsa_float_round_mode_32 0
		.amdhsa_float_round_mode_16_64 0
		.amdhsa_float_denorm_mode_32 3
		.amdhsa_float_denorm_mode_16_64 3
		.amdhsa_dx10_clamp 1
		.amdhsa_ieee_mode 1
		.amdhsa_fp16_overflow 0
		.amdhsa_tg_split 0
		.amdhsa_exception_fp_ieee_invalid_op 0
		.amdhsa_exception_fp_denorm_src 0
		.amdhsa_exception_fp_ieee_div_zero 0
		.amdhsa_exception_fp_ieee_overflow 0
		.amdhsa_exception_fp_ieee_underflow 0
		.amdhsa_exception_fp_ieee_inexact 0
		.amdhsa_exception_int_div_zero 0
	.end_amdhsa_kernel
	.section	.text._ZL29rocblas_internal_gemmt_kernelIiLi16ELi32ELi8ELc78ELc84ELc76ELb0ELb0E19rocblas_complex_numIdES1_PKPKS1_PKPS1_EviT_T9_T10_S9_lSB_S9_lSA_T11_S9_li,"axG",@progbits,_ZL29rocblas_internal_gemmt_kernelIiLi16ELi32ELi8ELc78ELc84ELc76ELb0ELb0E19rocblas_complex_numIdES1_PKPKS1_PKPS1_EviT_T9_T10_S9_lSB_S9_lSA_T11_S9_li,comdat
.Lfunc_end424:
	.size	_ZL29rocblas_internal_gemmt_kernelIiLi16ELi32ELi8ELc78ELc84ELc76ELb0ELb0E19rocblas_complex_numIdES1_PKPKS1_PKPS1_EviT_T9_T10_S9_lSB_S9_lSA_T11_S9_li, .Lfunc_end424-_ZL29rocblas_internal_gemmt_kernelIiLi16ELi32ELi8ELc78ELc84ELc76ELb0ELb0E19rocblas_complex_numIdES1_PKPKS1_PKPS1_EviT_T9_T10_S9_lSB_S9_lSA_T11_S9_li
                                        ; -- End function
	.set _ZL29rocblas_internal_gemmt_kernelIiLi16ELi32ELi8ELc78ELc84ELc76ELb0ELb0E19rocblas_complex_numIdES1_PKPKS1_PKPS1_EviT_T9_T10_S9_lSB_S9_lSA_T11_S9_li.num_vgpr, 62
	.set _ZL29rocblas_internal_gemmt_kernelIiLi16ELi32ELi8ELc78ELc84ELc76ELb0ELb0E19rocblas_complex_numIdES1_PKPKS1_PKPS1_EviT_T9_T10_S9_lSB_S9_lSA_T11_S9_li.num_agpr, 0
	.set _ZL29rocblas_internal_gemmt_kernelIiLi16ELi32ELi8ELc78ELc84ELc76ELb0ELb0E19rocblas_complex_numIdES1_PKPKS1_PKPS1_EviT_T9_T10_S9_lSB_S9_lSA_T11_S9_li.numbered_sgpr, 38
	.set _ZL29rocblas_internal_gemmt_kernelIiLi16ELi32ELi8ELc78ELc84ELc76ELb0ELb0E19rocblas_complex_numIdES1_PKPKS1_PKPS1_EviT_T9_T10_S9_lSB_S9_lSA_T11_S9_li.num_named_barrier, 0
	.set _ZL29rocblas_internal_gemmt_kernelIiLi16ELi32ELi8ELc78ELc84ELc76ELb0ELb0E19rocblas_complex_numIdES1_PKPKS1_PKPS1_EviT_T9_T10_S9_lSB_S9_lSA_T11_S9_li.private_seg_size, 0
	.set _ZL29rocblas_internal_gemmt_kernelIiLi16ELi32ELi8ELc78ELc84ELc76ELb0ELb0E19rocblas_complex_numIdES1_PKPKS1_PKPS1_EviT_T9_T10_S9_lSB_S9_lSA_T11_S9_li.uses_vcc, 1
	.set _ZL29rocblas_internal_gemmt_kernelIiLi16ELi32ELi8ELc78ELc84ELc76ELb0ELb0E19rocblas_complex_numIdES1_PKPKS1_PKPS1_EviT_T9_T10_S9_lSB_S9_lSA_T11_S9_li.uses_flat_scratch, 0
	.set _ZL29rocblas_internal_gemmt_kernelIiLi16ELi32ELi8ELc78ELc84ELc76ELb0ELb0E19rocblas_complex_numIdES1_PKPKS1_PKPS1_EviT_T9_T10_S9_lSB_S9_lSA_T11_S9_li.has_dyn_sized_stack, 0
	.set _ZL29rocblas_internal_gemmt_kernelIiLi16ELi32ELi8ELc78ELc84ELc76ELb0ELb0E19rocblas_complex_numIdES1_PKPKS1_PKPS1_EviT_T9_T10_S9_lSB_S9_lSA_T11_S9_li.has_recursion, 0
	.set _ZL29rocblas_internal_gemmt_kernelIiLi16ELi32ELi8ELc78ELc84ELc76ELb0ELb0E19rocblas_complex_numIdES1_PKPKS1_PKPS1_EviT_T9_T10_S9_lSB_S9_lSA_T11_S9_li.has_indirect_call, 0
	.section	.AMDGPU.csdata,"",@progbits
; Kernel info:
; codeLenInByte = 3108
; TotalNumSgprs: 44
; NumVgprs: 62
; NumAgprs: 0
; TotalNumVgprs: 62
; ScratchSize: 0
; MemoryBound: 0
; FloatMode: 240
; IeeeMode: 1
; LDSByteSize: 8192 bytes/workgroup (compile time only)
; SGPRBlocks: 5
; VGPRBlocks: 7
; NumSGPRsForWavesPerEU: 44
; NumVGPRsForWavesPerEU: 62
; AccumOffset: 64
; Occupancy: 8
; WaveLimiterHint : 1
; COMPUTE_PGM_RSRC2:SCRATCH_EN: 0
; COMPUTE_PGM_RSRC2:USER_SGPR: 2
; COMPUTE_PGM_RSRC2:TRAP_HANDLER: 0
; COMPUTE_PGM_RSRC2:TGID_X_EN: 1
; COMPUTE_PGM_RSRC2:TGID_Y_EN: 1
; COMPUTE_PGM_RSRC2:TGID_Z_EN: 1
; COMPUTE_PGM_RSRC2:TIDIG_COMP_CNT: 1
; COMPUTE_PGM_RSRC3_GFX90A:ACCUM_OFFSET: 15
; COMPUTE_PGM_RSRC3_GFX90A:TG_SPLIT: 0
	.section	.text._ZL29rocblas_internal_gemmt_kernelIiLi16ELi32ELi8ELc78ELc67ELc76ELb0ELb1E19rocblas_complex_numIdES1_PKPKS1_PKPS1_EviT_T9_T10_S9_lSB_S9_lSA_T11_S9_li,"axG",@progbits,_ZL29rocblas_internal_gemmt_kernelIiLi16ELi32ELi8ELc78ELc67ELc76ELb0ELb1E19rocblas_complex_numIdES1_PKPKS1_PKPS1_EviT_T9_T10_S9_lSB_S9_lSA_T11_S9_li,comdat
	.globl	_ZL29rocblas_internal_gemmt_kernelIiLi16ELi32ELi8ELc78ELc67ELc76ELb0ELb1E19rocblas_complex_numIdES1_PKPKS1_PKPS1_EviT_T9_T10_S9_lSB_S9_lSA_T11_S9_li ; -- Begin function _ZL29rocblas_internal_gemmt_kernelIiLi16ELi32ELi8ELc78ELc67ELc76ELb0ELb1E19rocblas_complex_numIdES1_PKPKS1_PKPS1_EviT_T9_T10_S9_lSB_S9_lSA_T11_S9_li
	.p2align	8
	.type	_ZL29rocblas_internal_gemmt_kernelIiLi16ELi32ELi8ELc78ELc67ELc76ELb0ELb1E19rocblas_complex_numIdES1_PKPKS1_PKPS1_EviT_T9_T10_S9_lSB_S9_lSA_T11_S9_li,@function
_ZL29rocblas_internal_gemmt_kernelIiLi16ELi32ELi8ELc78ELc67ELc76ELb0ELb1E19rocblas_complex_numIdES1_PKPKS1_PKPS1_EviT_T9_T10_S9_lSB_S9_lSA_T11_S9_li: ; @_ZL29rocblas_internal_gemmt_kernelIiLi16ELi32ELi8ELc78ELc67ELc76ELb0ELb1E19rocblas_complex_numIdES1_PKPKS1_PKPS1_EviT_T9_T10_S9_lSB_S9_lSA_T11_S9_li
; %bb.0:
	s_load_dwordx8 s[8:15], s[0:1], 0x40
	s_load_dwordx2 s[6:7], s[0:1], 0x0
	s_load_dwordx4 s[16:19], s[0:1], 0x8
	s_mov_b64 s[22:23], 0
	s_waitcnt lgkmcnt(0)
	v_cmp_eq_f64_e64 s[24:25], s[10:11], 1.0
	v_cmp_eq_f64_e64 s[20:21], s[12:13], 0
	s_and_b64 s[24:25], s[24:25], s[20:21]
	s_andn2_b64 vcc, exec, s[24:25]
	s_mov_b64 s[24:25], -1
	s_cbranch_vccnz .LBB425_4
; %bb.1:
	s_cmp_lg_u32 s7, 0
	s_cbranch_scc0 .LBB425_3
; %bb.2:
	v_cmp_neq_f64_e64 s[22:23], s[16:17], 0
	v_cmp_neq_f64_e64 s[24:25], s[18:19], 0
	s_or_b64 s[22:23], s[22:23], s[24:25]
.LBB425_3:
	s_mov_b64 s[24:25], s[22:23]
.LBB425_4:
	s_and_b64 vcc, exec, s[24:25]
	s_cbranch_vccz .LBB425_30
; %bb.5:
	s_mov_b32 s5, 0
	s_lshl_b64 s[22:23], s[4:5], 3
	s_add_u32 s14, s14, s22
	s_addc_u32 s15, s15, s23
	s_lshl_b32 s4, s2, 5
	s_lshl_b32 s26, s3, 5
	v_cmp_eq_f64_e64 s[2:3], s[16:17], 0
	v_cmp_eq_f64_e64 s[24:25], s[18:19], 0
	s_load_dwordx2 s[14:15], s[14:15], 0x0
	s_and_b64 s[2:3], s[2:3], s[24:25]
	s_cmp_lt_i32 s7, 1
	s_cselect_b64 s[24:25], -1, 0
	s_or_b64 s[2:3], s[2:3], s[24:25]
	v_and_b32_e32 v24, 0x3ff, v0
	v_bfe_u32 v25, v0, 10, 10
	v_mov_b64_e32 v[20:21], 0
	s_and_b64 vcc, exec, s[2:3]
	v_mov_b64_e32 v[22:23], 0
	v_mov_b64_e32 v[16:17], 0
	;; [unrolled: 1-line block ×7, first 2 shown]
	s_cbranch_vccnz .LBB425_14
; %bb.6:
	s_load_dwordx2 s[2:3], s[0:1], 0x18
	s_load_dword s24, s[0:1], 0x20
	s_load_dwordx4 s[28:31], s[0:1], 0x28
	s_load_dword s34, s[0:1], 0x38
	v_lshl_add_u32 v1, v25, 4, v24
	v_and_b32_e32 v4, 31, v1
	s_waitcnt lgkmcnt(0)
	s_ashr_i32 s25, s24, 31
	v_lshrrev_b32_e32 v27, 5, v1
	s_ashr_i32 s35, s34, 31
	s_add_u32 s30, s30, s22
	s_addc_u32 s31, s31, s23
	s_add_u32 s2, s2, s22
	v_lshrrev_b32_e32 v2, 3, v1
	v_or_b32_e32 v1, s4, v4
	s_addc_u32 s3, s3, s23
	v_and_b32_e32 v26, 7, v24
	s_load_dwordx2 s[22:23], s[2:3], 0x0
	v_cmp_gt_i32_e64 s[2:3], s6, v1
	v_lshlrev_b32_e32 v1, 4, v4
	v_lshl_or_b32 v28, v27, 9, v1
	v_lshlrev_b32_e32 v1, 4, v26
	v_add_u32_e32 v0, s26, v2
	v_lshl_or_b32 v1, v2, 7, v1
	v_mov_b32_e32 v2, 0x1000
	v_lshl_add_u32 v31, v25, 7, v2
	v_mad_i64_i32 v[2:3], s[36:37], v27, s24, 0
	s_lshl_b64 s[28:29], s[28:29], 4
	v_add_u32_e32 v4, s4, v4
	s_load_dwordx2 s[30:31], s[30:31], 0x0
	v_lshl_add_u64 v[2:3], v[2:3], 4, s[28:29]
	v_ashrrev_i32_e32 v5, 31, v4
	v_lshl_add_u64 v[2:3], v[4:5], 4, v[2:3]
	s_waitcnt lgkmcnt(0)
	v_lshl_add_u64 v[4:5], s[22:23], 0, v[2:3]
	s_lshl_b64 s[22:23], s[24:25], 7
	v_mad_i64_i32 v[2:3], s[24:25], s34, v26, 0
	s_lshl_b64 s[8:9], s[8:9], 4
	v_add_u32_e32 v29, 0x1000, v1
	v_ashrrev_i32_e32 v1, 31, v0
	v_lshl_add_u64 v[2:3], v[2:3], 4, s[8:9]
	v_cmp_gt_i32_e32 vcc, s6, v0
	v_lshl_add_u64 v[0:1], v[0:1], 4, v[2:3]
	v_mov_b32_e32 v32, 0
	v_lshlrev_b32_e32 v30, 4, v24
	v_lshl_add_u64 v[6:7], s[30:31], 0, v[0:1]
	s_lshl_b64 s[8:9], s[34:35], 7
	v_mov_b64_e32 v[8:9], 0
	s_xor_b64 s[24:25], s[2:3], -1
	v_mov_b32_e32 v33, v32
	v_mov_b32_e32 v34, v32
	;; [unrolled: 1-line block ×3, first 2 shown]
	v_mov_b64_e32 v[10:11], 0
	v_mov_b64_e32 v[14:15], 0
	;; [unrolled: 1-line block ×7, first 2 shown]
	s_branch .LBB425_8
.LBB425_7:                              ;   in Loop: Header=BB425_8 Depth=1
	s_or_b64 exec, exec, s[2:3]
	ds_write_b128 v29, v[0:3]
	s_waitcnt lgkmcnt(0)
	s_barrier
	ds_read_b128 v[0:3], v30
	ds_read_b128 v[36:39], v31
	ds_read_b128 v[40:43], v31 offset:16
	ds_read_b128 v[44:47], v31 offset:32
	;; [unrolled: 1-line block ×4, first 2 shown]
	s_waitcnt lgkmcnt(4)
	v_mul_f64 v[56:57], v[38:39], v[2:3]
	v_fma_f64 v[56:57], v[36:37], v[0:1], -v[56:57]
	v_mul_f64 v[58:59], v[36:37], v[2:3]
	v_fmac_f64_e32 v[58:59], v[38:39], v[0:1]
	v_add_f64 v[56:57], v[20:21], v[56:57]
	s_waitcnt lgkmcnt(0)
	v_mul_f64 v[20:21], v[38:39], v[54:55]
	v_add_f64 v[58:59], v[58:59], v[22:23]
	v_fma_f64 v[60:61], v[36:37], v[52:53], -v[20:21]
	ds_read_b128 v[20:23], v31 offset:2048
	v_mul_f64 v[36:37], v[36:37], v[54:55]
	v_fmac_f64_e32 v[36:37], v[38:39], v[52:53]
	v_add_f64 v[38:39], v[16:17], v[60:61]
	v_add_f64 v[36:37], v[36:37], v[18:19]
	ds_read_b128 v[16:19], v31 offset:2064
	s_waitcnt lgkmcnt(1)
	v_mul_f64 v[60:61], v[22:23], v[2:3]
	v_mul_f64 v[2:3], v[20:21], v[2:3]
	v_fma_f64 v[60:61], v[20:21], v[0:1], -v[60:61]
	v_fmac_f64_e32 v[2:3], v[22:23], v[0:1]
	v_mul_f64 v[0:1], v[22:23], v[54:55]
	v_add_f64 v[12:13], v[12:13], v[60:61]
	v_add_f64 v[14:15], v[2:3], v[14:15]
	v_fma_f64 v[60:61], v[20:21], v[52:53], -v[0:1]
	v_mul_f64 v[20:21], v[20:21], v[54:55]
	ds_read_b128 v[0:3], v30 offset:512
	v_fmac_f64_e32 v[20:21], v[22:23], v[52:53]
	v_add_f64 v[22:23], v[10:11], v[60:61]
	v_add_f64 v[20:21], v[20:21], v[8:9]
	ds_read_b128 v[8:11], v30 offset:768
	s_waitcnt lgkmcnt(1)
	v_mul_f64 v[52:53], v[42:43], v[2:3]
	v_fma_f64 v[52:53], v[40:41], v[0:1], -v[52:53]
	v_add_f64 v[52:53], v[56:57], v[52:53]
	v_mul_f64 v[54:55], v[40:41], v[2:3]
	s_waitcnt lgkmcnt(0)
	v_mul_f64 v[56:57], v[42:43], v[10:11]
	v_fma_f64 v[56:57], v[40:41], v[8:9], -v[56:57]
	v_mul_f64 v[40:41], v[40:41], v[10:11]
	v_fmac_f64_e32 v[40:41], v[42:43], v[8:9]
	v_add_f64 v[36:37], v[40:41], v[36:37]
	v_mul_f64 v[40:41], v[18:19], v[2:3]
	v_mul_f64 v[2:3], v[16:17], v[2:3]
	v_fmac_f64_e32 v[54:55], v[42:43], v[0:1]
	v_fma_f64 v[40:41], v[16:17], v[0:1], -v[40:41]
	v_fmac_f64_e32 v[2:3], v[18:19], v[0:1]
	v_mul_f64 v[0:1], v[18:19], v[10:11]
	v_add_f64 v[40:41], v[12:13], v[40:41]
	v_add_f64 v[42:43], v[2:3], v[14:15]
	v_fma_f64 v[12:13], v[16:17], v[8:9], -v[0:1]
	v_mul_f64 v[10:11], v[16:17], v[10:11]
	ds_read_b128 v[0:3], v30 offset:1024
	v_fmac_f64_e32 v[10:11], v[18:19], v[8:9]
	v_add_f64 v[20:21], v[10:11], v[20:21]
	ds_read_b128 v[8:11], v30 offset:1280
	v_add_f64 v[22:23], v[22:23], v[12:13]
	s_waitcnt lgkmcnt(1)
	v_mul_f64 v[12:13], v[46:47], v[2:3]
	v_fma_f64 v[12:13], v[44:45], v[0:1], -v[12:13]
	v_mul_f64 v[14:15], v[44:45], v[2:3]
	v_add_f64 v[54:55], v[54:55], v[58:59]
	v_fmac_f64_e32 v[14:15], v[46:47], v[0:1]
	v_add_f64 v[52:53], v[52:53], v[12:13]
	s_waitcnt lgkmcnt(0)
	v_mul_f64 v[12:13], v[46:47], v[10:11]
	v_add_f64 v[54:55], v[14:15], v[54:55]
	v_fma_f64 v[16:17], v[44:45], v[8:9], -v[12:13]
	ds_read_b128 v[12:15], v31 offset:2080
	v_mul_f64 v[18:19], v[44:45], v[10:11]
	v_add_f64 v[38:39], v[38:39], v[56:57]
	v_fmac_f64_e32 v[18:19], v[46:47], v[8:9]
	v_add_f64 v[38:39], v[38:39], v[16:17]
	v_add_f64 v[36:37], v[18:19], v[36:37]
	ds_read_b128 v[16:19], v31 offset:2096
	s_waitcnt lgkmcnt(1)
	v_mul_f64 v[44:45], v[14:15], v[2:3]
	v_mul_f64 v[2:3], v[12:13], v[2:3]
	v_fma_f64 v[44:45], v[12:13], v[0:1], -v[44:45]
	v_fmac_f64_e32 v[2:3], v[14:15], v[0:1]
	v_mul_f64 v[0:1], v[14:15], v[10:11]
	v_mul_f64 v[10:11], v[12:13], v[10:11]
	v_fmac_f64_e32 v[10:11], v[14:15], v[8:9]
	v_add_f64 v[40:41], v[40:41], v[44:45]
	v_add_f64 v[42:43], v[2:3], v[42:43]
	v_fma_f64 v[44:45], v[12:13], v[8:9], -v[0:1]
	ds_read_b128 v[0:3], v30 offset:1536
	v_add_f64 v[14:15], v[10:11], v[20:21]
	ds_read_b128 v[8:11], v30 offset:1792
	v_add_f64 v[12:13], v[22:23], v[44:45]
	s_add_i32 s5, s5, 8
	s_waitcnt lgkmcnt(1)
	v_mul_f64 v[20:21], v[50:51], v[2:3]
	v_mul_f64 v[22:23], v[48:49], v[2:3]
	s_waitcnt lgkmcnt(0)
	v_mul_f64 v[44:45], v[50:51], v[10:11]
	v_fma_f64 v[44:45], v[48:49], v[8:9], -v[44:45]
	v_add_f64 v[38:39], v[38:39], v[44:45]
	v_mul_f64 v[44:45], v[18:19], v[2:3]
	v_mul_f64 v[2:3], v[16:17], v[2:3]
	v_fma_f64 v[20:21], v[48:49], v[0:1], -v[20:21]
	v_fmac_f64_e32 v[22:23], v[50:51], v[0:1]
	v_fma_f64 v[44:45], v[16:17], v[0:1], -v[44:45]
	v_fmac_f64_e32 v[2:3], v[18:19], v[0:1]
	v_mul_f64 v[0:1], v[18:19], v[10:11]
	v_mul_f64 v[46:47], v[48:49], v[10:11]
	v_add_f64 v[40:41], v[40:41], v[44:45]
	v_fma_f64 v[44:45], v[16:17], v[8:9], -v[0:1]
	v_mul_f64 v[16:17], v[16:17], v[10:11]
	v_fmac_f64_e32 v[46:47], v[50:51], v[8:9]
	v_add_f64 v[42:43], v[2:3], v[42:43]
	v_fmac_f64_e32 v[16:17], v[18:19], v[8:9]
	ds_read_b128 v[0:3], v31 offset:64
	ds_read_b128 v[8:11], v30 offset:2048
	v_add_f64 v[36:37], v[46:47], v[36:37]
	v_add_f64 v[44:45], v[12:13], v[44:45]
	;; [unrolled: 1-line block ×3, first 2 shown]
	ds_read_b128 v[12:15], v30 offset:2304
	ds_read_b128 v[16:19], v31 offset:80
	s_waitcnt lgkmcnt(2)
	v_mul_f64 v[48:49], v[2:3], v[10:11]
	v_add_f64 v[20:21], v[52:53], v[20:21]
	v_fma_f64 v[48:49], v[0:1], v[8:9], -v[48:49]
	v_mul_f64 v[50:51], v[0:1], v[10:11]
	v_add_f64 v[22:23], v[22:23], v[54:55]
	v_fmac_f64_e32 v[50:51], v[2:3], v[8:9]
	v_add_f64 v[48:49], v[20:21], v[48:49]
	s_waitcnt lgkmcnt(1)
	v_mul_f64 v[20:21], v[2:3], v[14:15]
	v_add_f64 v[50:51], v[50:51], v[22:23]
	v_fma_f64 v[52:53], v[0:1], v[12:13], -v[20:21]
	ds_read_b128 v[20:23], v31 offset:2112
	v_mul_f64 v[0:1], v[0:1], v[14:15]
	v_fmac_f64_e32 v[0:1], v[2:3], v[12:13]
	v_add_f64 v[38:39], v[38:39], v[52:53]
	v_add_f64 v[36:37], v[0:1], v[36:37]
	ds_read_b128 v[0:3], v31 offset:2128
	s_waitcnt lgkmcnt(1)
	v_mul_f64 v[52:53], v[22:23], v[10:11]
	v_mul_f64 v[10:11], v[20:21], v[10:11]
	v_fma_f64 v[52:53], v[20:21], v[8:9], -v[52:53]
	v_fmac_f64_e32 v[10:11], v[22:23], v[8:9]
	v_mul_f64 v[8:9], v[22:23], v[14:15]
	v_add_f64 v[40:41], v[40:41], v[52:53]
	v_add_f64 v[42:43], v[10:11], v[42:43]
	v_fma_f64 v[52:53], v[20:21], v[12:13], -v[8:9]
	v_mul_f64 v[14:15], v[20:21], v[14:15]
	ds_read_b128 v[8:11], v30 offset:2560
	v_fmac_f64_e32 v[14:15], v[22:23], v[12:13]
	v_add_f64 v[22:23], v[14:15], v[46:47]
	ds_read_b128 v[12:15], v30 offset:2816
	v_add_f64 v[20:21], v[44:45], v[52:53]
	s_waitcnt lgkmcnt(1)
	v_mul_f64 v[44:45], v[18:19], v[10:11]
	v_fma_f64 v[44:45], v[16:17], v[8:9], -v[44:45]
	v_add_f64 v[44:45], v[48:49], v[44:45]
	s_waitcnt lgkmcnt(0)
	v_mul_f64 v[48:49], v[18:19], v[14:15]
	v_mul_f64 v[46:47], v[16:17], v[10:11]
	v_fma_f64 v[48:49], v[16:17], v[12:13], -v[48:49]
	v_mul_f64 v[16:17], v[16:17], v[14:15]
	v_fmac_f64_e32 v[16:17], v[18:19], v[12:13]
	v_add_f64 v[36:37], v[16:17], v[36:37]
	v_mul_f64 v[16:17], v[2:3], v[10:11]
	v_mul_f64 v[10:11], v[0:1], v[10:11]
	v_fmac_f64_e32 v[46:47], v[18:19], v[8:9]
	v_fma_f64 v[16:17], v[0:1], v[8:9], -v[16:17]
	v_fmac_f64_e32 v[10:11], v[2:3], v[8:9]
	v_mul_f64 v[8:9], v[2:3], v[14:15]
	v_mul_f64 v[14:15], v[0:1], v[14:15]
	v_add_f64 v[40:41], v[40:41], v[16:17]
	v_add_f64 v[42:43], v[10:11], v[42:43]
	v_fma_f64 v[16:17], v[0:1], v[12:13], -v[8:9]
	v_fmac_f64_e32 v[14:15], v[2:3], v[12:13]
	ds_read_b128 v[0:3], v31 offset:96
	ds_read_b128 v[8:11], v30 offset:3072
	v_add_f64 v[46:47], v[46:47], v[50:51]
	v_add_f64 v[38:39], v[38:39], v[48:49]
	;; [unrolled: 1-line block ×4, first 2 shown]
	ds_read_b128 v[12:15], v30 offset:3328
	ds_read_b128 v[16:19], v31 offset:112
	s_waitcnt lgkmcnt(2)
	v_mul_f64 v[20:21], v[2:3], v[10:11]
	v_fma_f64 v[20:21], v[0:1], v[8:9], -v[20:21]
	v_mul_f64 v[22:23], v[0:1], v[10:11]
	v_fmac_f64_e32 v[22:23], v[2:3], v[8:9]
	v_add_f64 v[44:45], v[44:45], v[20:21]
	s_waitcnt lgkmcnt(1)
	v_mul_f64 v[20:21], v[2:3], v[14:15]
	v_add_f64 v[46:47], v[22:23], v[46:47]
	v_fma_f64 v[52:53], v[0:1], v[12:13], -v[20:21]
	ds_read_b128 v[20:23], v31 offset:2144
	v_mul_f64 v[0:1], v[0:1], v[14:15]
	v_fmac_f64_e32 v[0:1], v[2:3], v[12:13]
	v_add_f64 v[54:55], v[0:1], v[36:37]
	ds_read_b128 v[0:3], v31 offset:2160
	s_waitcnt lgkmcnt(1)
	v_mul_f64 v[36:37], v[22:23], v[10:11]
	v_mul_f64 v[10:11], v[20:21], v[10:11]
	v_fma_f64 v[36:37], v[20:21], v[8:9], -v[36:37]
	v_fmac_f64_e32 v[10:11], v[22:23], v[8:9]
	v_mul_f64 v[8:9], v[22:23], v[14:15]
	v_add_f64 v[40:41], v[40:41], v[36:37]
	v_add_f64 v[42:43], v[10:11], v[42:43]
	v_fma_f64 v[36:37], v[20:21], v[12:13], -v[8:9]
	ds_read_b128 v[8:11], v30 offset:3584
	v_add_f64 v[52:53], v[38:39], v[52:53]
	v_add_f64 v[48:49], v[48:49], v[36:37]
	ds_read_b128 v[36:39], v30 offset:3840
	v_mul_f64 v[14:15], v[20:21], v[14:15]
	v_fmac_f64_e32 v[14:15], v[22:23], v[12:13]
	s_waitcnt lgkmcnt(1)
	v_mul_f64 v[12:13], v[18:19], v[10:11]
	v_fma_f64 v[12:13], v[16:17], v[8:9], -v[12:13]
	v_add_f64 v[50:51], v[14:15], v[50:51]
	v_mul_f64 v[14:15], v[16:17], v[10:11]
	v_add_f64 v[20:21], v[44:45], v[12:13]
	s_waitcnt lgkmcnt(0)
	v_mul_f64 v[12:13], v[18:19], v[38:39]
	v_fmac_f64_e32 v[14:15], v[18:19], v[8:9]
	v_fma_f64 v[12:13], v[16:17], v[36:37], -v[12:13]
	v_add_f64 v[22:23], v[14:15], v[46:47]
	v_mul_f64 v[14:15], v[16:17], v[38:39]
	v_add_f64 v[16:17], v[52:53], v[12:13]
	v_mul_f64 v[12:13], v[2:3], v[10:11]
	v_mul_f64 v[10:11], v[0:1], v[10:11]
	v_fma_f64 v[12:13], v[0:1], v[8:9], -v[12:13]
	v_fmac_f64_e32 v[10:11], v[2:3], v[8:9]
	v_mul_f64 v[8:9], v[2:3], v[38:39]
	v_fma_f64 v[8:9], v[0:1], v[36:37], -v[8:9]
	v_mul_f64 v[0:1], v[0:1], v[38:39]
	v_fmac_f64_e32 v[14:15], v[18:19], v[36:37]
	v_fmac_f64_e32 v[0:1], v[2:3], v[36:37]
	v_add_f64 v[18:19], v[14:15], v[54:55]
	v_add_f64 v[12:13], v[40:41], v[12:13]
	;; [unrolled: 1-line block ×5, first 2 shown]
	v_lshl_add_u64 v[4:5], v[4:5], 0, s[22:23]
	s_cmp_lt_i32 s5, s7
	v_lshl_add_u64 v[6:7], v[6:7], 0, s[8:9]
	s_barrier
	s_cbranch_scc0 .LBB425_14
.LBB425_8:                              ; =>This Inner Loop Header: Depth=1
	v_add_u32_e32 v0, s5, v27
	v_cmp_le_i32_e64 s[2:3], s7, v0
	s_or_b64 s[2:3], s[24:25], s[2:3]
	s_and_saveexec_b64 s[28:29], s[2:3]
	s_xor_b64 s[2:3], exec, s[28:29]
; %bb.9:                                ;   in Loop: Header=BB425_8 Depth=1
	ds_write_b128 v28, v[32:35]
; %bb.10:                               ;   in Loop: Header=BB425_8 Depth=1
	s_andn2_saveexec_b64 s[2:3], s[2:3]
	s_cbranch_execz .LBB425_12
; %bb.11:                               ;   in Loop: Header=BB425_8 Depth=1
	flat_load_dwordx4 v[0:3], v[4:5]
	s_waitcnt vmcnt(0) lgkmcnt(0)
	ds_write2_b64 v28, v[0:1], v[2:3] offset1:1
.LBB425_12:                             ;   in Loop: Header=BB425_8 Depth=1
	s_or_b64 exec, exec, s[2:3]
	v_add_u32_e32 v0, s5, v26
	v_cmp_gt_i32_e64 s[2:3], s7, v0
	s_and_b64 s[28:29], s[2:3], vcc
	v_mov_b64_e32 v[0:1], 0
	v_mov_b64_e32 v[2:3], 0
	s_and_saveexec_b64 s[2:3], s[28:29]
	s_cbranch_execz .LBB425_7
; %bb.13:                               ;   in Loop: Header=BB425_8 Depth=1
	flat_load_dwordx4 v[0:3], v[6:7]
	s_waitcnt vmcnt(0) lgkmcnt(0)
	v_xor_b32_e32 v3, 0x80000000, v3
	s_branch .LBB425_7
.LBB425_14:
	s_load_dwordx2 s[2:3], s[0:1], 0x68
	s_load_dword s22, s[0:1], 0x60
	v_add_u32_e32 v4, s4, v24
	v_add_u32_e32 v26, s26, v25
	v_cmp_neq_f64_e64 s[0:1], s[10:11], 0
	s_waitcnt lgkmcnt(0)
	s_lshl_b64 s[2:3], s[2:3], 4
	s_add_u32 s8, s14, s2
	s_addc_u32 s9, s15, s3
	s_xor_b64 s[4:5], s[20:21], -1
	v_mad_i64_i32 v[0:1], s[2:3], v26, s22, 0
	s_or_b64 s[0:1], s[0:1], s[4:5]
	v_lshl_add_u64 v[24:25], v[0:1], 4, s[8:9]
	v_cmp_le_i32_e32 vcc, v26, v4
	v_cmp_gt_i32_e64 s[2:3], s6, v4
	v_cndmask_b32_e64 v0, 0, 1, s[0:1]
	s_and_b64 s[14:15], vcc, s[2:3]
	v_ashrrev_i32_e32 v5, 31, v4
	v_cmp_ne_u32_e64 s[0:1], 1, v0
	s_and_saveexec_b64 s[4:5], s[14:15]
	s_cbranch_execz .LBB425_18
; %bb.15:
	v_mul_f64 v[0:1], s[18:19], v[22:23]
	v_mul_f64 v[2:3], s[16:17], v[22:23]
	v_fma_f64 v[0:1], s[16:17], v[20:21], -v[0:1]
	v_fmac_f64_e32 v[2:3], s[18:19], v[20:21]
	s_and_b64 vcc, exec, s[0:1]
	v_lshl_add_u64 v[6:7], v[4:5], 4, v[24:25]
	s_cbranch_vccnz .LBB425_17
; %bb.16:
	flat_load_dwordx4 v[20:23], v[6:7]
	s_waitcnt vmcnt(0) lgkmcnt(0)
	v_mul_f64 v[28:29], s[12:13], v[22:23]
	v_mul_f64 v[22:23], s[10:11], v[22:23]
	v_fma_f64 v[28:29], s[10:11], v[20:21], -v[28:29]
	v_fmac_f64_e32 v[22:23], s[12:13], v[20:21]
	v_add_f64 v[0:1], v[0:1], v[28:29]
	v_add_f64 v[2:3], v[2:3], v[22:23]
.LBB425_17:
	flat_store_dwordx4 v[6:7], v[0:3]
.LBB425_18:
	s_or_b64 exec, exec, s[4:5]
	v_add_u32_e32 v6, 16, v4
	v_cmp_le_i32_e32 vcc, v26, v6
	v_cmp_gt_i32_e64 s[4:5], s6, v6
	s_and_b64 s[14:15], vcc, s[4:5]
	v_ashrrev_i32_e32 v7, 31, v6
	s_and_saveexec_b64 s[6:7], s[14:15]
	s_cbranch_execz .LBB425_22
; %bb.19:
	v_mul_f64 v[0:1], s[18:19], v[18:19]
	v_mul_f64 v[2:3], s[16:17], v[18:19]
	v_fma_f64 v[0:1], s[16:17], v[16:17], -v[0:1]
	v_fmac_f64_e32 v[2:3], s[18:19], v[16:17]
	s_and_b64 vcc, exec, s[0:1]
	v_lshl_add_u64 v[16:17], v[6:7], 4, v[24:25]
	s_cbranch_vccnz .LBB425_21
; %bb.20:
	flat_load_dwordx4 v[18:21], v[16:17]
	s_waitcnt vmcnt(0) lgkmcnt(0)
	v_mul_f64 v[22:23], s[12:13], v[20:21]
	v_mul_f64 v[20:21], s[10:11], v[20:21]
	v_fma_f64 v[22:23], s[10:11], v[18:19], -v[22:23]
	v_fmac_f64_e32 v[20:21], s[12:13], v[18:19]
	v_add_f64 v[0:1], v[0:1], v[22:23]
	v_add_f64 v[2:3], v[2:3], v[20:21]
.LBB425_21:
	flat_store_dwordx4 v[16:17], v[0:3]
.LBB425_22:
	s_or_b64 exec, exec, s[6:7]
	v_add_u32_e32 v18, 16, v26
	v_mad_i64_i32 v[0:1], s[6:7], v18, s22, 0
	v_cmp_le_i32_e32 vcc, v18, v4
	v_lshl_add_u64 v[16:17], v[0:1], 4, s[8:9]
	s_and_b64 s[6:7], vcc, s[2:3]
	s_and_saveexec_b64 s[2:3], s[6:7]
	s_cbranch_execz .LBB425_26
; %bb.23:
	v_mul_f64 v[0:1], s[18:19], v[14:15]
	v_mul_f64 v[2:3], s[16:17], v[14:15]
	v_fma_f64 v[0:1], s[16:17], v[12:13], -v[0:1]
	v_fmac_f64_e32 v[2:3], s[18:19], v[12:13]
	s_and_b64 vcc, exec, s[0:1]
	v_lshl_add_u64 v[4:5], v[4:5], 4, v[16:17]
	s_cbranch_vccnz .LBB425_25
; %bb.24:
	flat_load_dwordx4 v[12:15], v[4:5]
	s_waitcnt vmcnt(0) lgkmcnt(0)
	v_mul_f64 v[20:21], s[12:13], v[14:15]
	v_mul_f64 v[14:15], s[10:11], v[14:15]
	v_fma_f64 v[20:21], s[10:11], v[12:13], -v[20:21]
	v_fmac_f64_e32 v[14:15], s[12:13], v[12:13]
	v_add_f64 v[0:1], v[0:1], v[20:21]
	v_add_f64 v[2:3], v[2:3], v[14:15]
.LBB425_25:
	flat_store_dwordx4 v[4:5], v[0:3]
.LBB425_26:
	s_or_b64 exec, exec, s[2:3]
	v_cmp_le_i32_e32 vcc, v18, v6
	s_and_b64 s[2:3], vcc, s[4:5]
	s_and_saveexec_b64 s[4:5], s[2:3]
	s_cbranch_execz .LBB425_30
; %bb.27:
	v_mul_f64 v[0:1], s[18:19], v[8:9]
	v_mul_f64 v[2:3], s[16:17], v[8:9]
	v_fma_f64 v[0:1], s[16:17], v[10:11], -v[0:1]
	v_fmac_f64_e32 v[2:3], s[18:19], v[10:11]
	s_and_b64 vcc, exec, s[0:1]
	v_lshl_add_u64 v[4:5], v[6:7], 4, v[16:17]
	s_cbranch_vccnz .LBB425_29
; %bb.28:
	flat_load_dwordx4 v[6:9], v[4:5]
	s_waitcnt vmcnt(0) lgkmcnt(0)
	v_mul_f64 v[10:11], s[12:13], v[8:9]
	v_mul_f64 v[8:9], s[10:11], v[8:9]
	v_fma_f64 v[10:11], s[10:11], v[6:7], -v[10:11]
	v_fmac_f64_e32 v[8:9], s[12:13], v[6:7]
	v_add_f64 v[0:1], v[0:1], v[10:11]
	v_add_f64 v[2:3], v[2:3], v[8:9]
.LBB425_29:
	flat_store_dwordx4 v[4:5], v[0:3]
.LBB425_30:
	s_endpgm
	.section	.rodata,"a",@progbits
	.p2align	6, 0x0
	.amdhsa_kernel _ZL29rocblas_internal_gemmt_kernelIiLi16ELi32ELi8ELc78ELc67ELc76ELb0ELb1E19rocblas_complex_numIdES1_PKPKS1_PKPS1_EviT_T9_T10_S9_lSB_S9_lSA_T11_S9_li
		.amdhsa_group_segment_fixed_size 8192
		.amdhsa_private_segment_fixed_size 0
		.amdhsa_kernarg_size 116
		.amdhsa_user_sgpr_count 2
		.amdhsa_user_sgpr_dispatch_ptr 0
		.amdhsa_user_sgpr_queue_ptr 0
		.amdhsa_user_sgpr_kernarg_segment_ptr 1
		.amdhsa_user_sgpr_dispatch_id 0
		.amdhsa_user_sgpr_kernarg_preload_length 0
		.amdhsa_user_sgpr_kernarg_preload_offset 0
		.amdhsa_user_sgpr_private_segment_size 0
		.amdhsa_uses_dynamic_stack 0
		.amdhsa_enable_private_segment 0
		.amdhsa_system_sgpr_workgroup_id_x 1
		.amdhsa_system_sgpr_workgroup_id_y 1
		.amdhsa_system_sgpr_workgroup_id_z 1
		.amdhsa_system_sgpr_workgroup_info 0
		.amdhsa_system_vgpr_workitem_id 1
		.amdhsa_next_free_vgpr 62
		.amdhsa_next_free_sgpr 38
		.amdhsa_accum_offset 64
		.amdhsa_reserve_vcc 1
		.amdhsa_float_round_mode_32 0
		.amdhsa_float_round_mode_16_64 0
		.amdhsa_float_denorm_mode_32 3
		.amdhsa_float_denorm_mode_16_64 3
		.amdhsa_dx10_clamp 1
		.amdhsa_ieee_mode 1
		.amdhsa_fp16_overflow 0
		.amdhsa_tg_split 0
		.amdhsa_exception_fp_ieee_invalid_op 0
		.amdhsa_exception_fp_denorm_src 0
		.amdhsa_exception_fp_ieee_div_zero 0
		.amdhsa_exception_fp_ieee_overflow 0
		.amdhsa_exception_fp_ieee_underflow 0
		.amdhsa_exception_fp_ieee_inexact 0
		.amdhsa_exception_int_div_zero 0
	.end_amdhsa_kernel
	.section	.text._ZL29rocblas_internal_gemmt_kernelIiLi16ELi32ELi8ELc78ELc67ELc76ELb0ELb1E19rocblas_complex_numIdES1_PKPKS1_PKPS1_EviT_T9_T10_S9_lSB_S9_lSA_T11_S9_li,"axG",@progbits,_ZL29rocblas_internal_gemmt_kernelIiLi16ELi32ELi8ELc78ELc67ELc76ELb0ELb1E19rocblas_complex_numIdES1_PKPKS1_PKPS1_EviT_T9_T10_S9_lSB_S9_lSA_T11_S9_li,comdat
.Lfunc_end425:
	.size	_ZL29rocblas_internal_gemmt_kernelIiLi16ELi32ELi8ELc78ELc67ELc76ELb0ELb1E19rocblas_complex_numIdES1_PKPKS1_PKPS1_EviT_T9_T10_S9_lSB_S9_lSA_T11_S9_li, .Lfunc_end425-_ZL29rocblas_internal_gemmt_kernelIiLi16ELi32ELi8ELc78ELc67ELc76ELb0ELb1E19rocblas_complex_numIdES1_PKPKS1_PKPS1_EviT_T9_T10_S9_lSB_S9_lSA_T11_S9_li
                                        ; -- End function
	.set _ZL29rocblas_internal_gemmt_kernelIiLi16ELi32ELi8ELc78ELc67ELc76ELb0ELb1E19rocblas_complex_numIdES1_PKPKS1_PKPS1_EviT_T9_T10_S9_lSB_S9_lSA_T11_S9_li.num_vgpr, 62
	.set _ZL29rocblas_internal_gemmt_kernelIiLi16ELi32ELi8ELc78ELc67ELc76ELb0ELb1E19rocblas_complex_numIdES1_PKPKS1_PKPS1_EviT_T9_T10_S9_lSB_S9_lSA_T11_S9_li.num_agpr, 0
	.set _ZL29rocblas_internal_gemmt_kernelIiLi16ELi32ELi8ELc78ELc67ELc76ELb0ELb1E19rocblas_complex_numIdES1_PKPKS1_PKPS1_EviT_T9_T10_S9_lSB_S9_lSA_T11_S9_li.numbered_sgpr, 38
	.set _ZL29rocblas_internal_gemmt_kernelIiLi16ELi32ELi8ELc78ELc67ELc76ELb0ELb1E19rocblas_complex_numIdES1_PKPKS1_PKPS1_EviT_T9_T10_S9_lSB_S9_lSA_T11_S9_li.num_named_barrier, 0
	.set _ZL29rocblas_internal_gemmt_kernelIiLi16ELi32ELi8ELc78ELc67ELc76ELb0ELb1E19rocblas_complex_numIdES1_PKPKS1_PKPS1_EviT_T9_T10_S9_lSB_S9_lSA_T11_S9_li.private_seg_size, 0
	.set _ZL29rocblas_internal_gemmt_kernelIiLi16ELi32ELi8ELc78ELc67ELc76ELb0ELb1E19rocblas_complex_numIdES1_PKPKS1_PKPS1_EviT_T9_T10_S9_lSB_S9_lSA_T11_S9_li.uses_vcc, 1
	.set _ZL29rocblas_internal_gemmt_kernelIiLi16ELi32ELi8ELc78ELc67ELc76ELb0ELb1E19rocblas_complex_numIdES1_PKPKS1_PKPS1_EviT_T9_T10_S9_lSB_S9_lSA_T11_S9_li.uses_flat_scratch, 0
	.set _ZL29rocblas_internal_gemmt_kernelIiLi16ELi32ELi8ELc78ELc67ELc76ELb0ELb1E19rocblas_complex_numIdES1_PKPKS1_PKPS1_EviT_T9_T10_S9_lSB_S9_lSA_T11_S9_li.has_dyn_sized_stack, 0
	.set _ZL29rocblas_internal_gemmt_kernelIiLi16ELi32ELi8ELc78ELc67ELc76ELb0ELb1E19rocblas_complex_numIdES1_PKPKS1_PKPS1_EviT_T9_T10_S9_lSB_S9_lSA_T11_S9_li.has_recursion, 0
	.set _ZL29rocblas_internal_gemmt_kernelIiLi16ELi32ELi8ELc78ELc67ELc76ELb0ELb1E19rocblas_complex_numIdES1_PKPKS1_PKPS1_EviT_T9_T10_S9_lSB_S9_lSA_T11_S9_li.has_indirect_call, 0
	.section	.AMDGPU.csdata,"",@progbits
; Kernel info:
; codeLenInByte = 3112
; TotalNumSgprs: 44
; NumVgprs: 62
; NumAgprs: 0
; TotalNumVgprs: 62
; ScratchSize: 0
; MemoryBound: 1
; FloatMode: 240
; IeeeMode: 1
; LDSByteSize: 8192 bytes/workgroup (compile time only)
; SGPRBlocks: 5
; VGPRBlocks: 7
; NumSGPRsForWavesPerEU: 44
; NumVGPRsForWavesPerEU: 62
; AccumOffset: 64
; Occupancy: 8
; WaveLimiterHint : 1
; COMPUTE_PGM_RSRC2:SCRATCH_EN: 0
; COMPUTE_PGM_RSRC2:USER_SGPR: 2
; COMPUTE_PGM_RSRC2:TRAP_HANDLER: 0
; COMPUTE_PGM_RSRC2:TGID_X_EN: 1
; COMPUTE_PGM_RSRC2:TGID_Y_EN: 1
; COMPUTE_PGM_RSRC2:TGID_Z_EN: 1
; COMPUTE_PGM_RSRC2:TIDIG_COMP_CNT: 1
; COMPUTE_PGM_RSRC3_GFX90A:ACCUM_OFFSET: 15
; COMPUTE_PGM_RSRC3_GFX90A:TG_SPLIT: 0
	.section	.text._ZL29rocblas_internal_gemmt_kernelIiLi16ELi32ELi8ELc84ELc78ELc76ELb0ELb0E19rocblas_complex_numIdES1_PKPKS1_PKPS1_EviT_T9_T10_S9_lSB_S9_lSA_T11_S9_li,"axG",@progbits,_ZL29rocblas_internal_gemmt_kernelIiLi16ELi32ELi8ELc84ELc78ELc76ELb0ELb0E19rocblas_complex_numIdES1_PKPKS1_PKPS1_EviT_T9_T10_S9_lSB_S9_lSA_T11_S9_li,comdat
	.globl	_ZL29rocblas_internal_gemmt_kernelIiLi16ELi32ELi8ELc84ELc78ELc76ELb0ELb0E19rocblas_complex_numIdES1_PKPKS1_PKPS1_EviT_T9_T10_S9_lSB_S9_lSA_T11_S9_li ; -- Begin function _ZL29rocblas_internal_gemmt_kernelIiLi16ELi32ELi8ELc84ELc78ELc76ELb0ELb0E19rocblas_complex_numIdES1_PKPKS1_PKPS1_EviT_T9_T10_S9_lSB_S9_lSA_T11_S9_li
	.p2align	8
	.type	_ZL29rocblas_internal_gemmt_kernelIiLi16ELi32ELi8ELc84ELc78ELc76ELb0ELb0E19rocblas_complex_numIdES1_PKPKS1_PKPS1_EviT_T9_T10_S9_lSB_S9_lSA_T11_S9_li,@function
_ZL29rocblas_internal_gemmt_kernelIiLi16ELi32ELi8ELc84ELc78ELc76ELb0ELb0E19rocblas_complex_numIdES1_PKPKS1_PKPS1_EviT_T9_T10_S9_lSB_S9_lSA_T11_S9_li: ; @_ZL29rocblas_internal_gemmt_kernelIiLi16ELi32ELi8ELc84ELc78ELc76ELb0ELb0E19rocblas_complex_numIdES1_PKPKS1_PKPS1_EviT_T9_T10_S9_lSB_S9_lSA_T11_S9_li
; %bb.0:
	s_load_dwordx8 s[8:15], s[0:1], 0x40
	s_load_dwordx2 s[6:7], s[0:1], 0x0
	s_load_dwordx4 s[16:19], s[0:1], 0x8
	s_mov_b64 s[22:23], 0
	s_waitcnt lgkmcnt(0)
	v_cmp_eq_f64_e64 s[24:25], s[10:11], 1.0
	v_cmp_eq_f64_e64 s[20:21], s[12:13], 0
	s_and_b64 s[24:25], s[24:25], s[20:21]
	s_andn2_b64 vcc, exec, s[24:25]
	s_mov_b64 s[24:25], -1
	s_cbranch_vccnz .LBB426_4
; %bb.1:
	s_cmp_lg_u32 s7, 0
	s_cbranch_scc0 .LBB426_3
; %bb.2:
	v_cmp_neq_f64_e64 s[22:23], s[16:17], 0
	v_cmp_neq_f64_e64 s[24:25], s[18:19], 0
	s_or_b64 s[22:23], s[22:23], s[24:25]
.LBB426_3:
	s_mov_b64 s[24:25], s[22:23]
.LBB426_4:
	s_and_b64 vcc, exec, s[24:25]
	s_cbranch_vccz .LBB426_32
; %bb.5:
	s_mov_b32 s5, 0
	s_lshl_b64 s[22:23], s[4:5], 3
	s_add_u32 s14, s14, s22
	s_addc_u32 s15, s15, s23
	s_lshl_b32 s4, s2, 5
	s_lshl_b32 s26, s3, 5
	v_cmp_eq_f64_e64 s[2:3], s[16:17], 0
	v_cmp_eq_f64_e64 s[24:25], s[18:19], 0
	s_load_dwordx2 s[14:15], s[14:15], 0x0
	s_and_b64 s[2:3], s[2:3], s[24:25]
	s_cmp_lt_i32 s7, 1
	s_cselect_b64 s[24:25], -1, 0
	s_or_b64 s[2:3], s[2:3], s[24:25]
	v_and_b32_e32 v24, 0x3ff, v0
	v_bfe_u32 v25, v0, 10, 10
	v_mov_b64_e32 v[20:21], 0
	s_and_b64 vcc, exec, s[2:3]
	v_mov_b64_e32 v[22:23], 0
	v_mov_b64_e32 v[16:17], 0
	;; [unrolled: 1-line block ×7, first 2 shown]
	s_cbranch_vccnz .LBB426_16
; %bb.6:
	s_load_dwordx2 s[2:3], s[0:1], 0x18
	s_load_dword s27, s[0:1], 0x20
	s_load_dwordx4 s[28:31], s[0:1], 0x28
	s_load_dword s33, s[0:1], 0x38
	v_lshl_add_u32 v0, v25, 4, v24
	v_lshrrev_b32_e32 v27, 5, v0
	v_lshrrev_b32_e32 v1, 3, v0
	v_and_b32_e32 v0, 31, v0
	s_waitcnt lgkmcnt(0)
	s_add_u32 s24, s30, s22
	v_or_b32_e32 v2, s4, v0
	s_addc_u32 s25, s31, s23
	v_and_b32_e32 v26, 7, v24
	s_add_u32 s2, s2, s22
	v_cmp_gt_i32_e32 vcc, s6, v2
	v_lshlrev_b32_e32 v2, 4, v0
	s_addc_u32 s3, s3, s23
	v_lshl_or_b32 v28, v27, 9, v2
	v_lshlrev_b32_e32 v2, 4, v26
	v_add_u32_e32 v3, s26, v1
	s_load_dwordx2 s[22:23], s[2:3], 0x0
	v_lshl_or_b32 v1, v1, 7, v2
	v_add_u32_e32 v29, 0x1000, v1
	v_mov_b32_e32 v1, 0x1000
	v_add_u32_e32 v0, s4, v0
	v_lshl_add_u32 v31, v25, 7, v1
	v_mad_i64_i32 v[0:1], s[30:31], s27, v0, 0
	s_lshl_b64 s[28:29], s[28:29], 4
	s_load_dwordx2 s[24:25], s[24:25], 0x0
	v_lshl_add_u64 v[4:5], v[0:1], 4, s[28:29]
	v_lshlrev_b32_e32 v0, 4, v27
	v_mov_b32_e32 v1, 0
	v_lshl_add_u64 v[4:5], v[4:5], 0, v[0:1]
	s_waitcnt lgkmcnt(0)
	v_lshl_add_u64 v[4:5], s[22:23], 0, v[4:5]
	v_mad_i64_i32 v[6:7], s[22:23], s33, v3, 0
	s_lshl_b64 s[8:9], s[8:9], 4
	v_cmp_gt_i32_e64 s[2:3], s6, v3
	v_lshl_add_u64 v[6:7], v[6:7], 4, s[8:9]
	v_mov_b32_e32 v3, v1
	v_lshl_add_u64 v[2:3], v[6:7], 0, v[2:3]
	v_lshlrev_b32_e32 v30, 4, v24
	v_lshl_add_u64 v[6:7], s[24:25], 0, v[2:3]
	v_mov_b64_e32 v[8:9], 0
	s_xor_b64 s[8:9], vcc, -1
	s_xor_b64 s[2:3], s[2:3], -1
	s_mov_b64 s[22:23], 0x80
	v_mov_b32_e32 v0, v1
	v_mov_b32_e32 v2, v1
	;; [unrolled: 1-line block ×3, first 2 shown]
	v_mov_b64_e32 v[10:11], 0
	v_mov_b64_e32 v[14:15], 0
	;; [unrolled: 1-line block ×7, first 2 shown]
	s_branch .LBB426_8
.LBB426_7:                              ;   in Loop: Header=BB426_8 Depth=1
	s_or_b64 exec, exec, s[24:25]
	s_waitcnt lgkmcnt(0)
	s_barrier
	ds_read_b128 v[32:35], v30
	ds_read_b128 v[36:39], v31
	ds_read_b128 v[40:43], v31 offset:16
	ds_read_b128 v[44:47], v31 offset:32
	;; [unrolled: 1-line block ×4, first 2 shown]
	s_waitcnt lgkmcnt(4)
	v_mul_f64 v[56:57], v[38:39], v[34:35]
	v_fma_f64 v[56:57], v[36:37], v[32:33], -v[56:57]
	v_mul_f64 v[58:59], v[36:37], v[34:35]
	v_fmac_f64_e32 v[58:59], v[38:39], v[32:33]
	v_add_f64 v[56:57], v[20:21], v[56:57]
	s_waitcnt lgkmcnt(0)
	v_mul_f64 v[20:21], v[38:39], v[54:55]
	v_add_f64 v[58:59], v[58:59], v[22:23]
	v_fma_f64 v[60:61], v[36:37], v[52:53], -v[20:21]
	ds_read_b128 v[20:23], v31 offset:2048
	v_mul_f64 v[36:37], v[36:37], v[54:55]
	v_fmac_f64_e32 v[36:37], v[38:39], v[52:53]
	v_add_f64 v[38:39], v[16:17], v[60:61]
	v_add_f64 v[36:37], v[36:37], v[18:19]
	ds_read_b128 v[16:19], v31 offset:2064
	s_waitcnt lgkmcnt(1)
	v_mul_f64 v[60:61], v[22:23], v[34:35]
	v_fma_f64 v[60:61], v[20:21], v[32:33], -v[60:61]
	v_mul_f64 v[34:35], v[20:21], v[34:35]
	v_fmac_f64_e32 v[34:35], v[22:23], v[32:33]
	v_add_f64 v[32:33], v[12:13], v[60:61]
	v_mul_f64 v[12:13], v[22:23], v[54:55]
	v_add_f64 v[34:35], v[34:35], v[14:15]
	v_fma_f64 v[60:61], v[20:21], v[52:53], -v[12:13]
	v_mul_f64 v[20:21], v[20:21], v[54:55]
	ds_read_b128 v[12:15], v30 offset:512
	v_fmac_f64_e32 v[20:21], v[22:23], v[52:53]
	v_add_f64 v[22:23], v[10:11], v[60:61]
	v_add_f64 v[20:21], v[20:21], v[8:9]
	ds_read_b128 v[8:11], v30 offset:768
	s_waitcnt lgkmcnt(1)
	v_mul_f64 v[52:53], v[42:43], v[14:15]
	v_fma_f64 v[52:53], v[40:41], v[12:13], -v[52:53]
	v_add_f64 v[52:53], v[56:57], v[52:53]
	v_mul_f64 v[54:55], v[40:41], v[14:15]
	s_waitcnt lgkmcnt(0)
	v_mul_f64 v[56:57], v[42:43], v[10:11]
	v_fma_f64 v[56:57], v[40:41], v[8:9], -v[56:57]
	v_mul_f64 v[40:41], v[40:41], v[10:11]
	v_fmac_f64_e32 v[40:41], v[42:43], v[8:9]
	v_add_f64 v[36:37], v[40:41], v[36:37]
	v_mul_f64 v[40:41], v[18:19], v[14:15]
	v_mul_f64 v[14:15], v[16:17], v[14:15]
	v_fmac_f64_e32 v[54:55], v[42:43], v[12:13]
	v_fma_f64 v[40:41], v[16:17], v[12:13], -v[40:41]
	v_fmac_f64_e32 v[14:15], v[18:19], v[12:13]
	v_mul_f64 v[12:13], v[18:19], v[10:11]
	v_add_f64 v[42:43], v[14:15], v[34:35]
	v_fma_f64 v[14:15], v[16:17], v[8:9], -v[12:13]
	v_mul_f64 v[16:17], v[16:17], v[10:11]
	ds_read_b128 v[10:13], v30 offset:1024
	v_fmac_f64_e32 v[16:17], v[18:19], v[8:9]
	v_add_f64 v[38:39], v[38:39], v[56:57]
	v_add_f64 v[22:23], v[22:23], v[14:15]
	;; [unrolled: 1-line block ×3, first 2 shown]
	ds_read_b128 v[14:17], v30 offset:1280
	s_waitcnt lgkmcnt(1)
	v_mul_f64 v[18:19], v[44:45], v[12:13]
	v_add_f64 v[54:55], v[54:55], v[58:59]
	v_fmac_f64_e32 v[18:19], v[46:47], v[10:11]
	v_add_f64 v[54:55], v[18:19], v[54:55]
	ds_read_b128 v[18:21], v31 offset:2080
	v_mul_f64 v[8:9], v[46:47], v[12:13]
	v_fma_f64 v[8:9], v[44:45], v[10:11], -v[8:9]
	v_add_f64 v[40:41], v[32:33], v[40:41]
	v_add_f64 v[52:53], v[52:53], v[8:9]
	s_waitcnt lgkmcnt(1)
	v_mul_f64 v[8:9], v[46:47], v[16:17]
	v_mul_f64 v[32:33], v[44:45], v[16:17]
	v_fma_f64 v[8:9], v[44:45], v[14:15], -v[8:9]
	v_fmac_f64_e32 v[32:33], v[46:47], v[14:15]
	v_add_f64 v[38:39], v[38:39], v[8:9]
	v_add_f64 v[36:37], v[32:33], v[36:37]
	ds_read_b128 v[32:35], v31 offset:2096
	s_waitcnt lgkmcnt(1)
	v_mul_f64 v[8:9], v[20:21], v[12:13]
	v_fma_f64 v[8:9], v[18:19], v[10:11], -v[8:9]
	v_mul_f64 v[12:13], v[18:19], v[12:13]
	v_fmac_f64_e32 v[12:13], v[20:21], v[10:11]
	v_add_f64 v[40:41], v[40:41], v[8:9]
	v_mul_f64 v[8:9], v[20:21], v[16:17]
	v_add_f64 v[42:43], v[12:13], v[42:43]
	v_fma_f64 v[12:13], v[18:19], v[14:15], -v[8:9]
	ds_read_b128 v[8:11], v30 offset:1536
	v_mul_f64 v[16:17], v[18:19], v[16:17]
	v_fmac_f64_e32 v[16:17], v[20:21], v[14:15]
	v_add_f64 v[18:19], v[22:23], v[12:13]
	ds_read_b128 v[12:15], v30 offset:1792
	s_waitcnt lgkmcnt(1)
	v_mul_f64 v[20:21], v[50:51], v[10:11]
	v_fma_f64 v[20:21], v[48:49], v[8:9], -v[20:21]
	v_mul_f64 v[22:23], v[48:49], v[10:11]
	v_fmac_f64_e32 v[22:23], v[50:51], v[8:9]
	v_add_f64 v[44:45], v[52:53], v[20:21]
	s_waitcnt lgkmcnt(0)
	v_mul_f64 v[20:21], v[50:51], v[14:15]
	v_add_f64 v[46:47], v[22:23], v[54:55]
	v_fma_f64 v[20:21], v[48:49], v[12:13], -v[20:21]
	v_mul_f64 v[22:23], v[48:49], v[14:15]
	v_fmac_f64_e32 v[22:23], v[50:51], v[12:13]
	v_add_f64 v[38:39], v[38:39], v[20:21]
	v_mul_f64 v[20:21], v[34:35], v[10:11]
	v_mul_f64 v[10:11], v[32:33], v[10:11]
	v_add_f64 v[36:37], v[22:23], v[36:37]
	v_fma_f64 v[20:21], v[32:33], v[8:9], -v[20:21]
	v_fmac_f64_e32 v[10:11], v[34:35], v[8:9]
	v_mul_f64 v[8:9], v[34:35], v[14:15]
	v_mul_f64 v[22:23], v[32:33], v[14:15]
	v_add_f64 v[40:41], v[40:41], v[20:21]
	v_add_f64 v[42:43], v[10:11], v[42:43]
	v_fma_f64 v[20:21], v[32:33], v[12:13], -v[8:9]
	v_fmac_f64_e32 v[22:23], v[34:35], v[12:13]
	ds_read_b128 v[8:11], v31 offset:64
	ds_read_b128 v[12:15], v30 offset:2048
	v_add_f64 v[16:17], v[16:17], v[56:57]
	v_add_f64 v[48:49], v[18:19], v[20:21]
	v_add_f64 v[50:51], v[22:23], v[16:17]
	ds_read_b128 v[16:19], v30 offset:2304
	ds_read_b128 v[20:23], v31 offset:80
	s_waitcnt lgkmcnt(2)
	v_mul_f64 v[32:33], v[10:11], v[14:15]
	v_fma_f64 v[32:33], v[8:9], v[12:13], -v[32:33]
	v_mul_f64 v[34:35], v[8:9], v[14:15]
	v_fmac_f64_e32 v[34:35], v[10:11], v[12:13]
	v_add_f64 v[44:45], v[44:45], v[32:33]
	s_waitcnt lgkmcnt(1)
	v_mul_f64 v[32:33], v[10:11], v[18:19]
	v_add_f64 v[46:47], v[34:35], v[46:47]
	v_fma_f64 v[52:53], v[8:9], v[16:17], -v[32:33]
	ds_read_b128 v[32:35], v31 offset:2112
	v_mul_f64 v[8:9], v[8:9], v[18:19]
	v_fmac_f64_e32 v[8:9], v[10:11], v[16:17]
	v_add_f64 v[38:39], v[38:39], v[52:53]
	v_add_f64 v[36:37], v[8:9], v[36:37]
	ds_read_b128 v[8:11], v31 offset:2128
	s_waitcnt lgkmcnt(1)
	v_mul_f64 v[52:53], v[34:35], v[14:15]
	v_mul_f64 v[14:15], v[32:33], v[14:15]
	v_fma_f64 v[52:53], v[32:33], v[12:13], -v[52:53]
	v_fmac_f64_e32 v[14:15], v[34:35], v[12:13]
	v_mul_f64 v[12:13], v[34:35], v[18:19]
	v_add_f64 v[40:41], v[40:41], v[52:53]
	v_add_f64 v[42:43], v[14:15], v[42:43]
	v_fma_f64 v[52:53], v[32:33], v[16:17], -v[12:13]
	v_mul_f64 v[18:19], v[32:33], v[18:19]
	ds_read_b128 v[12:15], v30 offset:2560
	v_fmac_f64_e32 v[18:19], v[34:35], v[16:17]
	v_add_f64 v[34:35], v[18:19], v[50:51]
	ds_read_b128 v[16:19], v30 offset:2816
	v_add_f64 v[32:33], v[48:49], v[52:53]
	s_waitcnt lgkmcnt(1)
	v_mul_f64 v[48:49], v[22:23], v[14:15]
	v_fma_f64 v[48:49], v[20:21], v[12:13], -v[48:49]
	v_add_f64 v[44:45], v[44:45], v[48:49]
	s_waitcnt lgkmcnt(0)
	v_mul_f64 v[48:49], v[22:23], v[18:19]
	v_mul_f64 v[50:51], v[20:21], v[14:15]
	v_fma_f64 v[48:49], v[20:21], v[16:17], -v[48:49]
	v_mul_f64 v[20:21], v[20:21], v[18:19]
	v_fmac_f64_e32 v[20:21], v[22:23], v[16:17]
	v_add_f64 v[36:37], v[20:21], v[36:37]
	v_mul_f64 v[20:21], v[10:11], v[14:15]
	v_mul_f64 v[14:15], v[8:9], v[14:15]
	v_fmac_f64_e32 v[50:51], v[22:23], v[12:13]
	v_fma_f64 v[20:21], v[8:9], v[12:13], -v[20:21]
	v_fmac_f64_e32 v[14:15], v[10:11], v[12:13]
	v_mul_f64 v[12:13], v[10:11], v[18:19]
	v_mul_f64 v[18:19], v[8:9], v[18:19]
	v_add_f64 v[40:41], v[40:41], v[20:21]
	v_add_f64 v[42:43], v[14:15], v[42:43]
	v_fma_f64 v[20:21], v[8:9], v[16:17], -v[12:13]
	v_fmac_f64_e32 v[18:19], v[10:11], v[16:17]
	ds_read_b128 v[8:11], v31 offset:96
	ds_read_b128 v[12:15], v30 offset:3072
	v_add_f64 v[46:47], v[50:51], v[46:47]
	v_add_f64 v[38:39], v[38:39], v[48:49]
	;; [unrolled: 1-line block ×4, first 2 shown]
	ds_read_b128 v[16:19], v30 offset:3328
	ds_read_b128 v[32:35], v31 offset:112
	s_waitcnt lgkmcnt(2)
	v_mul_f64 v[20:21], v[10:11], v[14:15]
	v_fma_f64 v[20:21], v[8:9], v[12:13], -v[20:21]
	v_mul_f64 v[22:23], v[8:9], v[14:15]
	v_fmac_f64_e32 v[22:23], v[10:11], v[12:13]
	v_add_f64 v[44:45], v[44:45], v[20:21]
	s_waitcnt lgkmcnt(1)
	v_mul_f64 v[20:21], v[10:11], v[18:19]
	v_add_f64 v[46:47], v[22:23], v[46:47]
	v_fma_f64 v[52:53], v[8:9], v[16:17], -v[20:21]
	ds_read_b128 v[20:23], v31 offset:2144
	v_mul_f64 v[8:9], v[8:9], v[18:19]
	v_fmac_f64_e32 v[8:9], v[10:11], v[16:17]
	v_add_f64 v[54:55], v[8:9], v[36:37]
	ds_read_b128 v[8:11], v31 offset:2160
	s_waitcnt lgkmcnt(1)
	v_mul_f64 v[36:37], v[22:23], v[14:15]
	v_mul_f64 v[14:15], v[20:21], v[14:15]
	v_fma_f64 v[36:37], v[20:21], v[12:13], -v[36:37]
	v_fmac_f64_e32 v[14:15], v[22:23], v[12:13]
	v_mul_f64 v[12:13], v[22:23], v[18:19]
	v_add_f64 v[40:41], v[40:41], v[36:37]
	v_add_f64 v[42:43], v[14:15], v[42:43]
	v_fma_f64 v[36:37], v[20:21], v[16:17], -v[12:13]
	ds_read_b128 v[12:15], v30 offset:3584
	v_add_f64 v[52:53], v[38:39], v[52:53]
	v_add_f64 v[48:49], v[48:49], v[36:37]
	ds_read_b128 v[36:39], v30 offset:3840
	v_mul_f64 v[18:19], v[20:21], v[18:19]
	v_fmac_f64_e32 v[18:19], v[22:23], v[16:17]
	s_waitcnt lgkmcnt(1)
	v_mul_f64 v[16:17], v[34:35], v[14:15]
	v_add_f64 v[50:51], v[18:19], v[50:51]
	v_fma_f64 v[16:17], v[32:33], v[12:13], -v[16:17]
	v_mul_f64 v[18:19], v[32:33], v[14:15]
	v_fmac_f64_e32 v[18:19], v[34:35], v[12:13]
	v_add_f64 v[20:21], v[44:45], v[16:17]
	s_waitcnt lgkmcnt(0)
	v_mul_f64 v[16:17], v[34:35], v[38:39]
	v_add_f64 v[22:23], v[18:19], v[46:47]
	v_fma_f64 v[16:17], v[32:33], v[36:37], -v[16:17]
	v_mul_f64 v[18:19], v[32:33], v[38:39]
	v_mul_f64 v[32:33], v[10:11], v[14:15]
	v_fma_f64 v[32:33], v[8:9], v[12:13], -v[32:33]
	v_mul_f64 v[14:15], v[8:9], v[14:15]
	v_fmac_f64_e32 v[14:15], v[10:11], v[12:13]
	v_add_f64 v[12:13], v[40:41], v[32:33]
	v_mul_f64 v[32:33], v[10:11], v[38:39]
	v_fma_f64 v[32:33], v[8:9], v[36:37], -v[32:33]
	v_mul_f64 v[8:9], v[8:9], v[38:39]
	v_fmac_f64_e32 v[18:19], v[34:35], v[36:37]
	v_fmac_f64_e32 v[8:9], v[10:11], v[36:37]
	s_add_i32 s5, s5, 8
	v_add_f64 v[16:17], v[52:53], v[16:17]
	v_add_f64 v[18:19], v[18:19], v[54:55]
	;; [unrolled: 1-line block ×5, first 2 shown]
	v_lshl_add_u64 v[4:5], v[4:5], 0, s[22:23]
	s_cmp_lt_i32 s5, s7
	v_lshl_add_u64 v[6:7], v[6:7], 0, s[22:23]
	s_barrier
	s_cbranch_scc0 .LBB426_16
.LBB426_8:                              ; =>This Inner Loop Header: Depth=1
	v_add_u32_e32 v32, s5, v27
	v_cmp_le_i32_e32 vcc, s7, v32
	s_or_b64 s[24:25], s[8:9], vcc
	s_and_saveexec_b64 s[28:29], s[24:25]
	s_xor_b64 s[24:25], exec, s[28:29]
; %bb.9:                                ;   in Loop: Header=BB426_8 Depth=1
	ds_write_b128 v28, v[0:3]
; %bb.10:                               ;   in Loop: Header=BB426_8 Depth=1
	s_andn2_saveexec_b64 s[24:25], s[24:25]
	s_cbranch_execz .LBB426_12
; %bb.11:                               ;   in Loop: Header=BB426_8 Depth=1
	flat_load_dwordx4 v[32:35], v[4:5]
	s_waitcnt vmcnt(0) lgkmcnt(0)
	ds_write2_b64 v28, v[32:33], v[34:35] offset1:1
.LBB426_12:                             ;   in Loop: Header=BB426_8 Depth=1
	s_or_b64 exec, exec, s[24:25]
	v_add_u32_e32 v32, s5, v26
	v_cmp_le_i32_e32 vcc, s7, v32
	s_or_b64 s[24:25], vcc, s[2:3]
	s_and_saveexec_b64 s[28:29], s[24:25]
	s_xor_b64 s[24:25], exec, s[28:29]
; %bb.13:                               ;   in Loop: Header=BB426_8 Depth=1
	ds_write_b128 v29, v[0:3]
; %bb.14:                               ;   in Loop: Header=BB426_8 Depth=1
	s_andn2_saveexec_b64 s[24:25], s[24:25]
	s_cbranch_execz .LBB426_7
; %bb.15:                               ;   in Loop: Header=BB426_8 Depth=1
	flat_load_dwordx4 v[32:35], v[6:7]
	s_waitcnt vmcnt(0) lgkmcnt(0)
	ds_write2_b64 v29, v[32:33], v[34:35] offset1:1
	s_branch .LBB426_7
.LBB426_16:
	s_load_dwordx2 s[2:3], s[0:1], 0x68
	s_load_dword s22, s[0:1], 0x60
	v_add_u32_e32 v4, s4, v24
	v_add_u32_e32 v26, s26, v25
	v_cmp_neq_f64_e64 s[0:1], s[10:11], 0
	s_waitcnt lgkmcnt(0)
	s_lshl_b64 s[2:3], s[2:3], 4
	s_add_u32 s8, s14, s2
	s_addc_u32 s9, s15, s3
	s_xor_b64 s[4:5], s[20:21], -1
	v_mad_i64_i32 v[0:1], s[2:3], v26, s22, 0
	s_or_b64 s[0:1], s[0:1], s[4:5]
	v_lshl_add_u64 v[24:25], v[0:1], 4, s[8:9]
	v_cmp_le_i32_e32 vcc, v26, v4
	v_cmp_gt_i32_e64 s[2:3], s6, v4
	v_cndmask_b32_e64 v0, 0, 1, s[0:1]
	s_and_b64 s[14:15], vcc, s[2:3]
	v_ashrrev_i32_e32 v5, 31, v4
	v_cmp_ne_u32_e64 s[0:1], 1, v0
	s_and_saveexec_b64 s[4:5], s[14:15]
	s_cbranch_execz .LBB426_20
; %bb.17:
	v_mul_f64 v[0:1], s[18:19], v[22:23]
	v_mul_f64 v[2:3], s[16:17], v[22:23]
	v_fma_f64 v[0:1], s[16:17], v[20:21], -v[0:1]
	v_fmac_f64_e32 v[2:3], s[18:19], v[20:21]
	s_and_b64 vcc, exec, s[0:1]
	v_lshl_add_u64 v[6:7], v[4:5], 4, v[24:25]
	s_cbranch_vccnz .LBB426_19
; %bb.18:
	flat_load_dwordx4 v[20:23], v[6:7]
	s_waitcnt vmcnt(0) lgkmcnt(0)
	v_mul_f64 v[28:29], s[12:13], v[22:23]
	v_mul_f64 v[22:23], s[10:11], v[22:23]
	v_fma_f64 v[28:29], s[10:11], v[20:21], -v[28:29]
	v_fmac_f64_e32 v[22:23], s[12:13], v[20:21]
	v_add_f64 v[0:1], v[0:1], v[28:29]
	v_add_f64 v[2:3], v[2:3], v[22:23]
.LBB426_19:
	flat_store_dwordx4 v[6:7], v[0:3]
.LBB426_20:
	s_or_b64 exec, exec, s[4:5]
	v_add_u32_e32 v6, 16, v4
	v_cmp_le_i32_e32 vcc, v26, v6
	v_cmp_gt_i32_e64 s[4:5], s6, v6
	s_and_b64 s[14:15], vcc, s[4:5]
	v_ashrrev_i32_e32 v7, 31, v6
	s_and_saveexec_b64 s[6:7], s[14:15]
	s_cbranch_execz .LBB426_24
; %bb.21:
	v_mul_f64 v[0:1], s[18:19], v[18:19]
	v_mul_f64 v[2:3], s[16:17], v[18:19]
	v_fma_f64 v[0:1], s[16:17], v[16:17], -v[0:1]
	v_fmac_f64_e32 v[2:3], s[18:19], v[16:17]
	s_and_b64 vcc, exec, s[0:1]
	v_lshl_add_u64 v[16:17], v[6:7], 4, v[24:25]
	s_cbranch_vccnz .LBB426_23
; %bb.22:
	flat_load_dwordx4 v[18:21], v[16:17]
	s_waitcnt vmcnt(0) lgkmcnt(0)
	v_mul_f64 v[22:23], s[12:13], v[20:21]
	v_mul_f64 v[20:21], s[10:11], v[20:21]
	v_fma_f64 v[22:23], s[10:11], v[18:19], -v[22:23]
	v_fmac_f64_e32 v[20:21], s[12:13], v[18:19]
	v_add_f64 v[0:1], v[0:1], v[22:23]
	v_add_f64 v[2:3], v[2:3], v[20:21]
.LBB426_23:
	flat_store_dwordx4 v[16:17], v[0:3]
.LBB426_24:
	s_or_b64 exec, exec, s[6:7]
	v_add_u32_e32 v18, 16, v26
	v_mad_i64_i32 v[0:1], s[6:7], v18, s22, 0
	v_cmp_le_i32_e32 vcc, v18, v4
	v_lshl_add_u64 v[16:17], v[0:1], 4, s[8:9]
	s_and_b64 s[6:7], vcc, s[2:3]
	s_and_saveexec_b64 s[2:3], s[6:7]
	s_cbranch_execz .LBB426_28
; %bb.25:
	v_mul_f64 v[0:1], s[18:19], v[14:15]
	v_mul_f64 v[2:3], s[16:17], v[14:15]
	v_fma_f64 v[0:1], s[16:17], v[12:13], -v[0:1]
	v_fmac_f64_e32 v[2:3], s[18:19], v[12:13]
	s_and_b64 vcc, exec, s[0:1]
	v_lshl_add_u64 v[4:5], v[4:5], 4, v[16:17]
	s_cbranch_vccnz .LBB426_27
; %bb.26:
	flat_load_dwordx4 v[12:15], v[4:5]
	s_waitcnt vmcnt(0) lgkmcnt(0)
	v_mul_f64 v[20:21], s[12:13], v[14:15]
	v_mul_f64 v[14:15], s[10:11], v[14:15]
	v_fma_f64 v[20:21], s[10:11], v[12:13], -v[20:21]
	v_fmac_f64_e32 v[14:15], s[12:13], v[12:13]
	v_add_f64 v[0:1], v[0:1], v[20:21]
	v_add_f64 v[2:3], v[2:3], v[14:15]
.LBB426_27:
	flat_store_dwordx4 v[4:5], v[0:3]
.LBB426_28:
	s_or_b64 exec, exec, s[2:3]
	v_cmp_le_i32_e32 vcc, v18, v6
	s_and_b64 s[2:3], vcc, s[4:5]
	s_and_saveexec_b64 s[4:5], s[2:3]
	s_cbranch_execz .LBB426_32
; %bb.29:
	v_mul_f64 v[0:1], s[18:19], v[8:9]
	v_mul_f64 v[2:3], s[16:17], v[8:9]
	v_fma_f64 v[0:1], s[16:17], v[10:11], -v[0:1]
	v_fmac_f64_e32 v[2:3], s[18:19], v[10:11]
	s_and_b64 vcc, exec, s[0:1]
	v_lshl_add_u64 v[4:5], v[6:7], 4, v[16:17]
	s_cbranch_vccnz .LBB426_31
; %bb.30:
	flat_load_dwordx4 v[6:9], v[4:5]
	s_waitcnt vmcnt(0) lgkmcnt(0)
	v_mul_f64 v[10:11], s[12:13], v[8:9]
	v_mul_f64 v[8:9], s[10:11], v[8:9]
	v_fma_f64 v[10:11], s[10:11], v[6:7], -v[10:11]
	v_fmac_f64_e32 v[8:9], s[12:13], v[6:7]
	v_add_f64 v[0:1], v[0:1], v[10:11]
	v_add_f64 v[2:3], v[2:3], v[8:9]
.LBB426_31:
	flat_store_dwordx4 v[4:5], v[0:3]
.LBB426_32:
	s_endpgm
	.section	.rodata,"a",@progbits
	.p2align	6, 0x0
	.amdhsa_kernel _ZL29rocblas_internal_gemmt_kernelIiLi16ELi32ELi8ELc84ELc78ELc76ELb0ELb0E19rocblas_complex_numIdES1_PKPKS1_PKPS1_EviT_T9_T10_S9_lSB_S9_lSA_T11_S9_li
		.amdhsa_group_segment_fixed_size 8192
		.amdhsa_private_segment_fixed_size 0
		.amdhsa_kernarg_size 116
		.amdhsa_user_sgpr_count 2
		.amdhsa_user_sgpr_dispatch_ptr 0
		.amdhsa_user_sgpr_queue_ptr 0
		.amdhsa_user_sgpr_kernarg_segment_ptr 1
		.amdhsa_user_sgpr_dispatch_id 0
		.amdhsa_user_sgpr_kernarg_preload_length 0
		.amdhsa_user_sgpr_kernarg_preload_offset 0
		.amdhsa_user_sgpr_private_segment_size 0
		.amdhsa_uses_dynamic_stack 0
		.amdhsa_enable_private_segment 0
		.amdhsa_system_sgpr_workgroup_id_x 1
		.amdhsa_system_sgpr_workgroup_id_y 1
		.amdhsa_system_sgpr_workgroup_id_z 1
		.amdhsa_system_sgpr_workgroup_info 0
		.amdhsa_system_vgpr_workitem_id 1
		.amdhsa_next_free_vgpr 62
		.amdhsa_next_free_sgpr 34
		.amdhsa_accum_offset 64
		.amdhsa_reserve_vcc 1
		.amdhsa_float_round_mode_32 0
		.amdhsa_float_round_mode_16_64 0
		.amdhsa_float_denorm_mode_32 3
		.amdhsa_float_denorm_mode_16_64 3
		.amdhsa_dx10_clamp 1
		.amdhsa_ieee_mode 1
		.amdhsa_fp16_overflow 0
		.amdhsa_tg_split 0
		.amdhsa_exception_fp_ieee_invalid_op 0
		.amdhsa_exception_fp_denorm_src 0
		.amdhsa_exception_fp_ieee_div_zero 0
		.amdhsa_exception_fp_ieee_overflow 0
		.amdhsa_exception_fp_ieee_underflow 0
		.amdhsa_exception_fp_ieee_inexact 0
		.amdhsa_exception_int_div_zero 0
	.end_amdhsa_kernel
	.section	.text._ZL29rocblas_internal_gemmt_kernelIiLi16ELi32ELi8ELc84ELc78ELc76ELb0ELb0E19rocblas_complex_numIdES1_PKPKS1_PKPS1_EviT_T9_T10_S9_lSB_S9_lSA_T11_S9_li,"axG",@progbits,_ZL29rocblas_internal_gemmt_kernelIiLi16ELi32ELi8ELc84ELc78ELc76ELb0ELb0E19rocblas_complex_numIdES1_PKPKS1_PKPS1_EviT_T9_T10_S9_lSB_S9_lSA_T11_S9_li,comdat
.Lfunc_end426:
	.size	_ZL29rocblas_internal_gemmt_kernelIiLi16ELi32ELi8ELc84ELc78ELc76ELb0ELb0E19rocblas_complex_numIdES1_PKPKS1_PKPS1_EviT_T9_T10_S9_lSB_S9_lSA_T11_S9_li, .Lfunc_end426-_ZL29rocblas_internal_gemmt_kernelIiLi16ELi32ELi8ELc84ELc78ELc76ELb0ELb0E19rocblas_complex_numIdES1_PKPKS1_PKPS1_EviT_T9_T10_S9_lSB_S9_lSA_T11_S9_li
                                        ; -- End function
	.set _ZL29rocblas_internal_gemmt_kernelIiLi16ELi32ELi8ELc84ELc78ELc76ELb0ELb0E19rocblas_complex_numIdES1_PKPKS1_PKPS1_EviT_T9_T10_S9_lSB_S9_lSA_T11_S9_li.num_vgpr, 62
	.set _ZL29rocblas_internal_gemmt_kernelIiLi16ELi32ELi8ELc84ELc78ELc76ELb0ELb0E19rocblas_complex_numIdES1_PKPKS1_PKPS1_EviT_T9_T10_S9_lSB_S9_lSA_T11_S9_li.num_agpr, 0
	.set _ZL29rocblas_internal_gemmt_kernelIiLi16ELi32ELi8ELc84ELc78ELc76ELb0ELb0E19rocblas_complex_numIdES1_PKPKS1_PKPS1_EviT_T9_T10_S9_lSB_S9_lSA_T11_S9_li.numbered_sgpr, 34
	.set _ZL29rocblas_internal_gemmt_kernelIiLi16ELi32ELi8ELc84ELc78ELc76ELb0ELb0E19rocblas_complex_numIdES1_PKPKS1_PKPS1_EviT_T9_T10_S9_lSB_S9_lSA_T11_S9_li.num_named_barrier, 0
	.set _ZL29rocblas_internal_gemmt_kernelIiLi16ELi32ELi8ELc84ELc78ELc76ELb0ELb0E19rocblas_complex_numIdES1_PKPKS1_PKPS1_EviT_T9_T10_S9_lSB_S9_lSA_T11_S9_li.private_seg_size, 0
	.set _ZL29rocblas_internal_gemmt_kernelIiLi16ELi32ELi8ELc84ELc78ELc76ELb0ELb0E19rocblas_complex_numIdES1_PKPKS1_PKPS1_EviT_T9_T10_S9_lSB_S9_lSA_T11_S9_li.uses_vcc, 1
	.set _ZL29rocblas_internal_gemmt_kernelIiLi16ELi32ELi8ELc84ELc78ELc76ELb0ELb0E19rocblas_complex_numIdES1_PKPKS1_PKPS1_EviT_T9_T10_S9_lSB_S9_lSA_T11_S9_li.uses_flat_scratch, 0
	.set _ZL29rocblas_internal_gemmt_kernelIiLi16ELi32ELi8ELc84ELc78ELc76ELb0ELb0E19rocblas_complex_numIdES1_PKPKS1_PKPS1_EviT_T9_T10_S9_lSB_S9_lSA_T11_S9_li.has_dyn_sized_stack, 0
	.set _ZL29rocblas_internal_gemmt_kernelIiLi16ELi32ELi8ELc84ELc78ELc76ELb0ELb0E19rocblas_complex_numIdES1_PKPKS1_PKPS1_EviT_T9_T10_S9_lSB_S9_lSA_T11_S9_li.has_recursion, 0
	.set _ZL29rocblas_internal_gemmt_kernelIiLi16ELi32ELi8ELc84ELc78ELc76ELb0ELb0E19rocblas_complex_numIdES1_PKPKS1_PKPS1_EviT_T9_T10_S9_lSB_S9_lSA_T11_S9_li.has_indirect_call, 0
	.section	.AMDGPU.csdata,"",@progbits
; Kernel info:
; codeLenInByte = 3100
; TotalNumSgprs: 40
; NumVgprs: 62
; NumAgprs: 0
; TotalNumVgprs: 62
; ScratchSize: 0
; MemoryBound: 0
; FloatMode: 240
; IeeeMode: 1
; LDSByteSize: 8192 bytes/workgroup (compile time only)
; SGPRBlocks: 4
; VGPRBlocks: 7
; NumSGPRsForWavesPerEU: 40
; NumVGPRsForWavesPerEU: 62
; AccumOffset: 64
; Occupancy: 8
; WaveLimiterHint : 1
; COMPUTE_PGM_RSRC2:SCRATCH_EN: 0
; COMPUTE_PGM_RSRC2:USER_SGPR: 2
; COMPUTE_PGM_RSRC2:TRAP_HANDLER: 0
; COMPUTE_PGM_RSRC2:TGID_X_EN: 1
; COMPUTE_PGM_RSRC2:TGID_Y_EN: 1
; COMPUTE_PGM_RSRC2:TGID_Z_EN: 1
; COMPUTE_PGM_RSRC2:TIDIG_COMP_CNT: 1
; COMPUTE_PGM_RSRC3_GFX90A:ACCUM_OFFSET: 15
; COMPUTE_PGM_RSRC3_GFX90A:TG_SPLIT: 0
	.section	.text._ZL29rocblas_internal_gemmt_kernelIiLi16ELi32ELi8ELc84ELc84ELc76ELb0ELb0E19rocblas_complex_numIdES1_PKPKS1_PKPS1_EviT_T9_T10_S9_lSB_S9_lSA_T11_S9_li,"axG",@progbits,_ZL29rocblas_internal_gemmt_kernelIiLi16ELi32ELi8ELc84ELc84ELc76ELb0ELb0E19rocblas_complex_numIdES1_PKPKS1_PKPS1_EviT_T9_T10_S9_lSB_S9_lSA_T11_S9_li,comdat
	.globl	_ZL29rocblas_internal_gemmt_kernelIiLi16ELi32ELi8ELc84ELc84ELc76ELb0ELb0E19rocblas_complex_numIdES1_PKPKS1_PKPS1_EviT_T9_T10_S9_lSB_S9_lSA_T11_S9_li ; -- Begin function _ZL29rocblas_internal_gemmt_kernelIiLi16ELi32ELi8ELc84ELc84ELc76ELb0ELb0E19rocblas_complex_numIdES1_PKPKS1_PKPS1_EviT_T9_T10_S9_lSB_S9_lSA_T11_S9_li
	.p2align	8
	.type	_ZL29rocblas_internal_gemmt_kernelIiLi16ELi32ELi8ELc84ELc84ELc76ELb0ELb0E19rocblas_complex_numIdES1_PKPKS1_PKPS1_EviT_T9_T10_S9_lSB_S9_lSA_T11_S9_li,@function
_ZL29rocblas_internal_gemmt_kernelIiLi16ELi32ELi8ELc84ELc84ELc76ELb0ELb0E19rocblas_complex_numIdES1_PKPKS1_PKPS1_EviT_T9_T10_S9_lSB_S9_lSA_T11_S9_li: ; @_ZL29rocblas_internal_gemmt_kernelIiLi16ELi32ELi8ELc84ELc84ELc76ELb0ELb0E19rocblas_complex_numIdES1_PKPKS1_PKPS1_EviT_T9_T10_S9_lSB_S9_lSA_T11_S9_li
; %bb.0:
	s_load_dwordx8 s[8:15], s[0:1], 0x40
	s_load_dwordx2 s[6:7], s[0:1], 0x0
	s_load_dwordx4 s[16:19], s[0:1], 0x8
	s_mov_b64 s[22:23], 0
	s_waitcnt lgkmcnt(0)
	v_cmp_eq_f64_e64 s[24:25], s[10:11], 1.0
	v_cmp_eq_f64_e64 s[20:21], s[12:13], 0
	s_and_b64 s[24:25], s[24:25], s[20:21]
	s_andn2_b64 vcc, exec, s[24:25]
	s_mov_b64 s[24:25], -1
	s_cbranch_vccnz .LBB427_4
; %bb.1:
	s_cmp_lg_u32 s7, 0
	s_cbranch_scc0 .LBB427_3
; %bb.2:
	v_cmp_neq_f64_e64 s[22:23], s[16:17], 0
	v_cmp_neq_f64_e64 s[24:25], s[18:19], 0
	s_or_b64 s[22:23], s[22:23], s[24:25]
.LBB427_3:
	s_mov_b64 s[24:25], s[22:23]
.LBB427_4:
	s_and_b64 vcc, exec, s[24:25]
	s_cbranch_vccz .LBB427_32
; %bb.5:
	s_mov_b32 s5, 0
	s_lshl_b64 s[22:23], s[4:5], 3
	s_add_u32 s14, s14, s22
	s_addc_u32 s15, s15, s23
	s_lshl_b32 s4, s2, 5
	s_lshl_b32 s28, s3, 5
	v_cmp_eq_f64_e64 s[2:3], s[16:17], 0
	v_cmp_eq_f64_e64 s[24:25], s[18:19], 0
	s_load_dwordx2 s[14:15], s[14:15], 0x0
	s_and_b64 s[2:3], s[2:3], s[24:25]
	s_cmp_lt_i32 s7, 1
	s_cselect_b64 s[24:25], -1, 0
	s_or_b64 s[2:3], s[2:3], s[24:25]
	v_and_b32_e32 v24, 0x3ff, v0
	v_bfe_u32 v25, v0, 10, 10
	v_mov_b64_e32 v[20:21], 0
	s_and_b64 vcc, exec, s[2:3]
	v_mov_b64_e32 v[22:23], 0
	v_mov_b64_e32 v[16:17], 0
	;; [unrolled: 1-line block ×7, first 2 shown]
	s_cbranch_vccnz .LBB427_16
; %bb.6:
	s_load_dwordx4 s[24:27], s[0:1], 0x28
	s_load_dword s30, s[0:1], 0x38
	s_load_dwordx2 s[2:3], s[0:1], 0x18
	s_load_dword s29, s[0:1], 0x20
	v_lshl_add_u32 v0, v25, 4, v24
	v_lshrrev_b32_e32 v27, 5, v0
	v_lshrrev_b32_e32 v1, 3, v0
	s_waitcnt lgkmcnt(0)
	s_ashr_i32 s31, s30, 31
	v_and_b32_e32 v0, 31, v0
	s_add_u32 s26, s26, s22
	v_or_b32_e32 v3, s4, v0
	s_addc_u32 s27, s27, s23
	v_and_b32_e32 v26, 7, v24
	s_add_u32 s2, s2, s22
	v_cmp_gt_i32_e32 vcc, s6, v3
	v_lshlrev_b32_e32 v3, 4, v0
	s_addc_u32 s3, s3, s23
	v_lshl_or_b32 v28, v27, 9, v3
	v_lshlrev_b32_e32 v3, 4, v26
	v_add_u32_e32 v2, s28, v1
	s_load_dwordx2 s[22:23], s[2:3], 0x0
	v_lshl_or_b32 v1, v1, 7, v3
	v_add_u32_e32 v29, 0x1000, v1
	v_mov_b32_e32 v1, 0x1000
	v_add_u32_e32 v0, s4, v0
	v_lshl_add_u32 v31, v25, 7, v1
	v_mad_i64_i32 v[0:1], s[34:35], s29, v0, 0
	s_lshl_b64 s[24:25], s[24:25], 4
	s_load_dwordx2 s[26:27], s[26:27], 0x0
	v_lshl_add_u64 v[4:5], v[0:1], 4, s[24:25]
	v_lshlrev_b32_e32 v0, 4, v27
	v_mov_b32_e32 v1, 0
	v_lshl_add_u64 v[4:5], v[4:5], 0, v[0:1]
	s_waitcnt lgkmcnt(0)
	v_lshl_add_u64 v[4:5], s[22:23], 0, v[4:5]
	v_mad_i64_i32 v[6:7], s[22:23], s30, v26, 0
	s_lshl_b64 s[8:9], s[8:9], 4
	v_ashrrev_i32_e32 v3, 31, v2
	v_lshl_add_u64 v[6:7], v[6:7], 4, s[8:9]
	v_cmp_gt_i32_e64 s[2:3], s6, v2
	v_lshl_add_u64 v[2:3], v[2:3], 4, v[6:7]
	v_lshlrev_b32_e32 v30, 4, v24
	v_lshl_add_u64 v[6:7], s[26:27], 0, v[2:3]
	s_lshl_b64 s[8:9], s[30:31], 7
	v_mov_b64_e32 v[8:9], 0
	s_xor_b64 s[22:23], vcc, -1
	s_xor_b64 s[2:3], s[2:3], -1
	s_mov_b64 s[24:25], 0x80
	v_mov_b32_e32 v0, v1
	v_mov_b32_e32 v2, v1
	;; [unrolled: 1-line block ×3, first 2 shown]
	v_mov_b64_e32 v[10:11], 0
	v_mov_b64_e32 v[14:15], 0
	;; [unrolled: 1-line block ×7, first 2 shown]
	s_branch .LBB427_8
.LBB427_7:                              ;   in Loop: Header=BB427_8 Depth=1
	s_or_b64 exec, exec, s[26:27]
	s_waitcnt lgkmcnt(0)
	s_barrier
	ds_read_b128 v[32:35], v30
	ds_read_b128 v[36:39], v31
	ds_read_b128 v[40:43], v31 offset:16
	ds_read_b128 v[44:47], v31 offset:32
	;; [unrolled: 1-line block ×4, first 2 shown]
	s_waitcnt lgkmcnt(4)
	v_mul_f64 v[56:57], v[38:39], v[34:35]
	v_fma_f64 v[56:57], v[36:37], v[32:33], -v[56:57]
	v_mul_f64 v[58:59], v[36:37], v[34:35]
	v_fmac_f64_e32 v[58:59], v[38:39], v[32:33]
	v_add_f64 v[56:57], v[20:21], v[56:57]
	s_waitcnt lgkmcnt(0)
	v_mul_f64 v[20:21], v[38:39], v[54:55]
	v_add_f64 v[58:59], v[58:59], v[22:23]
	v_fma_f64 v[60:61], v[36:37], v[52:53], -v[20:21]
	ds_read_b128 v[20:23], v31 offset:2048
	v_mul_f64 v[36:37], v[36:37], v[54:55]
	v_fmac_f64_e32 v[36:37], v[38:39], v[52:53]
	v_add_f64 v[38:39], v[16:17], v[60:61]
	v_add_f64 v[36:37], v[36:37], v[18:19]
	ds_read_b128 v[16:19], v31 offset:2064
	s_waitcnt lgkmcnt(1)
	v_mul_f64 v[60:61], v[22:23], v[34:35]
	v_fma_f64 v[60:61], v[20:21], v[32:33], -v[60:61]
	v_mul_f64 v[34:35], v[20:21], v[34:35]
	v_fmac_f64_e32 v[34:35], v[22:23], v[32:33]
	v_add_f64 v[32:33], v[12:13], v[60:61]
	v_mul_f64 v[12:13], v[22:23], v[54:55]
	v_add_f64 v[34:35], v[34:35], v[14:15]
	v_fma_f64 v[60:61], v[20:21], v[52:53], -v[12:13]
	v_mul_f64 v[20:21], v[20:21], v[54:55]
	ds_read_b128 v[12:15], v30 offset:512
	v_fmac_f64_e32 v[20:21], v[22:23], v[52:53]
	v_add_f64 v[22:23], v[10:11], v[60:61]
	v_add_f64 v[20:21], v[20:21], v[8:9]
	ds_read_b128 v[8:11], v30 offset:768
	s_waitcnt lgkmcnt(1)
	v_mul_f64 v[52:53], v[42:43], v[14:15]
	v_fma_f64 v[52:53], v[40:41], v[12:13], -v[52:53]
	v_add_f64 v[52:53], v[56:57], v[52:53]
	v_mul_f64 v[54:55], v[40:41], v[14:15]
	s_waitcnt lgkmcnt(0)
	v_mul_f64 v[56:57], v[42:43], v[10:11]
	v_fma_f64 v[56:57], v[40:41], v[8:9], -v[56:57]
	v_mul_f64 v[40:41], v[40:41], v[10:11]
	v_fmac_f64_e32 v[40:41], v[42:43], v[8:9]
	v_add_f64 v[36:37], v[40:41], v[36:37]
	v_mul_f64 v[40:41], v[18:19], v[14:15]
	v_mul_f64 v[14:15], v[16:17], v[14:15]
	v_fmac_f64_e32 v[54:55], v[42:43], v[12:13]
	v_fma_f64 v[40:41], v[16:17], v[12:13], -v[40:41]
	v_fmac_f64_e32 v[14:15], v[18:19], v[12:13]
	v_mul_f64 v[12:13], v[18:19], v[10:11]
	v_add_f64 v[42:43], v[14:15], v[34:35]
	v_fma_f64 v[14:15], v[16:17], v[8:9], -v[12:13]
	v_mul_f64 v[16:17], v[16:17], v[10:11]
	ds_read_b128 v[10:13], v30 offset:1024
	v_fmac_f64_e32 v[16:17], v[18:19], v[8:9]
	v_add_f64 v[38:39], v[38:39], v[56:57]
	v_add_f64 v[22:23], v[22:23], v[14:15]
	;; [unrolled: 1-line block ×3, first 2 shown]
	ds_read_b128 v[14:17], v30 offset:1280
	s_waitcnt lgkmcnt(1)
	v_mul_f64 v[18:19], v[44:45], v[12:13]
	v_add_f64 v[54:55], v[54:55], v[58:59]
	v_fmac_f64_e32 v[18:19], v[46:47], v[10:11]
	v_add_f64 v[54:55], v[18:19], v[54:55]
	ds_read_b128 v[18:21], v31 offset:2080
	v_mul_f64 v[8:9], v[46:47], v[12:13]
	v_fma_f64 v[8:9], v[44:45], v[10:11], -v[8:9]
	v_add_f64 v[40:41], v[32:33], v[40:41]
	v_add_f64 v[52:53], v[52:53], v[8:9]
	s_waitcnt lgkmcnt(1)
	v_mul_f64 v[8:9], v[46:47], v[16:17]
	v_mul_f64 v[32:33], v[44:45], v[16:17]
	v_fma_f64 v[8:9], v[44:45], v[14:15], -v[8:9]
	v_fmac_f64_e32 v[32:33], v[46:47], v[14:15]
	v_add_f64 v[38:39], v[38:39], v[8:9]
	v_add_f64 v[36:37], v[32:33], v[36:37]
	ds_read_b128 v[32:35], v31 offset:2096
	s_waitcnt lgkmcnt(1)
	v_mul_f64 v[8:9], v[20:21], v[12:13]
	v_fma_f64 v[8:9], v[18:19], v[10:11], -v[8:9]
	v_mul_f64 v[12:13], v[18:19], v[12:13]
	v_fmac_f64_e32 v[12:13], v[20:21], v[10:11]
	v_add_f64 v[40:41], v[40:41], v[8:9]
	v_mul_f64 v[8:9], v[20:21], v[16:17]
	v_add_f64 v[42:43], v[12:13], v[42:43]
	v_fma_f64 v[12:13], v[18:19], v[14:15], -v[8:9]
	ds_read_b128 v[8:11], v30 offset:1536
	v_mul_f64 v[16:17], v[18:19], v[16:17]
	v_fmac_f64_e32 v[16:17], v[20:21], v[14:15]
	v_add_f64 v[18:19], v[22:23], v[12:13]
	ds_read_b128 v[12:15], v30 offset:1792
	s_waitcnt lgkmcnt(1)
	v_mul_f64 v[20:21], v[50:51], v[10:11]
	v_fma_f64 v[20:21], v[48:49], v[8:9], -v[20:21]
	v_mul_f64 v[22:23], v[48:49], v[10:11]
	v_fmac_f64_e32 v[22:23], v[50:51], v[8:9]
	v_add_f64 v[44:45], v[52:53], v[20:21]
	s_waitcnt lgkmcnt(0)
	v_mul_f64 v[20:21], v[50:51], v[14:15]
	v_add_f64 v[46:47], v[22:23], v[54:55]
	v_fma_f64 v[20:21], v[48:49], v[12:13], -v[20:21]
	v_mul_f64 v[22:23], v[48:49], v[14:15]
	v_fmac_f64_e32 v[22:23], v[50:51], v[12:13]
	v_add_f64 v[38:39], v[38:39], v[20:21]
	v_mul_f64 v[20:21], v[34:35], v[10:11]
	v_mul_f64 v[10:11], v[32:33], v[10:11]
	v_add_f64 v[36:37], v[22:23], v[36:37]
	v_fma_f64 v[20:21], v[32:33], v[8:9], -v[20:21]
	v_fmac_f64_e32 v[10:11], v[34:35], v[8:9]
	v_mul_f64 v[8:9], v[34:35], v[14:15]
	v_mul_f64 v[22:23], v[32:33], v[14:15]
	v_add_f64 v[40:41], v[40:41], v[20:21]
	v_add_f64 v[42:43], v[10:11], v[42:43]
	v_fma_f64 v[20:21], v[32:33], v[12:13], -v[8:9]
	v_fmac_f64_e32 v[22:23], v[34:35], v[12:13]
	ds_read_b128 v[8:11], v31 offset:64
	ds_read_b128 v[12:15], v30 offset:2048
	v_add_f64 v[16:17], v[16:17], v[56:57]
	v_add_f64 v[48:49], v[18:19], v[20:21]
	;; [unrolled: 1-line block ×3, first 2 shown]
	ds_read_b128 v[16:19], v30 offset:2304
	ds_read_b128 v[20:23], v31 offset:80
	s_waitcnt lgkmcnt(2)
	v_mul_f64 v[32:33], v[10:11], v[14:15]
	v_fma_f64 v[32:33], v[8:9], v[12:13], -v[32:33]
	v_mul_f64 v[34:35], v[8:9], v[14:15]
	v_fmac_f64_e32 v[34:35], v[10:11], v[12:13]
	v_add_f64 v[44:45], v[44:45], v[32:33]
	s_waitcnt lgkmcnt(1)
	v_mul_f64 v[32:33], v[10:11], v[18:19]
	v_add_f64 v[46:47], v[34:35], v[46:47]
	v_fma_f64 v[52:53], v[8:9], v[16:17], -v[32:33]
	ds_read_b128 v[32:35], v31 offset:2112
	v_mul_f64 v[8:9], v[8:9], v[18:19]
	v_fmac_f64_e32 v[8:9], v[10:11], v[16:17]
	v_add_f64 v[38:39], v[38:39], v[52:53]
	v_add_f64 v[36:37], v[8:9], v[36:37]
	ds_read_b128 v[8:11], v31 offset:2128
	s_waitcnt lgkmcnt(1)
	v_mul_f64 v[52:53], v[34:35], v[14:15]
	v_mul_f64 v[14:15], v[32:33], v[14:15]
	v_fma_f64 v[52:53], v[32:33], v[12:13], -v[52:53]
	v_fmac_f64_e32 v[14:15], v[34:35], v[12:13]
	v_mul_f64 v[12:13], v[34:35], v[18:19]
	v_add_f64 v[40:41], v[40:41], v[52:53]
	v_add_f64 v[42:43], v[14:15], v[42:43]
	v_fma_f64 v[52:53], v[32:33], v[16:17], -v[12:13]
	v_mul_f64 v[18:19], v[32:33], v[18:19]
	ds_read_b128 v[12:15], v30 offset:2560
	v_fmac_f64_e32 v[18:19], v[34:35], v[16:17]
	v_add_f64 v[34:35], v[18:19], v[50:51]
	ds_read_b128 v[16:19], v30 offset:2816
	v_add_f64 v[32:33], v[48:49], v[52:53]
	s_waitcnt lgkmcnt(1)
	v_mul_f64 v[48:49], v[22:23], v[14:15]
	v_fma_f64 v[48:49], v[20:21], v[12:13], -v[48:49]
	v_add_f64 v[44:45], v[44:45], v[48:49]
	s_waitcnt lgkmcnt(0)
	v_mul_f64 v[48:49], v[22:23], v[18:19]
	v_mul_f64 v[50:51], v[20:21], v[14:15]
	v_fma_f64 v[48:49], v[20:21], v[16:17], -v[48:49]
	v_mul_f64 v[20:21], v[20:21], v[18:19]
	v_fmac_f64_e32 v[20:21], v[22:23], v[16:17]
	v_add_f64 v[36:37], v[20:21], v[36:37]
	v_mul_f64 v[20:21], v[10:11], v[14:15]
	v_mul_f64 v[14:15], v[8:9], v[14:15]
	v_fmac_f64_e32 v[50:51], v[22:23], v[12:13]
	v_fma_f64 v[20:21], v[8:9], v[12:13], -v[20:21]
	v_fmac_f64_e32 v[14:15], v[10:11], v[12:13]
	v_mul_f64 v[12:13], v[10:11], v[18:19]
	v_mul_f64 v[18:19], v[8:9], v[18:19]
	v_add_f64 v[40:41], v[40:41], v[20:21]
	v_add_f64 v[42:43], v[14:15], v[42:43]
	v_fma_f64 v[20:21], v[8:9], v[16:17], -v[12:13]
	v_fmac_f64_e32 v[18:19], v[10:11], v[16:17]
	ds_read_b128 v[8:11], v31 offset:96
	ds_read_b128 v[12:15], v30 offset:3072
	v_add_f64 v[46:47], v[50:51], v[46:47]
	v_add_f64 v[38:39], v[38:39], v[48:49]
	;; [unrolled: 1-line block ×4, first 2 shown]
	ds_read_b128 v[16:19], v30 offset:3328
	ds_read_b128 v[32:35], v31 offset:112
	s_waitcnt lgkmcnt(2)
	v_mul_f64 v[20:21], v[10:11], v[14:15]
	v_fma_f64 v[20:21], v[8:9], v[12:13], -v[20:21]
	v_mul_f64 v[22:23], v[8:9], v[14:15]
	v_fmac_f64_e32 v[22:23], v[10:11], v[12:13]
	v_add_f64 v[44:45], v[44:45], v[20:21]
	s_waitcnt lgkmcnt(1)
	v_mul_f64 v[20:21], v[10:11], v[18:19]
	v_add_f64 v[46:47], v[22:23], v[46:47]
	v_fma_f64 v[52:53], v[8:9], v[16:17], -v[20:21]
	ds_read_b128 v[20:23], v31 offset:2144
	v_mul_f64 v[8:9], v[8:9], v[18:19]
	v_fmac_f64_e32 v[8:9], v[10:11], v[16:17]
	v_add_f64 v[54:55], v[8:9], v[36:37]
	ds_read_b128 v[8:11], v31 offset:2160
	s_waitcnt lgkmcnt(1)
	v_mul_f64 v[36:37], v[22:23], v[14:15]
	v_mul_f64 v[14:15], v[20:21], v[14:15]
	v_fma_f64 v[36:37], v[20:21], v[12:13], -v[36:37]
	v_fmac_f64_e32 v[14:15], v[22:23], v[12:13]
	v_mul_f64 v[12:13], v[22:23], v[18:19]
	v_add_f64 v[40:41], v[40:41], v[36:37]
	v_add_f64 v[42:43], v[14:15], v[42:43]
	v_fma_f64 v[36:37], v[20:21], v[16:17], -v[12:13]
	ds_read_b128 v[12:15], v30 offset:3584
	v_add_f64 v[52:53], v[38:39], v[52:53]
	v_add_f64 v[48:49], v[48:49], v[36:37]
	ds_read_b128 v[36:39], v30 offset:3840
	v_mul_f64 v[18:19], v[20:21], v[18:19]
	v_fmac_f64_e32 v[18:19], v[22:23], v[16:17]
	s_waitcnt lgkmcnt(1)
	v_mul_f64 v[16:17], v[34:35], v[14:15]
	v_add_f64 v[50:51], v[18:19], v[50:51]
	v_fma_f64 v[16:17], v[32:33], v[12:13], -v[16:17]
	v_mul_f64 v[18:19], v[32:33], v[14:15]
	v_fmac_f64_e32 v[18:19], v[34:35], v[12:13]
	v_add_f64 v[20:21], v[44:45], v[16:17]
	s_waitcnt lgkmcnt(0)
	v_mul_f64 v[16:17], v[34:35], v[38:39]
	v_add_f64 v[22:23], v[18:19], v[46:47]
	v_fma_f64 v[16:17], v[32:33], v[36:37], -v[16:17]
	v_mul_f64 v[18:19], v[32:33], v[38:39]
	v_mul_f64 v[32:33], v[10:11], v[14:15]
	v_fma_f64 v[32:33], v[8:9], v[12:13], -v[32:33]
	v_mul_f64 v[14:15], v[8:9], v[14:15]
	v_fmac_f64_e32 v[14:15], v[10:11], v[12:13]
	v_add_f64 v[12:13], v[40:41], v[32:33]
	v_mul_f64 v[32:33], v[10:11], v[38:39]
	v_fma_f64 v[32:33], v[8:9], v[36:37], -v[32:33]
	v_mul_f64 v[8:9], v[8:9], v[38:39]
	v_fmac_f64_e32 v[18:19], v[34:35], v[36:37]
	v_fmac_f64_e32 v[8:9], v[10:11], v[36:37]
	s_add_i32 s5, s5, 8
	v_add_f64 v[16:17], v[52:53], v[16:17]
	v_add_f64 v[18:19], v[18:19], v[54:55]
	;; [unrolled: 1-line block ×5, first 2 shown]
	v_lshl_add_u64 v[4:5], v[4:5], 0, s[24:25]
	s_cmp_lt_i32 s5, s7
	v_lshl_add_u64 v[6:7], v[6:7], 0, s[8:9]
	s_barrier
	s_cbranch_scc0 .LBB427_16
.LBB427_8:                              ; =>This Inner Loop Header: Depth=1
	v_add_u32_e32 v32, s5, v27
	v_cmp_le_i32_e32 vcc, s7, v32
	s_or_b64 s[26:27], s[22:23], vcc
	s_and_saveexec_b64 s[30:31], s[26:27]
	s_xor_b64 s[26:27], exec, s[30:31]
; %bb.9:                                ;   in Loop: Header=BB427_8 Depth=1
	ds_write_b128 v28, v[0:3]
; %bb.10:                               ;   in Loop: Header=BB427_8 Depth=1
	s_andn2_saveexec_b64 s[26:27], s[26:27]
	s_cbranch_execz .LBB427_12
; %bb.11:                               ;   in Loop: Header=BB427_8 Depth=1
	flat_load_dwordx4 v[32:35], v[4:5]
	s_waitcnt vmcnt(0) lgkmcnt(0)
	ds_write2_b64 v28, v[32:33], v[34:35] offset1:1
.LBB427_12:                             ;   in Loop: Header=BB427_8 Depth=1
	s_or_b64 exec, exec, s[26:27]
	v_add_u32_e32 v32, s5, v26
	v_cmp_le_i32_e32 vcc, s7, v32
	s_or_b64 s[26:27], vcc, s[2:3]
	s_and_saveexec_b64 s[30:31], s[26:27]
	s_xor_b64 s[26:27], exec, s[30:31]
; %bb.13:                               ;   in Loop: Header=BB427_8 Depth=1
	ds_write_b128 v29, v[0:3]
; %bb.14:                               ;   in Loop: Header=BB427_8 Depth=1
	s_andn2_saveexec_b64 s[26:27], s[26:27]
	s_cbranch_execz .LBB427_7
; %bb.15:                               ;   in Loop: Header=BB427_8 Depth=1
	flat_load_dwordx4 v[32:35], v[6:7]
	s_waitcnt vmcnt(0) lgkmcnt(0)
	ds_write2_b64 v29, v[32:33], v[34:35] offset1:1
	s_branch .LBB427_7
.LBB427_16:
	s_load_dwordx2 s[2:3], s[0:1], 0x68
	s_load_dword s22, s[0:1], 0x60
	v_add_u32_e32 v4, s4, v24
	v_add_u32_e32 v26, s28, v25
	v_cmp_neq_f64_e64 s[0:1], s[10:11], 0
	s_waitcnt lgkmcnt(0)
	s_lshl_b64 s[2:3], s[2:3], 4
	s_add_u32 s8, s14, s2
	s_addc_u32 s9, s15, s3
	s_xor_b64 s[4:5], s[20:21], -1
	v_mad_i64_i32 v[0:1], s[2:3], v26, s22, 0
	s_or_b64 s[0:1], s[0:1], s[4:5]
	v_lshl_add_u64 v[24:25], v[0:1], 4, s[8:9]
	v_cmp_le_i32_e32 vcc, v26, v4
	v_cmp_gt_i32_e64 s[2:3], s6, v4
	v_cndmask_b32_e64 v0, 0, 1, s[0:1]
	s_and_b64 s[14:15], vcc, s[2:3]
	v_ashrrev_i32_e32 v5, 31, v4
	v_cmp_ne_u32_e64 s[0:1], 1, v0
	s_and_saveexec_b64 s[4:5], s[14:15]
	s_cbranch_execz .LBB427_20
; %bb.17:
	v_mul_f64 v[0:1], s[18:19], v[22:23]
	v_mul_f64 v[2:3], s[16:17], v[22:23]
	v_fma_f64 v[0:1], s[16:17], v[20:21], -v[0:1]
	v_fmac_f64_e32 v[2:3], s[18:19], v[20:21]
	s_and_b64 vcc, exec, s[0:1]
	v_lshl_add_u64 v[6:7], v[4:5], 4, v[24:25]
	s_cbranch_vccnz .LBB427_19
; %bb.18:
	flat_load_dwordx4 v[20:23], v[6:7]
	s_waitcnt vmcnt(0) lgkmcnt(0)
	v_mul_f64 v[28:29], s[12:13], v[22:23]
	v_mul_f64 v[22:23], s[10:11], v[22:23]
	v_fma_f64 v[28:29], s[10:11], v[20:21], -v[28:29]
	v_fmac_f64_e32 v[22:23], s[12:13], v[20:21]
	v_add_f64 v[0:1], v[0:1], v[28:29]
	v_add_f64 v[2:3], v[2:3], v[22:23]
.LBB427_19:
	flat_store_dwordx4 v[6:7], v[0:3]
.LBB427_20:
	s_or_b64 exec, exec, s[4:5]
	v_add_u32_e32 v6, 16, v4
	v_cmp_le_i32_e32 vcc, v26, v6
	v_cmp_gt_i32_e64 s[4:5], s6, v6
	s_and_b64 s[14:15], vcc, s[4:5]
	v_ashrrev_i32_e32 v7, 31, v6
	s_and_saveexec_b64 s[6:7], s[14:15]
	s_cbranch_execz .LBB427_24
; %bb.21:
	v_mul_f64 v[0:1], s[18:19], v[18:19]
	v_mul_f64 v[2:3], s[16:17], v[18:19]
	v_fma_f64 v[0:1], s[16:17], v[16:17], -v[0:1]
	v_fmac_f64_e32 v[2:3], s[18:19], v[16:17]
	s_and_b64 vcc, exec, s[0:1]
	v_lshl_add_u64 v[16:17], v[6:7], 4, v[24:25]
	s_cbranch_vccnz .LBB427_23
; %bb.22:
	flat_load_dwordx4 v[18:21], v[16:17]
	s_waitcnt vmcnt(0) lgkmcnt(0)
	v_mul_f64 v[22:23], s[12:13], v[20:21]
	v_mul_f64 v[20:21], s[10:11], v[20:21]
	v_fma_f64 v[22:23], s[10:11], v[18:19], -v[22:23]
	v_fmac_f64_e32 v[20:21], s[12:13], v[18:19]
	v_add_f64 v[0:1], v[0:1], v[22:23]
	v_add_f64 v[2:3], v[2:3], v[20:21]
.LBB427_23:
	flat_store_dwordx4 v[16:17], v[0:3]
.LBB427_24:
	s_or_b64 exec, exec, s[6:7]
	v_add_u32_e32 v18, 16, v26
	v_mad_i64_i32 v[0:1], s[6:7], v18, s22, 0
	v_cmp_le_i32_e32 vcc, v18, v4
	v_lshl_add_u64 v[16:17], v[0:1], 4, s[8:9]
	s_and_b64 s[6:7], vcc, s[2:3]
	s_and_saveexec_b64 s[2:3], s[6:7]
	s_cbranch_execz .LBB427_28
; %bb.25:
	v_mul_f64 v[0:1], s[18:19], v[14:15]
	v_mul_f64 v[2:3], s[16:17], v[14:15]
	v_fma_f64 v[0:1], s[16:17], v[12:13], -v[0:1]
	v_fmac_f64_e32 v[2:3], s[18:19], v[12:13]
	s_and_b64 vcc, exec, s[0:1]
	v_lshl_add_u64 v[4:5], v[4:5], 4, v[16:17]
	s_cbranch_vccnz .LBB427_27
; %bb.26:
	flat_load_dwordx4 v[12:15], v[4:5]
	s_waitcnt vmcnt(0) lgkmcnt(0)
	v_mul_f64 v[20:21], s[12:13], v[14:15]
	v_mul_f64 v[14:15], s[10:11], v[14:15]
	v_fma_f64 v[20:21], s[10:11], v[12:13], -v[20:21]
	v_fmac_f64_e32 v[14:15], s[12:13], v[12:13]
	v_add_f64 v[0:1], v[0:1], v[20:21]
	v_add_f64 v[2:3], v[2:3], v[14:15]
.LBB427_27:
	flat_store_dwordx4 v[4:5], v[0:3]
.LBB427_28:
	s_or_b64 exec, exec, s[2:3]
	v_cmp_le_i32_e32 vcc, v18, v6
	s_and_b64 s[2:3], vcc, s[4:5]
	s_and_saveexec_b64 s[4:5], s[2:3]
	s_cbranch_execz .LBB427_32
; %bb.29:
	v_mul_f64 v[0:1], s[18:19], v[8:9]
	v_mul_f64 v[2:3], s[16:17], v[8:9]
	v_fma_f64 v[0:1], s[16:17], v[10:11], -v[0:1]
	v_fmac_f64_e32 v[2:3], s[18:19], v[10:11]
	s_and_b64 vcc, exec, s[0:1]
	v_lshl_add_u64 v[4:5], v[6:7], 4, v[16:17]
	s_cbranch_vccnz .LBB427_31
; %bb.30:
	flat_load_dwordx4 v[6:9], v[4:5]
	s_waitcnt vmcnt(0) lgkmcnt(0)
	v_mul_f64 v[10:11], s[12:13], v[8:9]
	v_mul_f64 v[8:9], s[10:11], v[8:9]
	v_fma_f64 v[10:11], s[10:11], v[6:7], -v[10:11]
	v_fmac_f64_e32 v[8:9], s[12:13], v[6:7]
	v_add_f64 v[0:1], v[0:1], v[10:11]
	v_add_f64 v[2:3], v[2:3], v[8:9]
.LBB427_31:
	flat_store_dwordx4 v[4:5], v[0:3]
.LBB427_32:
	s_endpgm
	.section	.rodata,"a",@progbits
	.p2align	6, 0x0
	.amdhsa_kernel _ZL29rocblas_internal_gemmt_kernelIiLi16ELi32ELi8ELc84ELc84ELc76ELb0ELb0E19rocblas_complex_numIdES1_PKPKS1_PKPS1_EviT_T9_T10_S9_lSB_S9_lSA_T11_S9_li
		.amdhsa_group_segment_fixed_size 8192
		.amdhsa_private_segment_fixed_size 0
		.amdhsa_kernarg_size 116
		.amdhsa_user_sgpr_count 2
		.amdhsa_user_sgpr_dispatch_ptr 0
		.amdhsa_user_sgpr_queue_ptr 0
		.amdhsa_user_sgpr_kernarg_segment_ptr 1
		.amdhsa_user_sgpr_dispatch_id 0
		.amdhsa_user_sgpr_kernarg_preload_length 0
		.amdhsa_user_sgpr_kernarg_preload_offset 0
		.amdhsa_user_sgpr_private_segment_size 0
		.amdhsa_uses_dynamic_stack 0
		.amdhsa_enable_private_segment 0
		.amdhsa_system_sgpr_workgroup_id_x 1
		.amdhsa_system_sgpr_workgroup_id_y 1
		.amdhsa_system_sgpr_workgroup_id_z 1
		.amdhsa_system_sgpr_workgroup_info 0
		.amdhsa_system_vgpr_workitem_id 1
		.amdhsa_next_free_vgpr 62
		.amdhsa_next_free_sgpr 36
		.amdhsa_accum_offset 64
		.amdhsa_reserve_vcc 1
		.amdhsa_float_round_mode_32 0
		.amdhsa_float_round_mode_16_64 0
		.amdhsa_float_denorm_mode_32 3
		.amdhsa_float_denorm_mode_16_64 3
		.amdhsa_dx10_clamp 1
		.amdhsa_ieee_mode 1
		.amdhsa_fp16_overflow 0
		.amdhsa_tg_split 0
		.amdhsa_exception_fp_ieee_invalid_op 0
		.amdhsa_exception_fp_denorm_src 0
		.amdhsa_exception_fp_ieee_div_zero 0
		.amdhsa_exception_fp_ieee_overflow 0
		.amdhsa_exception_fp_ieee_underflow 0
		.amdhsa_exception_fp_ieee_inexact 0
		.amdhsa_exception_int_div_zero 0
	.end_amdhsa_kernel
	.section	.text._ZL29rocblas_internal_gemmt_kernelIiLi16ELi32ELi8ELc84ELc84ELc76ELb0ELb0E19rocblas_complex_numIdES1_PKPKS1_PKPS1_EviT_T9_T10_S9_lSB_S9_lSA_T11_S9_li,"axG",@progbits,_ZL29rocblas_internal_gemmt_kernelIiLi16ELi32ELi8ELc84ELc84ELc76ELb0ELb0E19rocblas_complex_numIdES1_PKPKS1_PKPS1_EviT_T9_T10_S9_lSB_S9_lSA_T11_S9_li,comdat
.Lfunc_end427:
	.size	_ZL29rocblas_internal_gemmt_kernelIiLi16ELi32ELi8ELc84ELc84ELc76ELb0ELb0E19rocblas_complex_numIdES1_PKPKS1_PKPS1_EviT_T9_T10_S9_lSB_S9_lSA_T11_S9_li, .Lfunc_end427-_ZL29rocblas_internal_gemmt_kernelIiLi16ELi32ELi8ELc84ELc84ELc76ELb0ELb0E19rocblas_complex_numIdES1_PKPKS1_PKPS1_EviT_T9_T10_S9_lSB_S9_lSA_T11_S9_li
                                        ; -- End function
	.set _ZL29rocblas_internal_gemmt_kernelIiLi16ELi32ELi8ELc84ELc84ELc76ELb0ELb0E19rocblas_complex_numIdES1_PKPKS1_PKPS1_EviT_T9_T10_S9_lSB_S9_lSA_T11_S9_li.num_vgpr, 62
	.set _ZL29rocblas_internal_gemmt_kernelIiLi16ELi32ELi8ELc84ELc84ELc76ELb0ELb0E19rocblas_complex_numIdES1_PKPKS1_PKPS1_EviT_T9_T10_S9_lSB_S9_lSA_T11_S9_li.num_agpr, 0
	.set _ZL29rocblas_internal_gemmt_kernelIiLi16ELi32ELi8ELc84ELc84ELc76ELb0ELb0E19rocblas_complex_numIdES1_PKPKS1_PKPS1_EviT_T9_T10_S9_lSB_S9_lSA_T11_S9_li.numbered_sgpr, 36
	.set _ZL29rocblas_internal_gemmt_kernelIiLi16ELi32ELi8ELc84ELc84ELc76ELb0ELb0E19rocblas_complex_numIdES1_PKPKS1_PKPS1_EviT_T9_T10_S9_lSB_S9_lSA_T11_S9_li.num_named_barrier, 0
	.set _ZL29rocblas_internal_gemmt_kernelIiLi16ELi32ELi8ELc84ELc84ELc76ELb0ELb0E19rocblas_complex_numIdES1_PKPKS1_PKPS1_EviT_T9_T10_S9_lSB_S9_lSA_T11_S9_li.private_seg_size, 0
	.set _ZL29rocblas_internal_gemmt_kernelIiLi16ELi32ELi8ELc84ELc84ELc76ELb0ELb0E19rocblas_complex_numIdES1_PKPKS1_PKPS1_EviT_T9_T10_S9_lSB_S9_lSA_T11_S9_li.uses_vcc, 1
	.set _ZL29rocblas_internal_gemmt_kernelIiLi16ELi32ELi8ELc84ELc84ELc76ELb0ELb0E19rocblas_complex_numIdES1_PKPKS1_PKPS1_EviT_T9_T10_S9_lSB_S9_lSA_T11_S9_li.uses_flat_scratch, 0
	.set _ZL29rocblas_internal_gemmt_kernelIiLi16ELi32ELi8ELc84ELc84ELc76ELb0ELb0E19rocblas_complex_numIdES1_PKPKS1_PKPS1_EviT_T9_T10_S9_lSB_S9_lSA_T11_S9_li.has_dyn_sized_stack, 0
	.set _ZL29rocblas_internal_gemmt_kernelIiLi16ELi32ELi8ELc84ELc84ELc76ELb0ELb0E19rocblas_complex_numIdES1_PKPKS1_PKPS1_EviT_T9_T10_S9_lSB_S9_lSA_T11_S9_li.has_recursion, 0
	.set _ZL29rocblas_internal_gemmt_kernelIiLi16ELi32ELi8ELc84ELc84ELc76ELb0ELb0E19rocblas_complex_numIdES1_PKPKS1_PKPS1_EviT_T9_T10_S9_lSB_S9_lSA_T11_S9_li.has_indirect_call, 0
	.section	.AMDGPU.csdata,"",@progbits
; Kernel info:
; codeLenInByte = 3108
; TotalNumSgprs: 42
; NumVgprs: 62
; NumAgprs: 0
; TotalNumVgprs: 62
; ScratchSize: 0
; MemoryBound: 0
; FloatMode: 240
; IeeeMode: 1
; LDSByteSize: 8192 bytes/workgroup (compile time only)
; SGPRBlocks: 5
; VGPRBlocks: 7
; NumSGPRsForWavesPerEU: 42
; NumVGPRsForWavesPerEU: 62
; AccumOffset: 64
; Occupancy: 8
; WaveLimiterHint : 1
; COMPUTE_PGM_RSRC2:SCRATCH_EN: 0
; COMPUTE_PGM_RSRC2:USER_SGPR: 2
; COMPUTE_PGM_RSRC2:TRAP_HANDLER: 0
; COMPUTE_PGM_RSRC2:TGID_X_EN: 1
; COMPUTE_PGM_RSRC2:TGID_Y_EN: 1
; COMPUTE_PGM_RSRC2:TGID_Z_EN: 1
; COMPUTE_PGM_RSRC2:TIDIG_COMP_CNT: 1
; COMPUTE_PGM_RSRC3_GFX90A:ACCUM_OFFSET: 15
; COMPUTE_PGM_RSRC3_GFX90A:TG_SPLIT: 0
	.section	.text._ZL29rocblas_internal_gemmt_kernelIiLi16ELi32ELi8ELc84ELc67ELc76ELb0ELb1E19rocblas_complex_numIdES1_PKPKS1_PKPS1_EviT_T9_T10_S9_lSB_S9_lSA_T11_S9_li,"axG",@progbits,_ZL29rocblas_internal_gemmt_kernelIiLi16ELi32ELi8ELc84ELc67ELc76ELb0ELb1E19rocblas_complex_numIdES1_PKPKS1_PKPS1_EviT_T9_T10_S9_lSB_S9_lSA_T11_S9_li,comdat
	.globl	_ZL29rocblas_internal_gemmt_kernelIiLi16ELi32ELi8ELc84ELc67ELc76ELb0ELb1E19rocblas_complex_numIdES1_PKPKS1_PKPS1_EviT_T9_T10_S9_lSB_S9_lSA_T11_S9_li ; -- Begin function _ZL29rocblas_internal_gemmt_kernelIiLi16ELi32ELi8ELc84ELc67ELc76ELb0ELb1E19rocblas_complex_numIdES1_PKPKS1_PKPS1_EviT_T9_T10_S9_lSB_S9_lSA_T11_S9_li
	.p2align	8
	.type	_ZL29rocblas_internal_gemmt_kernelIiLi16ELi32ELi8ELc84ELc67ELc76ELb0ELb1E19rocblas_complex_numIdES1_PKPKS1_PKPS1_EviT_T9_T10_S9_lSB_S9_lSA_T11_S9_li,@function
_ZL29rocblas_internal_gemmt_kernelIiLi16ELi32ELi8ELc84ELc67ELc76ELb0ELb1E19rocblas_complex_numIdES1_PKPKS1_PKPS1_EviT_T9_T10_S9_lSB_S9_lSA_T11_S9_li: ; @_ZL29rocblas_internal_gemmt_kernelIiLi16ELi32ELi8ELc84ELc67ELc76ELb0ELb1E19rocblas_complex_numIdES1_PKPKS1_PKPS1_EviT_T9_T10_S9_lSB_S9_lSA_T11_S9_li
; %bb.0:
	s_load_dwordx8 s[8:15], s[0:1], 0x40
	s_load_dwordx2 s[6:7], s[0:1], 0x0
	s_load_dwordx4 s[16:19], s[0:1], 0x8
	s_mov_b64 s[22:23], 0
	s_waitcnt lgkmcnt(0)
	v_cmp_eq_f64_e64 s[24:25], s[10:11], 1.0
	v_cmp_eq_f64_e64 s[20:21], s[12:13], 0
	s_and_b64 s[24:25], s[24:25], s[20:21]
	s_andn2_b64 vcc, exec, s[24:25]
	s_mov_b64 s[24:25], -1
	s_cbranch_vccnz .LBB428_4
; %bb.1:
	s_cmp_lg_u32 s7, 0
	s_cbranch_scc0 .LBB428_3
; %bb.2:
	v_cmp_neq_f64_e64 s[22:23], s[16:17], 0
	v_cmp_neq_f64_e64 s[24:25], s[18:19], 0
	s_or_b64 s[22:23], s[22:23], s[24:25]
.LBB428_3:
	s_mov_b64 s[24:25], s[22:23]
.LBB428_4:
	s_and_b64 vcc, exec, s[24:25]
	s_cbranch_vccz .LBB428_30
; %bb.5:
	s_mov_b32 s5, 0
	s_lshl_b64 s[22:23], s[4:5], 3
	s_add_u32 s14, s14, s22
	s_addc_u32 s15, s15, s23
	s_lshl_b32 s4, s2, 5
	s_lshl_b32 s26, s3, 5
	v_cmp_eq_f64_e64 s[2:3], s[16:17], 0
	v_cmp_eq_f64_e64 s[24:25], s[18:19], 0
	s_load_dwordx2 s[14:15], s[14:15], 0x0
	s_and_b64 s[2:3], s[2:3], s[24:25]
	s_cmp_lt_i32 s7, 1
	s_cselect_b64 s[24:25], -1, 0
	s_or_b64 s[2:3], s[2:3], s[24:25]
	v_and_b32_e32 v28, 0x3ff, v0
	v_bfe_u32 v29, v0, 10, 10
	v_mov_b64_e32 v[24:25], 0
	s_and_b64 vcc, exec, s[2:3]
	v_mov_b64_e32 v[26:27], 0
	v_mov_b64_e32 v[20:21], 0
	;; [unrolled: 1-line block ×7, first 2 shown]
	s_cbranch_vccnz .LBB428_14
; %bb.6:
	s_load_dwordx4 s[28:31], s[0:1], 0x28
	s_load_dword s24, s[0:1], 0x38
	s_load_dwordx2 s[2:3], s[0:1], 0x18
	s_load_dword s27, s[0:1], 0x20
	v_lshl_add_u32 v0, v29, 4, v28
	v_lshrrev_b32_e32 v31, 5, v0
	v_lshrrev_b32_e32 v1, 3, v0
	s_waitcnt lgkmcnt(0)
	s_ashr_i32 s25, s24, 31
	s_add_u32 s30, s30, s22
	s_addc_u32 s31, s31, s23
	v_and_b32_e32 v0, 31, v0
	s_add_u32 s2, s2, s22
	v_or_b32_e32 v3, s4, v0
	s_addc_u32 s3, s3, s23
	v_and_b32_e32 v30, 7, v28
	s_load_dwordx2 s[22:23], s[2:3], 0x0
	v_cmp_gt_i32_e64 s[2:3], s6, v3
	v_lshlrev_b32_e32 v3, 4, v0
	v_lshl_or_b32 v32, v31, 9, v3
	v_lshlrev_b32_e32 v3, 4, v30
	v_add_u32_e32 v2, s26, v1
	v_lshl_or_b32 v1, v1, 7, v3
	v_add_u32_e32 v33, 0x1000, v1
	v_mov_b32_e32 v1, 0x1000
	v_add_u32_e32 v0, s4, v0
	v_lshl_add_u32 v35, v29, 7, v1
	v_mad_i64_i32 v[0:1], s[34:35], s27, v0, 0
	s_lshl_b64 s[28:29], s[28:29], 4
	s_load_dwordx2 s[30:31], s[30:31], 0x0
	v_lshl_add_u64 v[4:5], v[0:1], 4, s[28:29]
	v_lshlrev_b32_e32 v0, 4, v31
	v_mov_b32_e32 v1, 0
	v_lshl_add_u64 v[4:5], v[4:5], 0, v[0:1]
	s_waitcnt lgkmcnt(0)
	v_lshl_add_u64 v[8:9], s[22:23], 0, v[4:5]
	v_mad_i64_i32 v[4:5], s[22:23], s24, v30, 0
	s_lshl_b64 s[8:9], s[8:9], 4
	v_ashrrev_i32_e32 v3, 31, v2
	v_lshl_add_u64 v[4:5], v[4:5], 4, s[8:9]
	v_cmp_gt_i32_e32 vcc, s6, v2
	v_lshl_add_u64 v[2:3], v[2:3], 4, v[4:5]
	v_lshlrev_b32_e32 v34, 4, v28
	v_lshl_add_u64 v[10:11], s[30:31], 0, v[2:3]
	s_lshl_b64 s[8:9], s[24:25], 7
	v_mov_b64_e32 v[12:13], 0
	s_xor_b64 s[22:23], s[2:3], -1
	s_mov_b64 s[24:25], 0x80
	v_mov_b32_e32 v0, v1
	v_mov_b32_e32 v2, v1
	v_mov_b32_e32 v3, v1
	v_mov_b64_e32 v[14:15], 0
	v_mov_b64_e32 v[18:19], 0
	v_mov_b64_e32 v[16:17], 0
	v_mov_b64_e32 v[22:23], 0
	v_mov_b64_e32 v[20:21], 0
	v_mov_b64_e32 v[26:27], 0
	v_mov_b64_e32 v[24:25], 0
	s_branch .LBB428_8
.LBB428_7:                              ;   in Loop: Header=BB428_8 Depth=1
	s_or_b64 exec, exec, s[2:3]
	ds_write_b128 v33, v[4:7]
	s_waitcnt lgkmcnt(0)
	s_barrier
	ds_read_b128 v[4:7], v34
	ds_read_b128 v[36:39], v35
	ds_read_b128 v[40:43], v35 offset:16
	ds_read_b128 v[44:47], v35 offset:32
	;; [unrolled: 1-line block ×4, first 2 shown]
	s_waitcnt lgkmcnt(4)
	v_mul_f64 v[56:57], v[38:39], v[6:7]
	v_fma_f64 v[56:57], v[36:37], v[4:5], -v[56:57]
	v_mul_f64 v[58:59], v[36:37], v[6:7]
	v_fmac_f64_e32 v[58:59], v[38:39], v[4:5]
	v_add_f64 v[56:57], v[24:25], v[56:57]
	s_waitcnt lgkmcnt(0)
	v_mul_f64 v[24:25], v[38:39], v[54:55]
	v_add_f64 v[58:59], v[58:59], v[26:27]
	v_fma_f64 v[60:61], v[36:37], v[52:53], -v[24:25]
	ds_read_b128 v[24:27], v35 offset:2048
	v_mul_f64 v[36:37], v[36:37], v[54:55]
	v_fmac_f64_e32 v[36:37], v[38:39], v[52:53]
	v_add_f64 v[38:39], v[20:21], v[60:61]
	v_add_f64 v[36:37], v[36:37], v[22:23]
	ds_read_b128 v[20:23], v35 offset:2064
	s_waitcnt lgkmcnt(1)
	v_mul_f64 v[60:61], v[26:27], v[6:7]
	v_mul_f64 v[6:7], v[24:25], v[6:7]
	v_fma_f64 v[60:61], v[24:25], v[4:5], -v[60:61]
	v_fmac_f64_e32 v[6:7], v[26:27], v[4:5]
	v_mul_f64 v[4:5], v[26:27], v[54:55]
	v_add_f64 v[16:17], v[16:17], v[60:61]
	v_add_f64 v[18:19], v[6:7], v[18:19]
	v_fma_f64 v[60:61], v[24:25], v[52:53], -v[4:5]
	v_mul_f64 v[24:25], v[24:25], v[54:55]
	ds_read_b128 v[4:7], v34 offset:512
	v_fmac_f64_e32 v[24:25], v[26:27], v[52:53]
	v_add_f64 v[26:27], v[14:15], v[60:61]
	v_add_f64 v[24:25], v[24:25], v[12:13]
	ds_read_b128 v[12:15], v34 offset:768
	s_waitcnt lgkmcnt(1)
	v_mul_f64 v[52:53], v[42:43], v[6:7]
	v_fma_f64 v[52:53], v[40:41], v[4:5], -v[52:53]
	v_add_f64 v[52:53], v[56:57], v[52:53]
	v_mul_f64 v[54:55], v[40:41], v[6:7]
	s_waitcnt lgkmcnt(0)
	v_mul_f64 v[56:57], v[42:43], v[14:15]
	v_fma_f64 v[56:57], v[40:41], v[12:13], -v[56:57]
	v_mul_f64 v[40:41], v[40:41], v[14:15]
	v_fmac_f64_e32 v[40:41], v[42:43], v[12:13]
	v_add_f64 v[36:37], v[40:41], v[36:37]
	v_mul_f64 v[40:41], v[22:23], v[6:7]
	v_mul_f64 v[6:7], v[20:21], v[6:7]
	v_fmac_f64_e32 v[54:55], v[42:43], v[4:5]
	v_fma_f64 v[40:41], v[20:21], v[4:5], -v[40:41]
	v_fmac_f64_e32 v[6:7], v[22:23], v[4:5]
	v_mul_f64 v[4:5], v[22:23], v[14:15]
	v_add_f64 v[40:41], v[16:17], v[40:41]
	v_add_f64 v[42:43], v[6:7], v[18:19]
	v_fma_f64 v[16:17], v[20:21], v[12:13], -v[4:5]
	v_mul_f64 v[14:15], v[20:21], v[14:15]
	ds_read_b128 v[4:7], v34 offset:1024
	v_fmac_f64_e32 v[14:15], v[22:23], v[12:13]
	v_add_f64 v[24:25], v[14:15], v[24:25]
	ds_read_b128 v[12:15], v34 offset:1280
	v_add_f64 v[26:27], v[26:27], v[16:17]
	s_waitcnt lgkmcnt(1)
	v_mul_f64 v[16:17], v[46:47], v[6:7]
	v_fma_f64 v[16:17], v[44:45], v[4:5], -v[16:17]
	v_mul_f64 v[18:19], v[44:45], v[6:7]
	v_add_f64 v[54:55], v[54:55], v[58:59]
	v_fmac_f64_e32 v[18:19], v[46:47], v[4:5]
	v_add_f64 v[52:53], v[52:53], v[16:17]
	s_waitcnt lgkmcnt(0)
	v_mul_f64 v[16:17], v[46:47], v[14:15]
	v_add_f64 v[54:55], v[18:19], v[54:55]
	v_fma_f64 v[20:21], v[44:45], v[12:13], -v[16:17]
	ds_read_b128 v[16:19], v35 offset:2080
	v_mul_f64 v[22:23], v[44:45], v[14:15]
	v_add_f64 v[38:39], v[38:39], v[56:57]
	v_fmac_f64_e32 v[22:23], v[46:47], v[12:13]
	v_add_f64 v[38:39], v[38:39], v[20:21]
	v_add_f64 v[36:37], v[22:23], v[36:37]
	ds_read_b128 v[20:23], v35 offset:2096
	s_waitcnt lgkmcnt(1)
	v_mul_f64 v[44:45], v[18:19], v[6:7]
	v_mul_f64 v[6:7], v[16:17], v[6:7]
	v_fma_f64 v[44:45], v[16:17], v[4:5], -v[44:45]
	v_fmac_f64_e32 v[6:7], v[18:19], v[4:5]
	v_mul_f64 v[4:5], v[18:19], v[14:15]
	v_mul_f64 v[14:15], v[16:17], v[14:15]
	v_fmac_f64_e32 v[14:15], v[18:19], v[12:13]
	v_add_f64 v[40:41], v[40:41], v[44:45]
	v_add_f64 v[42:43], v[6:7], v[42:43]
	v_fma_f64 v[44:45], v[16:17], v[12:13], -v[4:5]
	ds_read_b128 v[4:7], v34 offset:1536
	v_add_f64 v[18:19], v[14:15], v[24:25]
	ds_read_b128 v[12:15], v34 offset:1792
	v_add_f64 v[16:17], v[26:27], v[44:45]
	s_add_i32 s5, s5, 8
	s_waitcnt lgkmcnt(1)
	v_mul_f64 v[24:25], v[50:51], v[6:7]
	v_mul_f64 v[26:27], v[48:49], v[6:7]
	s_waitcnt lgkmcnt(0)
	v_mul_f64 v[44:45], v[50:51], v[14:15]
	v_fma_f64 v[44:45], v[48:49], v[12:13], -v[44:45]
	v_add_f64 v[38:39], v[38:39], v[44:45]
	v_mul_f64 v[44:45], v[22:23], v[6:7]
	v_mul_f64 v[6:7], v[20:21], v[6:7]
	v_fma_f64 v[24:25], v[48:49], v[4:5], -v[24:25]
	v_fmac_f64_e32 v[26:27], v[50:51], v[4:5]
	v_fma_f64 v[44:45], v[20:21], v[4:5], -v[44:45]
	v_fmac_f64_e32 v[6:7], v[22:23], v[4:5]
	v_mul_f64 v[4:5], v[22:23], v[14:15]
	v_mul_f64 v[46:47], v[48:49], v[14:15]
	v_add_f64 v[40:41], v[40:41], v[44:45]
	v_fma_f64 v[44:45], v[20:21], v[12:13], -v[4:5]
	v_mul_f64 v[20:21], v[20:21], v[14:15]
	v_fmac_f64_e32 v[46:47], v[50:51], v[12:13]
	v_add_f64 v[42:43], v[6:7], v[42:43]
	v_fmac_f64_e32 v[20:21], v[22:23], v[12:13]
	ds_read_b128 v[4:7], v35 offset:64
	ds_read_b128 v[12:15], v34 offset:2048
	v_add_f64 v[36:37], v[46:47], v[36:37]
	v_add_f64 v[44:45], v[16:17], v[44:45]
	;; [unrolled: 1-line block ×3, first 2 shown]
	ds_read_b128 v[16:19], v34 offset:2304
	ds_read_b128 v[20:23], v35 offset:80
	s_waitcnt lgkmcnt(2)
	v_mul_f64 v[48:49], v[6:7], v[14:15]
	v_add_f64 v[24:25], v[52:53], v[24:25]
	v_fma_f64 v[48:49], v[4:5], v[12:13], -v[48:49]
	v_mul_f64 v[50:51], v[4:5], v[14:15]
	v_add_f64 v[26:27], v[26:27], v[54:55]
	v_fmac_f64_e32 v[50:51], v[6:7], v[12:13]
	v_add_f64 v[48:49], v[24:25], v[48:49]
	s_waitcnt lgkmcnt(1)
	v_mul_f64 v[24:25], v[6:7], v[18:19]
	v_add_f64 v[50:51], v[50:51], v[26:27]
	v_fma_f64 v[52:53], v[4:5], v[16:17], -v[24:25]
	ds_read_b128 v[24:27], v35 offset:2112
	v_mul_f64 v[4:5], v[4:5], v[18:19]
	v_fmac_f64_e32 v[4:5], v[6:7], v[16:17]
	v_add_f64 v[38:39], v[38:39], v[52:53]
	v_add_f64 v[36:37], v[4:5], v[36:37]
	ds_read_b128 v[4:7], v35 offset:2128
	s_waitcnt lgkmcnt(1)
	v_mul_f64 v[52:53], v[26:27], v[14:15]
	v_mul_f64 v[14:15], v[24:25], v[14:15]
	v_fma_f64 v[52:53], v[24:25], v[12:13], -v[52:53]
	v_fmac_f64_e32 v[14:15], v[26:27], v[12:13]
	v_mul_f64 v[12:13], v[26:27], v[18:19]
	v_add_f64 v[40:41], v[40:41], v[52:53]
	v_add_f64 v[42:43], v[14:15], v[42:43]
	v_fma_f64 v[52:53], v[24:25], v[16:17], -v[12:13]
	v_mul_f64 v[18:19], v[24:25], v[18:19]
	ds_read_b128 v[12:15], v34 offset:2560
	v_fmac_f64_e32 v[18:19], v[26:27], v[16:17]
	v_add_f64 v[26:27], v[18:19], v[46:47]
	ds_read_b128 v[16:19], v34 offset:2816
	v_add_f64 v[24:25], v[44:45], v[52:53]
	s_waitcnt lgkmcnt(1)
	v_mul_f64 v[44:45], v[22:23], v[14:15]
	v_fma_f64 v[44:45], v[20:21], v[12:13], -v[44:45]
	v_add_f64 v[44:45], v[48:49], v[44:45]
	s_waitcnt lgkmcnt(0)
	v_mul_f64 v[48:49], v[22:23], v[18:19]
	v_mul_f64 v[46:47], v[20:21], v[14:15]
	v_fma_f64 v[48:49], v[20:21], v[16:17], -v[48:49]
	v_mul_f64 v[20:21], v[20:21], v[18:19]
	v_fmac_f64_e32 v[20:21], v[22:23], v[16:17]
	v_add_f64 v[36:37], v[20:21], v[36:37]
	v_mul_f64 v[20:21], v[6:7], v[14:15]
	v_mul_f64 v[14:15], v[4:5], v[14:15]
	v_fmac_f64_e32 v[46:47], v[22:23], v[12:13]
	v_fma_f64 v[20:21], v[4:5], v[12:13], -v[20:21]
	v_fmac_f64_e32 v[14:15], v[6:7], v[12:13]
	v_mul_f64 v[12:13], v[6:7], v[18:19]
	v_mul_f64 v[18:19], v[4:5], v[18:19]
	v_add_f64 v[40:41], v[40:41], v[20:21]
	v_add_f64 v[42:43], v[14:15], v[42:43]
	v_fma_f64 v[20:21], v[4:5], v[16:17], -v[12:13]
	v_fmac_f64_e32 v[18:19], v[6:7], v[16:17]
	ds_read_b128 v[4:7], v35 offset:96
	ds_read_b128 v[12:15], v34 offset:3072
	v_add_f64 v[46:47], v[46:47], v[50:51]
	v_add_f64 v[38:39], v[38:39], v[48:49]
	;; [unrolled: 1-line block ×4, first 2 shown]
	ds_read_b128 v[16:19], v34 offset:3328
	ds_read_b128 v[20:23], v35 offset:112
	s_waitcnt lgkmcnt(2)
	v_mul_f64 v[24:25], v[6:7], v[14:15]
	v_fma_f64 v[24:25], v[4:5], v[12:13], -v[24:25]
	v_mul_f64 v[26:27], v[4:5], v[14:15]
	v_fmac_f64_e32 v[26:27], v[6:7], v[12:13]
	v_add_f64 v[44:45], v[44:45], v[24:25]
	s_waitcnt lgkmcnt(1)
	v_mul_f64 v[24:25], v[6:7], v[18:19]
	v_add_f64 v[46:47], v[26:27], v[46:47]
	v_fma_f64 v[52:53], v[4:5], v[16:17], -v[24:25]
	ds_read_b128 v[24:27], v35 offset:2144
	v_mul_f64 v[4:5], v[4:5], v[18:19]
	v_fmac_f64_e32 v[4:5], v[6:7], v[16:17]
	v_add_f64 v[54:55], v[4:5], v[36:37]
	ds_read_b128 v[4:7], v35 offset:2160
	s_waitcnt lgkmcnt(1)
	v_mul_f64 v[36:37], v[26:27], v[14:15]
	v_mul_f64 v[14:15], v[24:25], v[14:15]
	v_fma_f64 v[36:37], v[24:25], v[12:13], -v[36:37]
	v_fmac_f64_e32 v[14:15], v[26:27], v[12:13]
	v_mul_f64 v[12:13], v[26:27], v[18:19]
	v_add_f64 v[40:41], v[40:41], v[36:37]
	v_add_f64 v[42:43], v[14:15], v[42:43]
	v_fma_f64 v[36:37], v[24:25], v[16:17], -v[12:13]
	ds_read_b128 v[12:15], v34 offset:3584
	v_add_f64 v[52:53], v[38:39], v[52:53]
	v_add_f64 v[48:49], v[48:49], v[36:37]
	ds_read_b128 v[36:39], v34 offset:3840
	v_mul_f64 v[18:19], v[24:25], v[18:19]
	v_fmac_f64_e32 v[18:19], v[26:27], v[16:17]
	s_waitcnt lgkmcnt(1)
	v_mul_f64 v[16:17], v[22:23], v[14:15]
	v_fma_f64 v[16:17], v[20:21], v[12:13], -v[16:17]
	v_add_f64 v[50:51], v[18:19], v[50:51]
	v_mul_f64 v[18:19], v[20:21], v[14:15]
	v_add_f64 v[24:25], v[44:45], v[16:17]
	s_waitcnt lgkmcnt(0)
	v_mul_f64 v[16:17], v[22:23], v[38:39]
	v_fmac_f64_e32 v[18:19], v[22:23], v[12:13]
	v_fma_f64 v[16:17], v[20:21], v[36:37], -v[16:17]
	v_add_f64 v[26:27], v[18:19], v[46:47]
	v_mul_f64 v[18:19], v[20:21], v[38:39]
	v_add_f64 v[20:21], v[52:53], v[16:17]
	v_mul_f64 v[16:17], v[6:7], v[14:15]
	v_mul_f64 v[14:15], v[4:5], v[14:15]
	v_fma_f64 v[16:17], v[4:5], v[12:13], -v[16:17]
	v_fmac_f64_e32 v[14:15], v[6:7], v[12:13]
	v_mul_f64 v[12:13], v[6:7], v[38:39]
	v_fma_f64 v[12:13], v[4:5], v[36:37], -v[12:13]
	v_mul_f64 v[4:5], v[4:5], v[38:39]
	v_fmac_f64_e32 v[18:19], v[22:23], v[36:37]
	v_fmac_f64_e32 v[4:5], v[6:7], v[36:37]
	v_add_f64 v[22:23], v[18:19], v[54:55]
	v_add_f64 v[16:17], v[40:41], v[16:17]
	;; [unrolled: 1-line block ×5, first 2 shown]
	v_lshl_add_u64 v[8:9], v[8:9], 0, s[24:25]
	s_cmp_lt_i32 s5, s7
	v_lshl_add_u64 v[10:11], v[10:11], 0, s[8:9]
	s_barrier
	s_cbranch_scc0 .LBB428_14
.LBB428_8:                              ; =>This Inner Loop Header: Depth=1
	v_add_u32_e32 v4, s5, v31
	v_cmp_le_i32_e64 s[2:3], s7, v4
	s_or_b64 s[2:3], s[22:23], s[2:3]
	s_and_saveexec_b64 s[28:29], s[2:3]
	s_xor_b64 s[2:3], exec, s[28:29]
; %bb.9:                                ;   in Loop: Header=BB428_8 Depth=1
	ds_write_b128 v32, v[0:3]
; %bb.10:                               ;   in Loop: Header=BB428_8 Depth=1
	s_andn2_saveexec_b64 s[2:3], s[2:3]
	s_cbranch_execz .LBB428_12
; %bb.11:                               ;   in Loop: Header=BB428_8 Depth=1
	flat_load_dwordx4 v[4:7], v[8:9]
	s_waitcnt vmcnt(0) lgkmcnt(0)
	ds_write2_b64 v32, v[4:5], v[6:7] offset1:1
.LBB428_12:                             ;   in Loop: Header=BB428_8 Depth=1
	s_or_b64 exec, exec, s[2:3]
	v_add_u32_e32 v4, s5, v30
	v_cmp_gt_i32_e64 s[2:3], s7, v4
	s_and_b64 s[28:29], s[2:3], vcc
	v_mov_b64_e32 v[4:5], 0
	v_mov_b64_e32 v[6:7], 0
	s_and_saveexec_b64 s[2:3], s[28:29]
	s_cbranch_execz .LBB428_7
; %bb.13:                               ;   in Loop: Header=BB428_8 Depth=1
	flat_load_dwordx4 v[4:7], v[10:11]
	s_waitcnt vmcnt(0) lgkmcnt(0)
	v_xor_b32_e32 v7, 0x80000000, v7
	s_branch .LBB428_7
.LBB428_14:
	s_load_dwordx2 s[2:3], s[0:1], 0x68
	s_load_dword s22, s[0:1], 0x60
	v_add_u32_e32 v4, s4, v28
	v_add_u32_e32 v10, s26, v29
	v_cmp_neq_f64_e64 s[0:1], s[10:11], 0
	s_waitcnt lgkmcnt(0)
	s_lshl_b64 s[2:3], s[2:3], 4
	s_add_u32 s8, s14, s2
	s_addc_u32 s9, s15, s3
	s_xor_b64 s[4:5], s[20:21], -1
	v_mad_i64_i32 v[0:1], s[2:3], v10, s22, 0
	s_or_b64 s[0:1], s[0:1], s[4:5]
	v_lshl_add_u64 v[8:9], v[0:1], 4, s[8:9]
	v_cmp_le_i32_e32 vcc, v10, v4
	v_cmp_gt_i32_e64 s[2:3], s6, v4
	v_cndmask_b32_e64 v0, 0, 1, s[0:1]
	s_and_b64 s[14:15], vcc, s[2:3]
	v_ashrrev_i32_e32 v5, 31, v4
	v_cmp_ne_u32_e64 s[0:1], 1, v0
	s_and_saveexec_b64 s[4:5], s[14:15]
	s_cbranch_execz .LBB428_18
; %bb.15:
	v_mul_f64 v[0:1], s[18:19], v[26:27]
	v_mul_f64 v[2:3], s[16:17], v[26:27]
	v_fma_f64 v[0:1], s[16:17], v[24:25], -v[0:1]
	v_fmac_f64_e32 v[2:3], s[18:19], v[24:25]
	s_and_b64 vcc, exec, s[0:1]
	v_lshl_add_u64 v[6:7], v[4:5], 4, v[8:9]
	s_cbranch_vccnz .LBB428_17
; %bb.16:
	flat_load_dwordx4 v[24:27], v[6:7]
	s_waitcnt vmcnt(0) lgkmcnt(0)
	v_mul_f64 v[28:29], s[12:13], v[26:27]
	v_mul_f64 v[26:27], s[10:11], v[26:27]
	v_fma_f64 v[28:29], s[10:11], v[24:25], -v[28:29]
	v_fmac_f64_e32 v[26:27], s[12:13], v[24:25]
	v_add_f64 v[0:1], v[0:1], v[28:29]
	v_add_f64 v[2:3], v[2:3], v[26:27]
.LBB428_17:
	flat_store_dwordx4 v[6:7], v[0:3]
.LBB428_18:
	s_or_b64 exec, exec, s[4:5]
	v_add_u32_e32 v6, 16, v4
	v_cmp_le_i32_e32 vcc, v10, v6
	v_cmp_gt_i32_e64 s[4:5], s6, v6
	s_and_b64 s[14:15], vcc, s[4:5]
	v_ashrrev_i32_e32 v7, 31, v6
	s_and_saveexec_b64 s[6:7], s[14:15]
	s_cbranch_execz .LBB428_22
; %bb.19:
	v_mul_f64 v[0:1], s[18:19], v[22:23]
	v_mul_f64 v[2:3], s[16:17], v[22:23]
	v_fma_f64 v[0:1], s[16:17], v[20:21], -v[0:1]
	v_fmac_f64_e32 v[2:3], s[18:19], v[20:21]
	s_and_b64 vcc, exec, s[0:1]
	v_lshl_add_u64 v[8:9], v[6:7], 4, v[8:9]
	s_cbranch_vccnz .LBB428_21
; %bb.20:
	flat_load_dwordx4 v[20:23], v[8:9]
	s_waitcnt vmcnt(0) lgkmcnt(0)
	v_mul_f64 v[24:25], s[12:13], v[22:23]
	v_mul_f64 v[22:23], s[10:11], v[22:23]
	v_fma_f64 v[24:25], s[10:11], v[20:21], -v[24:25]
	v_fmac_f64_e32 v[22:23], s[12:13], v[20:21]
	v_add_f64 v[0:1], v[0:1], v[24:25]
	v_add_f64 v[2:3], v[2:3], v[22:23]
.LBB428_21:
	flat_store_dwordx4 v[8:9], v[0:3]
.LBB428_22:
	s_or_b64 exec, exec, s[6:7]
	v_add_u32_e32 v10, 16, v10
	v_mad_i64_i32 v[0:1], s[6:7], v10, s22, 0
	v_cmp_le_i32_e32 vcc, v10, v4
	v_lshl_add_u64 v[8:9], v[0:1], 4, s[8:9]
	s_and_b64 s[6:7], vcc, s[2:3]
	s_and_saveexec_b64 s[2:3], s[6:7]
	s_cbranch_execz .LBB428_26
; %bb.23:
	v_mul_f64 v[0:1], s[18:19], v[18:19]
	v_mul_f64 v[2:3], s[16:17], v[18:19]
	v_fma_f64 v[0:1], s[16:17], v[16:17], -v[0:1]
	v_fmac_f64_e32 v[2:3], s[18:19], v[16:17]
	s_and_b64 vcc, exec, s[0:1]
	v_lshl_add_u64 v[4:5], v[4:5], 4, v[8:9]
	s_cbranch_vccnz .LBB428_25
; %bb.24:
	flat_load_dwordx4 v[16:19], v[4:5]
	s_waitcnt vmcnt(0) lgkmcnt(0)
	v_mul_f64 v[20:21], s[12:13], v[18:19]
	v_mul_f64 v[18:19], s[10:11], v[18:19]
	v_fma_f64 v[20:21], s[10:11], v[16:17], -v[20:21]
	v_fmac_f64_e32 v[18:19], s[12:13], v[16:17]
	v_add_f64 v[0:1], v[0:1], v[20:21]
	v_add_f64 v[2:3], v[2:3], v[18:19]
.LBB428_25:
	flat_store_dwordx4 v[4:5], v[0:3]
.LBB428_26:
	s_or_b64 exec, exec, s[2:3]
	v_cmp_le_i32_e32 vcc, v10, v6
	s_and_b64 s[2:3], vcc, s[4:5]
	s_and_saveexec_b64 s[4:5], s[2:3]
	s_cbranch_execz .LBB428_30
; %bb.27:
	v_mul_f64 v[0:1], s[18:19], v[12:13]
	v_mul_f64 v[2:3], s[16:17], v[12:13]
	v_fma_f64 v[0:1], s[16:17], v[14:15], -v[0:1]
	v_fmac_f64_e32 v[2:3], s[18:19], v[14:15]
	s_and_b64 vcc, exec, s[0:1]
	v_lshl_add_u64 v[4:5], v[6:7], 4, v[8:9]
	s_cbranch_vccnz .LBB428_29
; %bb.28:
	flat_load_dwordx4 v[6:9], v[4:5]
	s_waitcnt vmcnt(0) lgkmcnt(0)
	v_mul_f64 v[10:11], s[12:13], v[8:9]
	v_mul_f64 v[8:9], s[10:11], v[8:9]
	v_fma_f64 v[10:11], s[10:11], v[6:7], -v[10:11]
	v_fmac_f64_e32 v[8:9], s[12:13], v[6:7]
	v_add_f64 v[0:1], v[0:1], v[10:11]
	v_add_f64 v[2:3], v[2:3], v[8:9]
.LBB428_29:
	flat_store_dwordx4 v[4:5], v[0:3]
.LBB428_30:
	s_endpgm
	.section	.rodata,"a",@progbits
	.p2align	6, 0x0
	.amdhsa_kernel _ZL29rocblas_internal_gemmt_kernelIiLi16ELi32ELi8ELc84ELc67ELc76ELb0ELb1E19rocblas_complex_numIdES1_PKPKS1_PKPS1_EviT_T9_T10_S9_lSB_S9_lSA_T11_S9_li
		.amdhsa_group_segment_fixed_size 8192
		.amdhsa_private_segment_fixed_size 0
		.amdhsa_kernarg_size 116
		.amdhsa_user_sgpr_count 2
		.amdhsa_user_sgpr_dispatch_ptr 0
		.amdhsa_user_sgpr_queue_ptr 0
		.amdhsa_user_sgpr_kernarg_segment_ptr 1
		.amdhsa_user_sgpr_dispatch_id 0
		.amdhsa_user_sgpr_kernarg_preload_length 0
		.amdhsa_user_sgpr_kernarg_preload_offset 0
		.amdhsa_user_sgpr_private_segment_size 0
		.amdhsa_uses_dynamic_stack 0
		.amdhsa_enable_private_segment 0
		.amdhsa_system_sgpr_workgroup_id_x 1
		.amdhsa_system_sgpr_workgroup_id_y 1
		.amdhsa_system_sgpr_workgroup_id_z 1
		.amdhsa_system_sgpr_workgroup_info 0
		.amdhsa_system_vgpr_workitem_id 1
		.amdhsa_next_free_vgpr 62
		.amdhsa_next_free_sgpr 36
		.amdhsa_accum_offset 64
		.amdhsa_reserve_vcc 1
		.amdhsa_float_round_mode_32 0
		.amdhsa_float_round_mode_16_64 0
		.amdhsa_float_denorm_mode_32 3
		.amdhsa_float_denorm_mode_16_64 3
		.amdhsa_dx10_clamp 1
		.amdhsa_ieee_mode 1
		.amdhsa_fp16_overflow 0
		.amdhsa_tg_split 0
		.amdhsa_exception_fp_ieee_invalid_op 0
		.amdhsa_exception_fp_denorm_src 0
		.amdhsa_exception_fp_ieee_div_zero 0
		.amdhsa_exception_fp_ieee_overflow 0
		.amdhsa_exception_fp_ieee_underflow 0
		.amdhsa_exception_fp_ieee_inexact 0
		.amdhsa_exception_int_div_zero 0
	.end_amdhsa_kernel
	.section	.text._ZL29rocblas_internal_gemmt_kernelIiLi16ELi32ELi8ELc84ELc67ELc76ELb0ELb1E19rocblas_complex_numIdES1_PKPKS1_PKPS1_EviT_T9_T10_S9_lSB_S9_lSA_T11_S9_li,"axG",@progbits,_ZL29rocblas_internal_gemmt_kernelIiLi16ELi32ELi8ELc84ELc67ELc76ELb0ELb1E19rocblas_complex_numIdES1_PKPKS1_PKPS1_EviT_T9_T10_S9_lSB_S9_lSA_T11_S9_li,comdat
.Lfunc_end428:
	.size	_ZL29rocblas_internal_gemmt_kernelIiLi16ELi32ELi8ELc84ELc67ELc76ELb0ELb1E19rocblas_complex_numIdES1_PKPKS1_PKPS1_EviT_T9_T10_S9_lSB_S9_lSA_T11_S9_li, .Lfunc_end428-_ZL29rocblas_internal_gemmt_kernelIiLi16ELi32ELi8ELc84ELc67ELc76ELb0ELb1E19rocblas_complex_numIdES1_PKPKS1_PKPS1_EviT_T9_T10_S9_lSB_S9_lSA_T11_S9_li
                                        ; -- End function
	.set _ZL29rocblas_internal_gemmt_kernelIiLi16ELi32ELi8ELc84ELc67ELc76ELb0ELb1E19rocblas_complex_numIdES1_PKPKS1_PKPS1_EviT_T9_T10_S9_lSB_S9_lSA_T11_S9_li.num_vgpr, 62
	.set _ZL29rocblas_internal_gemmt_kernelIiLi16ELi32ELi8ELc84ELc67ELc76ELb0ELb1E19rocblas_complex_numIdES1_PKPKS1_PKPS1_EviT_T9_T10_S9_lSB_S9_lSA_T11_S9_li.num_agpr, 0
	.set _ZL29rocblas_internal_gemmt_kernelIiLi16ELi32ELi8ELc84ELc67ELc76ELb0ELb1E19rocblas_complex_numIdES1_PKPKS1_PKPS1_EviT_T9_T10_S9_lSB_S9_lSA_T11_S9_li.numbered_sgpr, 36
	.set _ZL29rocblas_internal_gemmt_kernelIiLi16ELi32ELi8ELc84ELc67ELc76ELb0ELb1E19rocblas_complex_numIdES1_PKPKS1_PKPS1_EviT_T9_T10_S9_lSB_S9_lSA_T11_S9_li.num_named_barrier, 0
	.set _ZL29rocblas_internal_gemmt_kernelIiLi16ELi32ELi8ELc84ELc67ELc76ELb0ELb1E19rocblas_complex_numIdES1_PKPKS1_PKPS1_EviT_T9_T10_S9_lSB_S9_lSA_T11_S9_li.private_seg_size, 0
	.set _ZL29rocblas_internal_gemmt_kernelIiLi16ELi32ELi8ELc84ELc67ELc76ELb0ELb1E19rocblas_complex_numIdES1_PKPKS1_PKPS1_EviT_T9_T10_S9_lSB_S9_lSA_T11_S9_li.uses_vcc, 1
	.set _ZL29rocblas_internal_gemmt_kernelIiLi16ELi32ELi8ELc84ELc67ELc76ELb0ELb1E19rocblas_complex_numIdES1_PKPKS1_PKPS1_EviT_T9_T10_S9_lSB_S9_lSA_T11_S9_li.uses_flat_scratch, 0
	.set _ZL29rocblas_internal_gemmt_kernelIiLi16ELi32ELi8ELc84ELc67ELc76ELb0ELb1E19rocblas_complex_numIdES1_PKPKS1_PKPS1_EviT_T9_T10_S9_lSB_S9_lSA_T11_S9_li.has_dyn_sized_stack, 0
	.set _ZL29rocblas_internal_gemmt_kernelIiLi16ELi32ELi8ELc84ELc67ELc76ELb0ELb1E19rocblas_complex_numIdES1_PKPKS1_PKPS1_EviT_T9_T10_S9_lSB_S9_lSA_T11_S9_li.has_recursion, 0
	.set _ZL29rocblas_internal_gemmt_kernelIiLi16ELi32ELi8ELc84ELc67ELc76ELb0ELb1E19rocblas_complex_numIdES1_PKPKS1_PKPS1_EviT_T9_T10_S9_lSB_S9_lSA_T11_S9_li.has_indirect_call, 0
	.section	.AMDGPU.csdata,"",@progbits
; Kernel info:
; codeLenInByte = 3112
; TotalNumSgprs: 42
; NumVgprs: 62
; NumAgprs: 0
; TotalNumVgprs: 62
; ScratchSize: 0
; MemoryBound: 1
; FloatMode: 240
; IeeeMode: 1
; LDSByteSize: 8192 bytes/workgroup (compile time only)
; SGPRBlocks: 5
; VGPRBlocks: 7
; NumSGPRsForWavesPerEU: 42
; NumVGPRsForWavesPerEU: 62
; AccumOffset: 64
; Occupancy: 8
; WaveLimiterHint : 1
; COMPUTE_PGM_RSRC2:SCRATCH_EN: 0
; COMPUTE_PGM_RSRC2:USER_SGPR: 2
; COMPUTE_PGM_RSRC2:TRAP_HANDLER: 0
; COMPUTE_PGM_RSRC2:TGID_X_EN: 1
; COMPUTE_PGM_RSRC2:TGID_Y_EN: 1
; COMPUTE_PGM_RSRC2:TGID_Z_EN: 1
; COMPUTE_PGM_RSRC2:TIDIG_COMP_CNT: 1
; COMPUTE_PGM_RSRC3_GFX90A:ACCUM_OFFSET: 15
; COMPUTE_PGM_RSRC3_GFX90A:TG_SPLIT: 0
	.section	.text._ZL29rocblas_internal_gemmt_kernelIiLi16ELi32ELi8ELc67ELc78ELc76ELb1ELb0E19rocblas_complex_numIdES1_PKPKS1_PKPS1_EviT_T9_T10_S9_lSB_S9_lSA_T11_S9_li,"axG",@progbits,_ZL29rocblas_internal_gemmt_kernelIiLi16ELi32ELi8ELc67ELc78ELc76ELb1ELb0E19rocblas_complex_numIdES1_PKPKS1_PKPS1_EviT_T9_T10_S9_lSB_S9_lSA_T11_S9_li,comdat
	.globl	_ZL29rocblas_internal_gemmt_kernelIiLi16ELi32ELi8ELc67ELc78ELc76ELb1ELb0E19rocblas_complex_numIdES1_PKPKS1_PKPS1_EviT_T9_T10_S9_lSB_S9_lSA_T11_S9_li ; -- Begin function _ZL29rocblas_internal_gemmt_kernelIiLi16ELi32ELi8ELc67ELc78ELc76ELb1ELb0E19rocblas_complex_numIdES1_PKPKS1_PKPS1_EviT_T9_T10_S9_lSB_S9_lSA_T11_S9_li
	.p2align	8
	.type	_ZL29rocblas_internal_gemmt_kernelIiLi16ELi32ELi8ELc67ELc78ELc76ELb1ELb0E19rocblas_complex_numIdES1_PKPKS1_PKPS1_EviT_T9_T10_S9_lSB_S9_lSA_T11_S9_li,@function
_ZL29rocblas_internal_gemmt_kernelIiLi16ELi32ELi8ELc67ELc78ELc76ELb1ELb0E19rocblas_complex_numIdES1_PKPKS1_PKPS1_EviT_T9_T10_S9_lSB_S9_lSA_T11_S9_li: ; @_ZL29rocblas_internal_gemmt_kernelIiLi16ELi32ELi8ELc67ELc78ELc76ELb1ELb0E19rocblas_complex_numIdES1_PKPKS1_PKPS1_EviT_T9_T10_S9_lSB_S9_lSA_T11_S9_li
; %bb.0:
	s_load_dwordx8 s[8:15], s[0:1], 0x40
	s_load_dwordx2 s[6:7], s[0:1], 0x0
	s_load_dwordx4 s[16:19], s[0:1], 0x8
	s_mov_b64 s[22:23], 0
	s_waitcnt lgkmcnt(0)
	v_cmp_eq_f64_e64 s[24:25], s[10:11], 1.0
	v_cmp_eq_f64_e64 s[20:21], s[12:13], 0
	s_and_b64 s[24:25], s[24:25], s[20:21]
	s_andn2_b64 vcc, exec, s[24:25]
	s_mov_b64 s[24:25], -1
	s_cbranch_vccnz .LBB429_4
; %bb.1:
	s_cmp_lg_u32 s7, 0
	s_cbranch_scc0 .LBB429_3
; %bb.2:
	v_cmp_neq_f64_e64 s[22:23], s[16:17], 0
	v_cmp_neq_f64_e64 s[24:25], s[18:19], 0
	s_or_b64 s[22:23], s[22:23], s[24:25]
.LBB429_3:
	s_mov_b64 s[24:25], s[22:23]
.LBB429_4:
	s_and_b64 vcc, exec, s[24:25]
	s_cbranch_vccz .LBB429_30
; %bb.5:
	s_mov_b32 s5, 0
	s_lshl_b64 s[22:23], s[4:5], 3
	s_add_u32 s14, s14, s22
	s_addc_u32 s15, s15, s23
	s_lshl_b32 s4, s2, 5
	s_lshl_b32 s24, s3, 5
	v_cmp_eq_f64_e64 s[2:3], s[16:17], 0
	v_cmp_eq_f64_e64 s[26:27], s[18:19], 0
	s_load_dwordx2 s[14:15], s[14:15], 0x0
	s_and_b64 s[2:3], s[2:3], s[26:27]
	s_cmp_lt_i32 s7, 1
	s_cselect_b64 s[26:27], -1, 0
	s_or_b64 s[2:3], s[2:3], s[26:27]
	v_and_b32_e32 v28, 0x3ff, v0
	v_bfe_u32 v29, v0, 10, 10
	v_mov_b64_e32 v[24:25], 0
	s_and_b64 vcc, exec, s[2:3]
	v_mov_b64_e32 v[26:27], 0
	v_mov_b64_e32 v[20:21], 0
	;; [unrolled: 1-line block ×7, first 2 shown]
	s_cbranch_vccnz .LBB429_14
; %bb.6:
	s_load_dwordx2 s[2:3], s[0:1], 0x18
	s_load_dword s25, s[0:1], 0x20
	s_load_dwordx4 s[28:31], s[0:1], 0x28
	s_load_dword s33, s[0:1], 0x38
	v_lshl_add_u32 v0, v29, 4, v28
	v_lshrrev_b32_e32 v31, 5, v0
	v_lshrrev_b32_e32 v1, 3, v0
	v_and_b32_e32 v0, 31, v0
	s_waitcnt lgkmcnt(0)
	s_add_u32 s26, s30, s22
	v_or_b32_e32 v2, s4, v0
	s_addc_u32 s27, s31, s23
	v_and_b32_e32 v30, 7, v28
	s_add_u32 s2, s2, s22
	v_cmp_gt_i32_e32 vcc, s6, v2
	v_lshlrev_b32_e32 v2, 4, v0
	s_addc_u32 s3, s3, s23
	v_lshl_or_b32 v32, v31, 9, v2
	v_lshlrev_b32_e32 v2, 4, v30
	v_add_u32_e32 v3, s24, v1
	s_load_dwordx2 s[22:23], s[2:3], 0x0
	v_lshl_or_b32 v1, v1, 7, v2
	v_add_u32_e32 v33, 0x1000, v1
	v_mov_b32_e32 v1, 0x1000
	v_add_u32_e32 v0, s4, v0
	v_lshl_add_u32 v35, v29, 7, v1
	v_mad_i64_i32 v[0:1], s[30:31], s25, v0, 0
	s_lshl_b64 s[28:29], s[28:29], 4
	s_load_dwordx2 s[26:27], s[26:27], 0x0
	v_lshl_add_u64 v[4:5], v[0:1], 4, s[28:29]
	v_lshlrev_b32_e32 v0, 4, v31
	v_mov_b32_e32 v1, 0
	v_lshl_add_u64 v[4:5], v[4:5], 0, v[0:1]
	s_waitcnt lgkmcnt(0)
	v_lshl_add_u64 v[8:9], s[22:23], 0, v[4:5]
	v_mad_i64_i32 v[4:5], s[22:23], s33, v3, 0
	s_lshl_b64 s[8:9], s[8:9], 4
	v_cmp_gt_i32_e64 s[2:3], s6, v3
	v_lshl_add_u64 v[4:5], v[4:5], 4, s[8:9]
	v_mov_b32_e32 v3, v1
	v_lshl_add_u64 v[2:3], v[4:5], 0, v[2:3]
	v_lshlrev_b32_e32 v34, 4, v28
	v_lshl_add_u64 v[10:11], s[26:27], 0, v[2:3]
	v_mov_b64_e32 v[12:13], 0
	s_xor_b64 s[8:9], s[2:3], -1
	s_mov_b64 s[22:23], 0x80
	v_mov_b32_e32 v0, v1
	v_mov_b32_e32 v2, v1
	;; [unrolled: 1-line block ×3, first 2 shown]
	v_mov_b64_e32 v[14:15], 0
	v_mov_b64_e32 v[18:19], 0
	;; [unrolled: 1-line block ×7, first 2 shown]
	s_branch .LBB429_8
.LBB429_7:                              ;   in Loop: Header=BB429_8 Depth=1
	s_or_b64 exec, exec, s[2:3]
	s_waitcnt lgkmcnt(0)
	s_barrier
	ds_read_b128 v[4:7], v34
	ds_read_b128 v[36:39], v35
	ds_read_b128 v[40:43], v35 offset:16
	ds_read_b128 v[44:47], v35 offset:32
	;; [unrolled: 1-line block ×4, first 2 shown]
	s_waitcnt lgkmcnt(4)
	v_mul_f64 v[56:57], v[38:39], v[6:7]
	v_fma_f64 v[56:57], v[36:37], v[4:5], -v[56:57]
	v_mul_f64 v[58:59], v[36:37], v[6:7]
	v_fmac_f64_e32 v[58:59], v[38:39], v[4:5]
	v_add_f64 v[56:57], v[24:25], v[56:57]
	s_waitcnt lgkmcnt(0)
	v_mul_f64 v[24:25], v[38:39], v[54:55]
	v_add_f64 v[58:59], v[58:59], v[26:27]
	v_fma_f64 v[60:61], v[36:37], v[52:53], -v[24:25]
	ds_read_b128 v[24:27], v35 offset:2048
	v_mul_f64 v[36:37], v[36:37], v[54:55]
	v_fmac_f64_e32 v[36:37], v[38:39], v[52:53]
	v_add_f64 v[38:39], v[20:21], v[60:61]
	v_add_f64 v[36:37], v[36:37], v[22:23]
	ds_read_b128 v[20:23], v35 offset:2064
	s_waitcnt lgkmcnt(1)
	v_mul_f64 v[60:61], v[26:27], v[6:7]
	v_mul_f64 v[6:7], v[24:25], v[6:7]
	v_fma_f64 v[60:61], v[24:25], v[4:5], -v[60:61]
	v_fmac_f64_e32 v[6:7], v[26:27], v[4:5]
	v_mul_f64 v[4:5], v[26:27], v[54:55]
	v_add_f64 v[16:17], v[16:17], v[60:61]
	v_add_f64 v[18:19], v[6:7], v[18:19]
	v_fma_f64 v[60:61], v[24:25], v[52:53], -v[4:5]
	v_mul_f64 v[24:25], v[24:25], v[54:55]
	ds_read_b128 v[4:7], v34 offset:512
	v_fmac_f64_e32 v[24:25], v[26:27], v[52:53]
	v_add_f64 v[26:27], v[14:15], v[60:61]
	v_add_f64 v[24:25], v[24:25], v[12:13]
	ds_read_b128 v[12:15], v34 offset:768
	s_waitcnt lgkmcnt(1)
	v_mul_f64 v[52:53], v[42:43], v[6:7]
	v_fma_f64 v[52:53], v[40:41], v[4:5], -v[52:53]
	v_add_f64 v[52:53], v[56:57], v[52:53]
	v_mul_f64 v[54:55], v[40:41], v[6:7]
	s_waitcnt lgkmcnt(0)
	v_mul_f64 v[56:57], v[42:43], v[14:15]
	v_fma_f64 v[56:57], v[40:41], v[12:13], -v[56:57]
	v_mul_f64 v[40:41], v[40:41], v[14:15]
	v_fmac_f64_e32 v[40:41], v[42:43], v[12:13]
	v_add_f64 v[36:37], v[40:41], v[36:37]
	v_mul_f64 v[40:41], v[22:23], v[6:7]
	v_mul_f64 v[6:7], v[20:21], v[6:7]
	v_fmac_f64_e32 v[54:55], v[42:43], v[4:5]
	v_fma_f64 v[40:41], v[20:21], v[4:5], -v[40:41]
	v_fmac_f64_e32 v[6:7], v[22:23], v[4:5]
	v_mul_f64 v[4:5], v[22:23], v[14:15]
	v_add_f64 v[40:41], v[16:17], v[40:41]
	v_add_f64 v[42:43], v[6:7], v[18:19]
	v_fma_f64 v[16:17], v[20:21], v[12:13], -v[4:5]
	v_mul_f64 v[14:15], v[20:21], v[14:15]
	ds_read_b128 v[4:7], v34 offset:1024
	v_fmac_f64_e32 v[14:15], v[22:23], v[12:13]
	v_add_f64 v[24:25], v[14:15], v[24:25]
	ds_read_b128 v[12:15], v34 offset:1280
	v_add_f64 v[26:27], v[26:27], v[16:17]
	s_waitcnt lgkmcnt(1)
	v_mul_f64 v[16:17], v[46:47], v[6:7]
	v_fma_f64 v[16:17], v[44:45], v[4:5], -v[16:17]
	v_mul_f64 v[18:19], v[44:45], v[6:7]
	v_add_f64 v[54:55], v[54:55], v[58:59]
	v_fmac_f64_e32 v[18:19], v[46:47], v[4:5]
	v_add_f64 v[52:53], v[52:53], v[16:17]
	s_waitcnt lgkmcnt(0)
	v_mul_f64 v[16:17], v[46:47], v[14:15]
	v_add_f64 v[54:55], v[18:19], v[54:55]
	v_fma_f64 v[20:21], v[44:45], v[12:13], -v[16:17]
	ds_read_b128 v[16:19], v35 offset:2080
	v_mul_f64 v[22:23], v[44:45], v[14:15]
	v_add_f64 v[38:39], v[38:39], v[56:57]
	v_fmac_f64_e32 v[22:23], v[46:47], v[12:13]
	v_add_f64 v[38:39], v[38:39], v[20:21]
	v_add_f64 v[36:37], v[22:23], v[36:37]
	ds_read_b128 v[20:23], v35 offset:2096
	s_waitcnt lgkmcnt(1)
	v_mul_f64 v[44:45], v[18:19], v[6:7]
	v_mul_f64 v[6:7], v[16:17], v[6:7]
	v_fma_f64 v[44:45], v[16:17], v[4:5], -v[44:45]
	v_fmac_f64_e32 v[6:7], v[18:19], v[4:5]
	v_mul_f64 v[4:5], v[18:19], v[14:15]
	v_mul_f64 v[14:15], v[16:17], v[14:15]
	v_fmac_f64_e32 v[14:15], v[18:19], v[12:13]
	v_add_f64 v[40:41], v[40:41], v[44:45]
	v_add_f64 v[42:43], v[6:7], v[42:43]
	v_fma_f64 v[44:45], v[16:17], v[12:13], -v[4:5]
	ds_read_b128 v[4:7], v34 offset:1536
	v_add_f64 v[18:19], v[14:15], v[24:25]
	ds_read_b128 v[12:15], v34 offset:1792
	v_add_f64 v[16:17], v[26:27], v[44:45]
	s_add_i32 s5, s5, 8
	s_waitcnt lgkmcnt(1)
	v_mul_f64 v[24:25], v[50:51], v[6:7]
	v_mul_f64 v[26:27], v[48:49], v[6:7]
	s_waitcnt lgkmcnt(0)
	v_mul_f64 v[44:45], v[50:51], v[14:15]
	v_fma_f64 v[44:45], v[48:49], v[12:13], -v[44:45]
	v_add_f64 v[38:39], v[38:39], v[44:45]
	v_mul_f64 v[44:45], v[22:23], v[6:7]
	v_mul_f64 v[6:7], v[20:21], v[6:7]
	v_fma_f64 v[24:25], v[48:49], v[4:5], -v[24:25]
	v_fmac_f64_e32 v[26:27], v[50:51], v[4:5]
	v_fma_f64 v[44:45], v[20:21], v[4:5], -v[44:45]
	v_fmac_f64_e32 v[6:7], v[22:23], v[4:5]
	v_mul_f64 v[4:5], v[22:23], v[14:15]
	v_mul_f64 v[46:47], v[48:49], v[14:15]
	v_add_f64 v[40:41], v[40:41], v[44:45]
	v_fma_f64 v[44:45], v[20:21], v[12:13], -v[4:5]
	v_mul_f64 v[20:21], v[20:21], v[14:15]
	v_fmac_f64_e32 v[46:47], v[50:51], v[12:13]
	v_add_f64 v[42:43], v[6:7], v[42:43]
	v_fmac_f64_e32 v[20:21], v[22:23], v[12:13]
	ds_read_b128 v[4:7], v35 offset:64
	ds_read_b128 v[12:15], v34 offset:2048
	v_add_f64 v[36:37], v[46:47], v[36:37]
	v_add_f64 v[44:45], v[16:17], v[44:45]
	;; [unrolled: 1-line block ×3, first 2 shown]
	ds_read_b128 v[16:19], v34 offset:2304
	ds_read_b128 v[20:23], v35 offset:80
	s_waitcnt lgkmcnt(2)
	v_mul_f64 v[48:49], v[6:7], v[14:15]
	v_add_f64 v[24:25], v[52:53], v[24:25]
	v_fma_f64 v[48:49], v[4:5], v[12:13], -v[48:49]
	v_mul_f64 v[50:51], v[4:5], v[14:15]
	v_add_f64 v[26:27], v[26:27], v[54:55]
	v_fmac_f64_e32 v[50:51], v[6:7], v[12:13]
	v_add_f64 v[48:49], v[24:25], v[48:49]
	s_waitcnt lgkmcnt(1)
	v_mul_f64 v[24:25], v[6:7], v[18:19]
	v_add_f64 v[50:51], v[50:51], v[26:27]
	v_fma_f64 v[52:53], v[4:5], v[16:17], -v[24:25]
	ds_read_b128 v[24:27], v35 offset:2112
	v_mul_f64 v[4:5], v[4:5], v[18:19]
	v_fmac_f64_e32 v[4:5], v[6:7], v[16:17]
	v_add_f64 v[38:39], v[38:39], v[52:53]
	v_add_f64 v[36:37], v[4:5], v[36:37]
	ds_read_b128 v[4:7], v35 offset:2128
	s_waitcnt lgkmcnt(1)
	v_mul_f64 v[52:53], v[26:27], v[14:15]
	v_mul_f64 v[14:15], v[24:25], v[14:15]
	v_fma_f64 v[52:53], v[24:25], v[12:13], -v[52:53]
	v_fmac_f64_e32 v[14:15], v[26:27], v[12:13]
	v_mul_f64 v[12:13], v[26:27], v[18:19]
	v_add_f64 v[40:41], v[40:41], v[52:53]
	v_add_f64 v[42:43], v[14:15], v[42:43]
	v_fma_f64 v[52:53], v[24:25], v[16:17], -v[12:13]
	v_mul_f64 v[18:19], v[24:25], v[18:19]
	ds_read_b128 v[12:15], v34 offset:2560
	v_fmac_f64_e32 v[18:19], v[26:27], v[16:17]
	v_add_f64 v[26:27], v[18:19], v[46:47]
	ds_read_b128 v[16:19], v34 offset:2816
	v_add_f64 v[24:25], v[44:45], v[52:53]
	s_waitcnt lgkmcnt(1)
	v_mul_f64 v[44:45], v[22:23], v[14:15]
	v_fma_f64 v[44:45], v[20:21], v[12:13], -v[44:45]
	v_add_f64 v[44:45], v[48:49], v[44:45]
	s_waitcnt lgkmcnt(0)
	v_mul_f64 v[48:49], v[22:23], v[18:19]
	v_mul_f64 v[46:47], v[20:21], v[14:15]
	v_fma_f64 v[48:49], v[20:21], v[16:17], -v[48:49]
	v_mul_f64 v[20:21], v[20:21], v[18:19]
	v_fmac_f64_e32 v[20:21], v[22:23], v[16:17]
	v_add_f64 v[36:37], v[20:21], v[36:37]
	v_mul_f64 v[20:21], v[6:7], v[14:15]
	v_mul_f64 v[14:15], v[4:5], v[14:15]
	v_fmac_f64_e32 v[46:47], v[22:23], v[12:13]
	v_fma_f64 v[20:21], v[4:5], v[12:13], -v[20:21]
	v_fmac_f64_e32 v[14:15], v[6:7], v[12:13]
	v_mul_f64 v[12:13], v[6:7], v[18:19]
	v_mul_f64 v[18:19], v[4:5], v[18:19]
	v_add_f64 v[40:41], v[40:41], v[20:21]
	v_add_f64 v[42:43], v[14:15], v[42:43]
	v_fma_f64 v[20:21], v[4:5], v[16:17], -v[12:13]
	v_fmac_f64_e32 v[18:19], v[6:7], v[16:17]
	ds_read_b128 v[4:7], v35 offset:96
	ds_read_b128 v[12:15], v34 offset:3072
	v_add_f64 v[46:47], v[46:47], v[50:51]
	v_add_f64 v[38:39], v[38:39], v[48:49]
	;; [unrolled: 1-line block ×4, first 2 shown]
	ds_read_b128 v[16:19], v34 offset:3328
	ds_read_b128 v[20:23], v35 offset:112
	s_waitcnt lgkmcnt(2)
	v_mul_f64 v[24:25], v[6:7], v[14:15]
	v_fma_f64 v[24:25], v[4:5], v[12:13], -v[24:25]
	v_mul_f64 v[26:27], v[4:5], v[14:15]
	v_fmac_f64_e32 v[26:27], v[6:7], v[12:13]
	v_add_f64 v[44:45], v[44:45], v[24:25]
	s_waitcnt lgkmcnt(1)
	v_mul_f64 v[24:25], v[6:7], v[18:19]
	v_add_f64 v[46:47], v[26:27], v[46:47]
	v_fma_f64 v[52:53], v[4:5], v[16:17], -v[24:25]
	ds_read_b128 v[24:27], v35 offset:2144
	v_mul_f64 v[4:5], v[4:5], v[18:19]
	v_fmac_f64_e32 v[4:5], v[6:7], v[16:17]
	v_add_f64 v[54:55], v[4:5], v[36:37]
	ds_read_b128 v[4:7], v35 offset:2160
	s_waitcnt lgkmcnt(1)
	v_mul_f64 v[36:37], v[26:27], v[14:15]
	v_mul_f64 v[14:15], v[24:25], v[14:15]
	v_fma_f64 v[36:37], v[24:25], v[12:13], -v[36:37]
	v_fmac_f64_e32 v[14:15], v[26:27], v[12:13]
	v_mul_f64 v[12:13], v[26:27], v[18:19]
	v_add_f64 v[40:41], v[40:41], v[36:37]
	v_add_f64 v[42:43], v[14:15], v[42:43]
	v_fma_f64 v[36:37], v[24:25], v[16:17], -v[12:13]
	ds_read_b128 v[12:15], v34 offset:3584
	v_add_f64 v[52:53], v[38:39], v[52:53]
	v_add_f64 v[48:49], v[48:49], v[36:37]
	ds_read_b128 v[36:39], v34 offset:3840
	v_mul_f64 v[18:19], v[24:25], v[18:19]
	v_fmac_f64_e32 v[18:19], v[26:27], v[16:17]
	s_waitcnt lgkmcnt(1)
	v_mul_f64 v[16:17], v[22:23], v[14:15]
	v_fma_f64 v[16:17], v[20:21], v[12:13], -v[16:17]
	v_add_f64 v[50:51], v[18:19], v[50:51]
	v_mul_f64 v[18:19], v[20:21], v[14:15]
	v_add_f64 v[24:25], v[44:45], v[16:17]
	s_waitcnt lgkmcnt(0)
	v_mul_f64 v[16:17], v[22:23], v[38:39]
	v_fmac_f64_e32 v[18:19], v[22:23], v[12:13]
	v_fma_f64 v[16:17], v[20:21], v[36:37], -v[16:17]
	v_add_f64 v[26:27], v[18:19], v[46:47]
	v_mul_f64 v[18:19], v[20:21], v[38:39]
	v_add_f64 v[20:21], v[52:53], v[16:17]
	v_mul_f64 v[16:17], v[6:7], v[14:15]
	v_mul_f64 v[14:15], v[4:5], v[14:15]
	v_fma_f64 v[16:17], v[4:5], v[12:13], -v[16:17]
	v_fmac_f64_e32 v[14:15], v[6:7], v[12:13]
	v_mul_f64 v[12:13], v[6:7], v[38:39]
	v_fma_f64 v[12:13], v[4:5], v[36:37], -v[12:13]
	v_mul_f64 v[4:5], v[4:5], v[38:39]
	v_fmac_f64_e32 v[18:19], v[22:23], v[36:37]
	v_fmac_f64_e32 v[4:5], v[6:7], v[36:37]
	v_add_f64 v[22:23], v[18:19], v[54:55]
	v_add_f64 v[16:17], v[40:41], v[16:17]
	;; [unrolled: 1-line block ×5, first 2 shown]
	v_lshl_add_u64 v[8:9], v[8:9], 0, s[22:23]
	s_cmp_lt_i32 s5, s7
	v_lshl_add_u64 v[10:11], v[10:11], 0, s[22:23]
	s_barrier
	s_cbranch_scc0 .LBB429_14
.LBB429_8:                              ; =>This Inner Loop Header: Depth=1
	v_add_u32_e32 v4, s5, v31
	v_cmp_gt_i32_e64 s[2:3], s7, v4
	s_and_b64 s[26:27], vcc, s[2:3]
	v_mov_b64_e32 v[4:5], 0
	v_mov_b64_e32 v[6:7], 0
	s_and_saveexec_b64 s[2:3], s[26:27]
	s_cbranch_execz .LBB429_10
; %bb.9:                                ;   in Loop: Header=BB429_8 Depth=1
	flat_load_dwordx4 v[4:7], v[8:9]
	s_waitcnt vmcnt(0) lgkmcnt(0)
	v_xor_b32_e32 v7, 0x80000000, v7
.LBB429_10:                             ;   in Loop: Header=BB429_8 Depth=1
	s_or_b64 exec, exec, s[2:3]
	ds_write_b128 v32, v[4:7]
	v_add_u32_e32 v4, s5, v30
	v_cmp_le_i32_e64 s[2:3], s7, v4
	s_or_b64 s[2:3], s[2:3], s[8:9]
	s_and_saveexec_b64 s[26:27], s[2:3]
	s_xor_b64 s[2:3], exec, s[26:27]
; %bb.11:                               ;   in Loop: Header=BB429_8 Depth=1
	ds_write_b128 v33, v[0:3]
; %bb.12:                               ;   in Loop: Header=BB429_8 Depth=1
	s_andn2_saveexec_b64 s[2:3], s[2:3]
	s_cbranch_execz .LBB429_7
; %bb.13:                               ;   in Loop: Header=BB429_8 Depth=1
	flat_load_dwordx4 v[4:7], v[10:11]
	s_waitcnt vmcnt(0) lgkmcnt(0)
	ds_write2_b64 v33, v[4:5], v[6:7] offset1:1
	s_branch .LBB429_7
.LBB429_14:
	s_load_dwordx2 s[2:3], s[0:1], 0x68
	s_load_dword s22, s[0:1], 0x60
	v_add_u32_e32 v4, s4, v28
	v_add_u32_e32 v10, s24, v29
	v_cmp_neq_f64_e64 s[0:1], s[10:11], 0
	s_waitcnt lgkmcnt(0)
	s_lshl_b64 s[2:3], s[2:3], 4
	s_add_u32 s8, s14, s2
	s_addc_u32 s9, s15, s3
	s_xor_b64 s[4:5], s[20:21], -1
	v_mad_i64_i32 v[0:1], s[2:3], v10, s22, 0
	s_or_b64 s[0:1], s[0:1], s[4:5]
	v_lshl_add_u64 v[8:9], v[0:1], 4, s[8:9]
	v_cmp_le_i32_e32 vcc, v10, v4
	v_cmp_gt_i32_e64 s[2:3], s6, v4
	v_cndmask_b32_e64 v0, 0, 1, s[0:1]
	s_and_b64 s[14:15], vcc, s[2:3]
	v_ashrrev_i32_e32 v5, 31, v4
	v_cmp_ne_u32_e64 s[0:1], 1, v0
	s_and_saveexec_b64 s[4:5], s[14:15]
	s_cbranch_execz .LBB429_18
; %bb.15:
	v_mul_f64 v[0:1], s[18:19], v[26:27]
	v_mul_f64 v[2:3], s[16:17], v[26:27]
	v_fma_f64 v[0:1], s[16:17], v[24:25], -v[0:1]
	v_fmac_f64_e32 v[2:3], s[18:19], v[24:25]
	s_and_b64 vcc, exec, s[0:1]
	v_lshl_add_u64 v[6:7], v[4:5], 4, v[8:9]
	s_cbranch_vccnz .LBB429_17
; %bb.16:
	flat_load_dwordx4 v[24:27], v[6:7]
	s_waitcnt vmcnt(0) lgkmcnt(0)
	v_mul_f64 v[28:29], s[12:13], v[26:27]
	v_mul_f64 v[26:27], s[10:11], v[26:27]
	v_fma_f64 v[28:29], s[10:11], v[24:25], -v[28:29]
	v_fmac_f64_e32 v[26:27], s[12:13], v[24:25]
	v_add_f64 v[0:1], v[0:1], v[28:29]
	v_add_f64 v[2:3], v[2:3], v[26:27]
.LBB429_17:
	flat_store_dwordx4 v[6:7], v[0:3]
.LBB429_18:
	s_or_b64 exec, exec, s[4:5]
	v_add_u32_e32 v6, 16, v4
	v_cmp_le_i32_e32 vcc, v10, v6
	v_cmp_gt_i32_e64 s[4:5], s6, v6
	s_and_b64 s[14:15], vcc, s[4:5]
	v_ashrrev_i32_e32 v7, 31, v6
	s_and_saveexec_b64 s[6:7], s[14:15]
	s_cbranch_execz .LBB429_22
; %bb.19:
	v_mul_f64 v[0:1], s[18:19], v[22:23]
	v_mul_f64 v[2:3], s[16:17], v[22:23]
	v_fma_f64 v[0:1], s[16:17], v[20:21], -v[0:1]
	v_fmac_f64_e32 v[2:3], s[18:19], v[20:21]
	s_and_b64 vcc, exec, s[0:1]
	v_lshl_add_u64 v[8:9], v[6:7], 4, v[8:9]
	s_cbranch_vccnz .LBB429_21
; %bb.20:
	flat_load_dwordx4 v[20:23], v[8:9]
	s_waitcnt vmcnt(0) lgkmcnt(0)
	v_mul_f64 v[24:25], s[12:13], v[22:23]
	v_mul_f64 v[22:23], s[10:11], v[22:23]
	v_fma_f64 v[24:25], s[10:11], v[20:21], -v[24:25]
	v_fmac_f64_e32 v[22:23], s[12:13], v[20:21]
	v_add_f64 v[0:1], v[0:1], v[24:25]
	v_add_f64 v[2:3], v[2:3], v[22:23]
.LBB429_21:
	flat_store_dwordx4 v[8:9], v[0:3]
.LBB429_22:
	s_or_b64 exec, exec, s[6:7]
	v_add_u32_e32 v10, 16, v10
	v_mad_i64_i32 v[0:1], s[6:7], v10, s22, 0
	v_cmp_le_i32_e32 vcc, v10, v4
	v_lshl_add_u64 v[8:9], v[0:1], 4, s[8:9]
	s_and_b64 s[6:7], vcc, s[2:3]
	s_and_saveexec_b64 s[2:3], s[6:7]
	s_cbranch_execz .LBB429_26
; %bb.23:
	v_mul_f64 v[0:1], s[18:19], v[18:19]
	v_mul_f64 v[2:3], s[16:17], v[18:19]
	v_fma_f64 v[0:1], s[16:17], v[16:17], -v[0:1]
	v_fmac_f64_e32 v[2:3], s[18:19], v[16:17]
	s_and_b64 vcc, exec, s[0:1]
	v_lshl_add_u64 v[4:5], v[4:5], 4, v[8:9]
	s_cbranch_vccnz .LBB429_25
; %bb.24:
	flat_load_dwordx4 v[16:19], v[4:5]
	s_waitcnt vmcnt(0) lgkmcnt(0)
	v_mul_f64 v[20:21], s[12:13], v[18:19]
	v_mul_f64 v[18:19], s[10:11], v[18:19]
	v_fma_f64 v[20:21], s[10:11], v[16:17], -v[20:21]
	v_fmac_f64_e32 v[18:19], s[12:13], v[16:17]
	v_add_f64 v[0:1], v[0:1], v[20:21]
	v_add_f64 v[2:3], v[2:3], v[18:19]
.LBB429_25:
	flat_store_dwordx4 v[4:5], v[0:3]
.LBB429_26:
	s_or_b64 exec, exec, s[2:3]
	v_cmp_le_i32_e32 vcc, v10, v6
	s_and_b64 s[2:3], vcc, s[4:5]
	s_and_saveexec_b64 s[4:5], s[2:3]
	s_cbranch_execz .LBB429_30
; %bb.27:
	v_mul_f64 v[0:1], s[18:19], v[12:13]
	v_mul_f64 v[2:3], s[16:17], v[12:13]
	v_fma_f64 v[0:1], s[16:17], v[14:15], -v[0:1]
	v_fmac_f64_e32 v[2:3], s[18:19], v[14:15]
	s_and_b64 vcc, exec, s[0:1]
	v_lshl_add_u64 v[4:5], v[6:7], 4, v[8:9]
	s_cbranch_vccnz .LBB429_29
; %bb.28:
	flat_load_dwordx4 v[6:9], v[4:5]
	s_waitcnt vmcnt(0) lgkmcnt(0)
	v_mul_f64 v[10:11], s[12:13], v[8:9]
	v_mul_f64 v[8:9], s[10:11], v[8:9]
	v_fma_f64 v[10:11], s[10:11], v[6:7], -v[10:11]
	v_fmac_f64_e32 v[8:9], s[12:13], v[6:7]
	v_add_f64 v[0:1], v[0:1], v[10:11]
	v_add_f64 v[2:3], v[2:3], v[8:9]
.LBB429_29:
	flat_store_dwordx4 v[4:5], v[0:3]
.LBB429_30:
	s_endpgm
	.section	.rodata,"a",@progbits
	.p2align	6, 0x0
	.amdhsa_kernel _ZL29rocblas_internal_gemmt_kernelIiLi16ELi32ELi8ELc67ELc78ELc76ELb1ELb0E19rocblas_complex_numIdES1_PKPKS1_PKPS1_EviT_T9_T10_S9_lSB_S9_lSA_T11_S9_li
		.amdhsa_group_segment_fixed_size 8192
		.amdhsa_private_segment_fixed_size 0
		.amdhsa_kernarg_size 116
		.amdhsa_user_sgpr_count 2
		.amdhsa_user_sgpr_dispatch_ptr 0
		.amdhsa_user_sgpr_queue_ptr 0
		.amdhsa_user_sgpr_kernarg_segment_ptr 1
		.amdhsa_user_sgpr_dispatch_id 0
		.amdhsa_user_sgpr_kernarg_preload_length 0
		.amdhsa_user_sgpr_kernarg_preload_offset 0
		.amdhsa_user_sgpr_private_segment_size 0
		.amdhsa_uses_dynamic_stack 0
		.amdhsa_enable_private_segment 0
		.amdhsa_system_sgpr_workgroup_id_x 1
		.amdhsa_system_sgpr_workgroup_id_y 1
		.amdhsa_system_sgpr_workgroup_id_z 1
		.amdhsa_system_sgpr_workgroup_info 0
		.amdhsa_system_vgpr_workitem_id 1
		.amdhsa_next_free_vgpr 62
		.amdhsa_next_free_sgpr 34
		.amdhsa_accum_offset 64
		.amdhsa_reserve_vcc 1
		.amdhsa_float_round_mode_32 0
		.amdhsa_float_round_mode_16_64 0
		.amdhsa_float_denorm_mode_32 3
		.amdhsa_float_denorm_mode_16_64 3
		.amdhsa_dx10_clamp 1
		.amdhsa_ieee_mode 1
		.amdhsa_fp16_overflow 0
		.amdhsa_tg_split 0
		.amdhsa_exception_fp_ieee_invalid_op 0
		.amdhsa_exception_fp_denorm_src 0
		.amdhsa_exception_fp_ieee_div_zero 0
		.amdhsa_exception_fp_ieee_overflow 0
		.amdhsa_exception_fp_ieee_underflow 0
		.amdhsa_exception_fp_ieee_inexact 0
		.amdhsa_exception_int_div_zero 0
	.end_amdhsa_kernel
	.section	.text._ZL29rocblas_internal_gemmt_kernelIiLi16ELi32ELi8ELc67ELc78ELc76ELb1ELb0E19rocblas_complex_numIdES1_PKPKS1_PKPS1_EviT_T9_T10_S9_lSB_S9_lSA_T11_S9_li,"axG",@progbits,_ZL29rocblas_internal_gemmt_kernelIiLi16ELi32ELi8ELc67ELc78ELc76ELb1ELb0E19rocblas_complex_numIdES1_PKPKS1_PKPS1_EviT_T9_T10_S9_lSB_S9_lSA_T11_S9_li,comdat
.Lfunc_end429:
	.size	_ZL29rocblas_internal_gemmt_kernelIiLi16ELi32ELi8ELc67ELc78ELc76ELb1ELb0E19rocblas_complex_numIdES1_PKPKS1_PKPS1_EviT_T9_T10_S9_lSB_S9_lSA_T11_S9_li, .Lfunc_end429-_ZL29rocblas_internal_gemmt_kernelIiLi16ELi32ELi8ELc67ELc78ELc76ELb1ELb0E19rocblas_complex_numIdES1_PKPKS1_PKPS1_EviT_T9_T10_S9_lSB_S9_lSA_T11_S9_li
                                        ; -- End function
	.set _ZL29rocblas_internal_gemmt_kernelIiLi16ELi32ELi8ELc67ELc78ELc76ELb1ELb0E19rocblas_complex_numIdES1_PKPKS1_PKPS1_EviT_T9_T10_S9_lSB_S9_lSA_T11_S9_li.num_vgpr, 62
	.set _ZL29rocblas_internal_gemmt_kernelIiLi16ELi32ELi8ELc67ELc78ELc76ELb1ELb0E19rocblas_complex_numIdES1_PKPKS1_PKPS1_EviT_T9_T10_S9_lSB_S9_lSA_T11_S9_li.num_agpr, 0
	.set _ZL29rocblas_internal_gemmt_kernelIiLi16ELi32ELi8ELc67ELc78ELc76ELb1ELb0E19rocblas_complex_numIdES1_PKPKS1_PKPS1_EviT_T9_T10_S9_lSB_S9_lSA_T11_S9_li.numbered_sgpr, 34
	.set _ZL29rocblas_internal_gemmt_kernelIiLi16ELi32ELi8ELc67ELc78ELc76ELb1ELb0E19rocblas_complex_numIdES1_PKPKS1_PKPS1_EviT_T9_T10_S9_lSB_S9_lSA_T11_S9_li.num_named_barrier, 0
	.set _ZL29rocblas_internal_gemmt_kernelIiLi16ELi32ELi8ELc67ELc78ELc76ELb1ELb0E19rocblas_complex_numIdES1_PKPKS1_PKPS1_EviT_T9_T10_S9_lSB_S9_lSA_T11_S9_li.private_seg_size, 0
	.set _ZL29rocblas_internal_gemmt_kernelIiLi16ELi32ELi8ELc67ELc78ELc76ELb1ELb0E19rocblas_complex_numIdES1_PKPKS1_PKPS1_EviT_T9_T10_S9_lSB_S9_lSA_T11_S9_li.uses_vcc, 1
	.set _ZL29rocblas_internal_gemmt_kernelIiLi16ELi32ELi8ELc67ELc78ELc76ELb1ELb0E19rocblas_complex_numIdES1_PKPKS1_PKPS1_EviT_T9_T10_S9_lSB_S9_lSA_T11_S9_li.uses_flat_scratch, 0
	.set _ZL29rocblas_internal_gemmt_kernelIiLi16ELi32ELi8ELc67ELc78ELc76ELb1ELb0E19rocblas_complex_numIdES1_PKPKS1_PKPS1_EviT_T9_T10_S9_lSB_S9_lSA_T11_S9_li.has_dyn_sized_stack, 0
	.set _ZL29rocblas_internal_gemmt_kernelIiLi16ELi32ELi8ELc67ELc78ELc76ELb1ELb0E19rocblas_complex_numIdES1_PKPKS1_PKPS1_EviT_T9_T10_S9_lSB_S9_lSA_T11_S9_li.has_recursion, 0
	.set _ZL29rocblas_internal_gemmt_kernelIiLi16ELi32ELi8ELc67ELc78ELc76ELb1ELb0E19rocblas_complex_numIdES1_PKPKS1_PKPS1_EviT_T9_T10_S9_lSB_S9_lSA_T11_S9_li.has_indirect_call, 0
	.section	.AMDGPU.csdata,"",@progbits
; Kernel info:
; codeLenInByte = 3104
; TotalNumSgprs: 40
; NumVgprs: 62
; NumAgprs: 0
; TotalNumVgprs: 62
; ScratchSize: 0
; MemoryBound: 1
; FloatMode: 240
; IeeeMode: 1
; LDSByteSize: 8192 bytes/workgroup (compile time only)
; SGPRBlocks: 4
; VGPRBlocks: 7
; NumSGPRsForWavesPerEU: 40
; NumVGPRsForWavesPerEU: 62
; AccumOffset: 64
; Occupancy: 8
; WaveLimiterHint : 1
; COMPUTE_PGM_RSRC2:SCRATCH_EN: 0
; COMPUTE_PGM_RSRC2:USER_SGPR: 2
; COMPUTE_PGM_RSRC2:TRAP_HANDLER: 0
; COMPUTE_PGM_RSRC2:TGID_X_EN: 1
; COMPUTE_PGM_RSRC2:TGID_Y_EN: 1
; COMPUTE_PGM_RSRC2:TGID_Z_EN: 1
; COMPUTE_PGM_RSRC2:TIDIG_COMP_CNT: 1
; COMPUTE_PGM_RSRC3_GFX90A:ACCUM_OFFSET: 15
; COMPUTE_PGM_RSRC3_GFX90A:TG_SPLIT: 0
	.section	.text._ZL29rocblas_internal_gemmt_kernelIiLi16ELi32ELi8ELc67ELc84ELc76ELb1ELb0E19rocblas_complex_numIdES1_PKPKS1_PKPS1_EviT_T9_T10_S9_lSB_S9_lSA_T11_S9_li,"axG",@progbits,_ZL29rocblas_internal_gemmt_kernelIiLi16ELi32ELi8ELc67ELc84ELc76ELb1ELb0E19rocblas_complex_numIdES1_PKPKS1_PKPS1_EviT_T9_T10_S9_lSB_S9_lSA_T11_S9_li,comdat
	.globl	_ZL29rocblas_internal_gemmt_kernelIiLi16ELi32ELi8ELc67ELc84ELc76ELb1ELb0E19rocblas_complex_numIdES1_PKPKS1_PKPS1_EviT_T9_T10_S9_lSB_S9_lSA_T11_S9_li ; -- Begin function _ZL29rocblas_internal_gemmt_kernelIiLi16ELi32ELi8ELc67ELc84ELc76ELb1ELb0E19rocblas_complex_numIdES1_PKPKS1_PKPS1_EviT_T9_T10_S9_lSB_S9_lSA_T11_S9_li
	.p2align	8
	.type	_ZL29rocblas_internal_gemmt_kernelIiLi16ELi32ELi8ELc67ELc84ELc76ELb1ELb0E19rocblas_complex_numIdES1_PKPKS1_PKPS1_EviT_T9_T10_S9_lSB_S9_lSA_T11_S9_li,@function
_ZL29rocblas_internal_gemmt_kernelIiLi16ELi32ELi8ELc67ELc84ELc76ELb1ELb0E19rocblas_complex_numIdES1_PKPKS1_PKPS1_EviT_T9_T10_S9_lSB_S9_lSA_T11_S9_li: ; @_ZL29rocblas_internal_gemmt_kernelIiLi16ELi32ELi8ELc67ELc84ELc76ELb1ELb0E19rocblas_complex_numIdES1_PKPKS1_PKPS1_EviT_T9_T10_S9_lSB_S9_lSA_T11_S9_li
; %bb.0:
	s_load_dwordx8 s[8:15], s[0:1], 0x40
	s_load_dwordx2 s[6:7], s[0:1], 0x0
	s_load_dwordx4 s[16:19], s[0:1], 0x8
	s_mov_b64 s[22:23], 0
	s_waitcnt lgkmcnt(0)
	v_cmp_eq_f64_e64 s[24:25], s[10:11], 1.0
	v_cmp_eq_f64_e64 s[20:21], s[12:13], 0
	s_and_b64 s[24:25], s[24:25], s[20:21]
	s_andn2_b64 vcc, exec, s[24:25]
	s_mov_b64 s[24:25], -1
	s_cbranch_vccnz .LBB430_4
; %bb.1:
	s_cmp_lg_u32 s7, 0
	s_cbranch_scc0 .LBB430_3
; %bb.2:
	v_cmp_neq_f64_e64 s[22:23], s[16:17], 0
	v_cmp_neq_f64_e64 s[24:25], s[18:19], 0
	s_or_b64 s[22:23], s[22:23], s[24:25]
.LBB430_3:
	s_mov_b64 s[24:25], s[22:23]
.LBB430_4:
	s_and_b64 vcc, exec, s[24:25]
	s_cbranch_vccz .LBB430_30
; %bb.5:
	s_mov_b32 s5, 0
	s_lshl_b64 s[22:23], s[4:5], 3
	s_add_u32 s14, s14, s22
	s_addc_u32 s15, s15, s23
	s_lshl_b32 s4, s2, 5
	s_lshl_b32 s26, s3, 5
	v_cmp_eq_f64_e64 s[2:3], s[16:17], 0
	v_cmp_eq_f64_e64 s[24:25], s[18:19], 0
	s_load_dwordx2 s[14:15], s[14:15], 0x0
	s_and_b64 s[2:3], s[2:3], s[24:25]
	s_cmp_lt_i32 s7, 1
	s_cselect_b64 s[24:25], -1, 0
	s_or_b64 s[2:3], s[2:3], s[24:25]
	v_and_b32_e32 v28, 0x3ff, v0
	v_bfe_u32 v29, v0, 10, 10
	v_mov_b64_e32 v[24:25], 0
	s_and_b64 vcc, exec, s[2:3]
	v_mov_b64_e32 v[26:27], 0
	v_mov_b64_e32 v[20:21], 0
	;; [unrolled: 1-line block ×7, first 2 shown]
	s_cbranch_vccnz .LBB430_14
; %bb.6:
	s_load_dwordx4 s[28:31], s[0:1], 0x28
	s_load_dword s24, s[0:1], 0x38
	s_load_dwordx2 s[2:3], s[0:1], 0x18
	s_load_dword s27, s[0:1], 0x20
	v_lshl_add_u32 v0, v29, 4, v28
	v_lshrrev_b32_e32 v31, 5, v0
	v_lshrrev_b32_e32 v1, 3, v0
	s_waitcnt lgkmcnt(0)
	s_ashr_i32 s25, s24, 31
	v_and_b32_e32 v0, 31, v0
	s_add_u32 s30, s30, s22
	v_or_b32_e32 v3, s4, v0
	s_addc_u32 s31, s31, s23
	v_and_b32_e32 v30, 7, v28
	s_add_u32 s2, s2, s22
	v_cmp_gt_i32_e32 vcc, s6, v3
	v_lshlrev_b32_e32 v3, 4, v0
	s_addc_u32 s3, s3, s23
	v_lshl_or_b32 v32, v31, 9, v3
	v_lshlrev_b32_e32 v3, 4, v30
	v_add_u32_e32 v2, s26, v1
	s_load_dwordx2 s[22:23], s[2:3], 0x0
	v_lshl_or_b32 v1, v1, 7, v3
	v_add_u32_e32 v33, 0x1000, v1
	v_mov_b32_e32 v1, 0x1000
	v_add_u32_e32 v0, s4, v0
	v_lshl_add_u32 v35, v29, 7, v1
	v_mad_i64_i32 v[0:1], s[34:35], s27, v0, 0
	s_lshl_b64 s[28:29], s[28:29], 4
	s_load_dwordx2 s[30:31], s[30:31], 0x0
	v_lshl_add_u64 v[4:5], v[0:1], 4, s[28:29]
	v_lshlrev_b32_e32 v0, 4, v31
	v_mov_b32_e32 v1, 0
	v_lshl_add_u64 v[4:5], v[4:5], 0, v[0:1]
	s_waitcnt lgkmcnt(0)
	v_lshl_add_u64 v[8:9], s[22:23], 0, v[4:5]
	v_mad_i64_i32 v[4:5], s[22:23], s24, v30, 0
	s_lshl_b64 s[8:9], s[8:9], 4
	v_ashrrev_i32_e32 v3, 31, v2
	v_lshl_add_u64 v[4:5], v[4:5], 4, s[8:9]
	v_cmp_gt_i32_e64 s[2:3], s6, v2
	v_lshl_add_u64 v[2:3], v[2:3], 4, v[4:5]
	v_lshlrev_b32_e32 v34, 4, v28
	v_lshl_add_u64 v[10:11], s[30:31], 0, v[2:3]
	s_lshl_b64 s[8:9], s[24:25], 7
	v_mov_b64_e32 v[12:13], 0
	s_xor_b64 s[22:23], s[2:3], -1
	s_mov_b64 s[24:25], 0x80
	v_mov_b32_e32 v0, v1
	v_mov_b32_e32 v2, v1
	;; [unrolled: 1-line block ×3, first 2 shown]
	v_mov_b64_e32 v[14:15], 0
	v_mov_b64_e32 v[18:19], 0
	;; [unrolled: 1-line block ×7, first 2 shown]
	s_branch .LBB430_8
.LBB430_7:                              ;   in Loop: Header=BB430_8 Depth=1
	s_or_b64 exec, exec, s[2:3]
	s_waitcnt lgkmcnt(0)
	s_barrier
	ds_read_b128 v[4:7], v34
	ds_read_b128 v[36:39], v35
	ds_read_b128 v[40:43], v35 offset:16
	ds_read_b128 v[44:47], v35 offset:32
	;; [unrolled: 1-line block ×4, first 2 shown]
	s_waitcnt lgkmcnt(4)
	v_mul_f64 v[56:57], v[38:39], v[6:7]
	v_fma_f64 v[56:57], v[36:37], v[4:5], -v[56:57]
	v_mul_f64 v[58:59], v[36:37], v[6:7]
	v_fmac_f64_e32 v[58:59], v[38:39], v[4:5]
	v_add_f64 v[56:57], v[24:25], v[56:57]
	s_waitcnt lgkmcnt(0)
	v_mul_f64 v[24:25], v[38:39], v[54:55]
	v_add_f64 v[58:59], v[58:59], v[26:27]
	v_fma_f64 v[60:61], v[36:37], v[52:53], -v[24:25]
	ds_read_b128 v[24:27], v35 offset:2048
	v_mul_f64 v[36:37], v[36:37], v[54:55]
	v_fmac_f64_e32 v[36:37], v[38:39], v[52:53]
	v_add_f64 v[38:39], v[20:21], v[60:61]
	v_add_f64 v[36:37], v[36:37], v[22:23]
	ds_read_b128 v[20:23], v35 offset:2064
	s_waitcnt lgkmcnt(1)
	v_mul_f64 v[60:61], v[26:27], v[6:7]
	v_mul_f64 v[6:7], v[24:25], v[6:7]
	v_fma_f64 v[60:61], v[24:25], v[4:5], -v[60:61]
	v_fmac_f64_e32 v[6:7], v[26:27], v[4:5]
	v_mul_f64 v[4:5], v[26:27], v[54:55]
	v_add_f64 v[16:17], v[16:17], v[60:61]
	v_add_f64 v[18:19], v[6:7], v[18:19]
	v_fma_f64 v[60:61], v[24:25], v[52:53], -v[4:5]
	v_mul_f64 v[24:25], v[24:25], v[54:55]
	ds_read_b128 v[4:7], v34 offset:512
	v_fmac_f64_e32 v[24:25], v[26:27], v[52:53]
	v_add_f64 v[26:27], v[14:15], v[60:61]
	v_add_f64 v[24:25], v[24:25], v[12:13]
	ds_read_b128 v[12:15], v34 offset:768
	s_waitcnt lgkmcnt(1)
	v_mul_f64 v[52:53], v[42:43], v[6:7]
	v_fma_f64 v[52:53], v[40:41], v[4:5], -v[52:53]
	v_add_f64 v[52:53], v[56:57], v[52:53]
	v_mul_f64 v[54:55], v[40:41], v[6:7]
	s_waitcnt lgkmcnt(0)
	v_mul_f64 v[56:57], v[42:43], v[14:15]
	v_fma_f64 v[56:57], v[40:41], v[12:13], -v[56:57]
	v_mul_f64 v[40:41], v[40:41], v[14:15]
	v_fmac_f64_e32 v[40:41], v[42:43], v[12:13]
	v_add_f64 v[36:37], v[40:41], v[36:37]
	v_mul_f64 v[40:41], v[22:23], v[6:7]
	v_mul_f64 v[6:7], v[20:21], v[6:7]
	v_fmac_f64_e32 v[54:55], v[42:43], v[4:5]
	v_fma_f64 v[40:41], v[20:21], v[4:5], -v[40:41]
	v_fmac_f64_e32 v[6:7], v[22:23], v[4:5]
	v_mul_f64 v[4:5], v[22:23], v[14:15]
	v_add_f64 v[40:41], v[16:17], v[40:41]
	v_add_f64 v[42:43], v[6:7], v[18:19]
	v_fma_f64 v[16:17], v[20:21], v[12:13], -v[4:5]
	v_mul_f64 v[14:15], v[20:21], v[14:15]
	ds_read_b128 v[4:7], v34 offset:1024
	v_fmac_f64_e32 v[14:15], v[22:23], v[12:13]
	v_add_f64 v[24:25], v[14:15], v[24:25]
	ds_read_b128 v[12:15], v34 offset:1280
	v_add_f64 v[26:27], v[26:27], v[16:17]
	s_waitcnt lgkmcnt(1)
	v_mul_f64 v[16:17], v[46:47], v[6:7]
	v_fma_f64 v[16:17], v[44:45], v[4:5], -v[16:17]
	v_mul_f64 v[18:19], v[44:45], v[6:7]
	v_add_f64 v[54:55], v[54:55], v[58:59]
	v_fmac_f64_e32 v[18:19], v[46:47], v[4:5]
	v_add_f64 v[52:53], v[52:53], v[16:17]
	s_waitcnt lgkmcnt(0)
	v_mul_f64 v[16:17], v[46:47], v[14:15]
	v_add_f64 v[54:55], v[18:19], v[54:55]
	v_fma_f64 v[20:21], v[44:45], v[12:13], -v[16:17]
	ds_read_b128 v[16:19], v35 offset:2080
	v_mul_f64 v[22:23], v[44:45], v[14:15]
	v_add_f64 v[38:39], v[38:39], v[56:57]
	v_fmac_f64_e32 v[22:23], v[46:47], v[12:13]
	v_add_f64 v[38:39], v[38:39], v[20:21]
	v_add_f64 v[36:37], v[22:23], v[36:37]
	ds_read_b128 v[20:23], v35 offset:2096
	s_waitcnt lgkmcnt(1)
	v_mul_f64 v[44:45], v[18:19], v[6:7]
	v_mul_f64 v[6:7], v[16:17], v[6:7]
	v_fma_f64 v[44:45], v[16:17], v[4:5], -v[44:45]
	v_fmac_f64_e32 v[6:7], v[18:19], v[4:5]
	v_mul_f64 v[4:5], v[18:19], v[14:15]
	v_mul_f64 v[14:15], v[16:17], v[14:15]
	v_fmac_f64_e32 v[14:15], v[18:19], v[12:13]
	v_add_f64 v[40:41], v[40:41], v[44:45]
	v_add_f64 v[42:43], v[6:7], v[42:43]
	v_fma_f64 v[44:45], v[16:17], v[12:13], -v[4:5]
	ds_read_b128 v[4:7], v34 offset:1536
	v_add_f64 v[18:19], v[14:15], v[24:25]
	ds_read_b128 v[12:15], v34 offset:1792
	v_add_f64 v[16:17], v[26:27], v[44:45]
	s_add_i32 s5, s5, 8
	s_waitcnt lgkmcnt(1)
	v_mul_f64 v[24:25], v[50:51], v[6:7]
	v_mul_f64 v[26:27], v[48:49], v[6:7]
	s_waitcnt lgkmcnt(0)
	v_mul_f64 v[44:45], v[50:51], v[14:15]
	v_fma_f64 v[44:45], v[48:49], v[12:13], -v[44:45]
	v_add_f64 v[38:39], v[38:39], v[44:45]
	v_mul_f64 v[44:45], v[22:23], v[6:7]
	v_mul_f64 v[6:7], v[20:21], v[6:7]
	v_fma_f64 v[24:25], v[48:49], v[4:5], -v[24:25]
	v_fmac_f64_e32 v[26:27], v[50:51], v[4:5]
	v_fma_f64 v[44:45], v[20:21], v[4:5], -v[44:45]
	v_fmac_f64_e32 v[6:7], v[22:23], v[4:5]
	v_mul_f64 v[4:5], v[22:23], v[14:15]
	v_mul_f64 v[46:47], v[48:49], v[14:15]
	v_add_f64 v[40:41], v[40:41], v[44:45]
	v_fma_f64 v[44:45], v[20:21], v[12:13], -v[4:5]
	v_mul_f64 v[20:21], v[20:21], v[14:15]
	v_fmac_f64_e32 v[46:47], v[50:51], v[12:13]
	v_add_f64 v[42:43], v[6:7], v[42:43]
	v_fmac_f64_e32 v[20:21], v[22:23], v[12:13]
	ds_read_b128 v[4:7], v35 offset:64
	ds_read_b128 v[12:15], v34 offset:2048
	v_add_f64 v[36:37], v[46:47], v[36:37]
	v_add_f64 v[44:45], v[16:17], v[44:45]
	;; [unrolled: 1-line block ×3, first 2 shown]
	ds_read_b128 v[16:19], v34 offset:2304
	ds_read_b128 v[20:23], v35 offset:80
	s_waitcnt lgkmcnt(2)
	v_mul_f64 v[48:49], v[6:7], v[14:15]
	v_add_f64 v[24:25], v[52:53], v[24:25]
	v_fma_f64 v[48:49], v[4:5], v[12:13], -v[48:49]
	v_mul_f64 v[50:51], v[4:5], v[14:15]
	v_add_f64 v[26:27], v[26:27], v[54:55]
	v_fmac_f64_e32 v[50:51], v[6:7], v[12:13]
	v_add_f64 v[48:49], v[24:25], v[48:49]
	s_waitcnt lgkmcnt(1)
	v_mul_f64 v[24:25], v[6:7], v[18:19]
	v_add_f64 v[50:51], v[50:51], v[26:27]
	v_fma_f64 v[52:53], v[4:5], v[16:17], -v[24:25]
	ds_read_b128 v[24:27], v35 offset:2112
	v_mul_f64 v[4:5], v[4:5], v[18:19]
	v_fmac_f64_e32 v[4:5], v[6:7], v[16:17]
	v_add_f64 v[38:39], v[38:39], v[52:53]
	v_add_f64 v[36:37], v[4:5], v[36:37]
	ds_read_b128 v[4:7], v35 offset:2128
	s_waitcnt lgkmcnt(1)
	v_mul_f64 v[52:53], v[26:27], v[14:15]
	v_mul_f64 v[14:15], v[24:25], v[14:15]
	v_fma_f64 v[52:53], v[24:25], v[12:13], -v[52:53]
	v_fmac_f64_e32 v[14:15], v[26:27], v[12:13]
	v_mul_f64 v[12:13], v[26:27], v[18:19]
	v_add_f64 v[40:41], v[40:41], v[52:53]
	v_add_f64 v[42:43], v[14:15], v[42:43]
	v_fma_f64 v[52:53], v[24:25], v[16:17], -v[12:13]
	v_mul_f64 v[18:19], v[24:25], v[18:19]
	ds_read_b128 v[12:15], v34 offset:2560
	v_fmac_f64_e32 v[18:19], v[26:27], v[16:17]
	v_add_f64 v[26:27], v[18:19], v[46:47]
	ds_read_b128 v[16:19], v34 offset:2816
	v_add_f64 v[24:25], v[44:45], v[52:53]
	s_waitcnt lgkmcnt(1)
	v_mul_f64 v[44:45], v[22:23], v[14:15]
	v_fma_f64 v[44:45], v[20:21], v[12:13], -v[44:45]
	v_add_f64 v[44:45], v[48:49], v[44:45]
	s_waitcnt lgkmcnt(0)
	v_mul_f64 v[48:49], v[22:23], v[18:19]
	v_mul_f64 v[46:47], v[20:21], v[14:15]
	v_fma_f64 v[48:49], v[20:21], v[16:17], -v[48:49]
	v_mul_f64 v[20:21], v[20:21], v[18:19]
	v_fmac_f64_e32 v[20:21], v[22:23], v[16:17]
	v_add_f64 v[36:37], v[20:21], v[36:37]
	v_mul_f64 v[20:21], v[6:7], v[14:15]
	v_mul_f64 v[14:15], v[4:5], v[14:15]
	v_fmac_f64_e32 v[46:47], v[22:23], v[12:13]
	v_fma_f64 v[20:21], v[4:5], v[12:13], -v[20:21]
	v_fmac_f64_e32 v[14:15], v[6:7], v[12:13]
	v_mul_f64 v[12:13], v[6:7], v[18:19]
	v_mul_f64 v[18:19], v[4:5], v[18:19]
	v_add_f64 v[40:41], v[40:41], v[20:21]
	v_add_f64 v[42:43], v[14:15], v[42:43]
	v_fma_f64 v[20:21], v[4:5], v[16:17], -v[12:13]
	v_fmac_f64_e32 v[18:19], v[6:7], v[16:17]
	ds_read_b128 v[4:7], v35 offset:96
	ds_read_b128 v[12:15], v34 offset:3072
	v_add_f64 v[46:47], v[46:47], v[50:51]
	v_add_f64 v[38:39], v[38:39], v[48:49]
	;; [unrolled: 1-line block ×4, first 2 shown]
	ds_read_b128 v[16:19], v34 offset:3328
	ds_read_b128 v[20:23], v35 offset:112
	s_waitcnt lgkmcnt(2)
	v_mul_f64 v[24:25], v[6:7], v[14:15]
	v_fma_f64 v[24:25], v[4:5], v[12:13], -v[24:25]
	v_mul_f64 v[26:27], v[4:5], v[14:15]
	v_fmac_f64_e32 v[26:27], v[6:7], v[12:13]
	v_add_f64 v[44:45], v[44:45], v[24:25]
	s_waitcnt lgkmcnt(1)
	v_mul_f64 v[24:25], v[6:7], v[18:19]
	v_add_f64 v[46:47], v[26:27], v[46:47]
	v_fma_f64 v[52:53], v[4:5], v[16:17], -v[24:25]
	ds_read_b128 v[24:27], v35 offset:2144
	v_mul_f64 v[4:5], v[4:5], v[18:19]
	v_fmac_f64_e32 v[4:5], v[6:7], v[16:17]
	v_add_f64 v[54:55], v[4:5], v[36:37]
	ds_read_b128 v[4:7], v35 offset:2160
	s_waitcnt lgkmcnt(1)
	v_mul_f64 v[36:37], v[26:27], v[14:15]
	v_mul_f64 v[14:15], v[24:25], v[14:15]
	v_fma_f64 v[36:37], v[24:25], v[12:13], -v[36:37]
	v_fmac_f64_e32 v[14:15], v[26:27], v[12:13]
	v_mul_f64 v[12:13], v[26:27], v[18:19]
	v_add_f64 v[40:41], v[40:41], v[36:37]
	v_add_f64 v[42:43], v[14:15], v[42:43]
	v_fma_f64 v[36:37], v[24:25], v[16:17], -v[12:13]
	ds_read_b128 v[12:15], v34 offset:3584
	v_add_f64 v[52:53], v[38:39], v[52:53]
	v_add_f64 v[48:49], v[48:49], v[36:37]
	ds_read_b128 v[36:39], v34 offset:3840
	v_mul_f64 v[18:19], v[24:25], v[18:19]
	v_fmac_f64_e32 v[18:19], v[26:27], v[16:17]
	s_waitcnt lgkmcnt(1)
	v_mul_f64 v[16:17], v[22:23], v[14:15]
	v_fma_f64 v[16:17], v[20:21], v[12:13], -v[16:17]
	v_add_f64 v[50:51], v[18:19], v[50:51]
	v_mul_f64 v[18:19], v[20:21], v[14:15]
	v_add_f64 v[24:25], v[44:45], v[16:17]
	s_waitcnt lgkmcnt(0)
	v_mul_f64 v[16:17], v[22:23], v[38:39]
	v_fmac_f64_e32 v[18:19], v[22:23], v[12:13]
	v_fma_f64 v[16:17], v[20:21], v[36:37], -v[16:17]
	v_add_f64 v[26:27], v[18:19], v[46:47]
	v_mul_f64 v[18:19], v[20:21], v[38:39]
	v_add_f64 v[20:21], v[52:53], v[16:17]
	v_mul_f64 v[16:17], v[6:7], v[14:15]
	v_mul_f64 v[14:15], v[4:5], v[14:15]
	v_fma_f64 v[16:17], v[4:5], v[12:13], -v[16:17]
	v_fmac_f64_e32 v[14:15], v[6:7], v[12:13]
	v_mul_f64 v[12:13], v[6:7], v[38:39]
	v_fma_f64 v[12:13], v[4:5], v[36:37], -v[12:13]
	v_mul_f64 v[4:5], v[4:5], v[38:39]
	v_fmac_f64_e32 v[18:19], v[22:23], v[36:37]
	v_fmac_f64_e32 v[4:5], v[6:7], v[36:37]
	v_add_f64 v[22:23], v[18:19], v[54:55]
	v_add_f64 v[16:17], v[40:41], v[16:17]
	;; [unrolled: 1-line block ×5, first 2 shown]
	v_lshl_add_u64 v[8:9], v[8:9], 0, s[24:25]
	s_cmp_lt_i32 s5, s7
	v_lshl_add_u64 v[10:11], v[10:11], 0, s[8:9]
	s_barrier
	s_cbranch_scc0 .LBB430_14
.LBB430_8:                              ; =>This Inner Loop Header: Depth=1
	v_add_u32_e32 v4, s5, v31
	v_cmp_gt_i32_e64 s[2:3], s7, v4
	s_and_b64 s[28:29], vcc, s[2:3]
	v_mov_b64_e32 v[4:5], 0
	v_mov_b64_e32 v[6:7], 0
	s_and_saveexec_b64 s[2:3], s[28:29]
	s_cbranch_execz .LBB430_10
; %bb.9:                                ;   in Loop: Header=BB430_8 Depth=1
	flat_load_dwordx4 v[4:7], v[8:9]
	s_waitcnt vmcnt(0) lgkmcnt(0)
	v_xor_b32_e32 v7, 0x80000000, v7
.LBB430_10:                             ;   in Loop: Header=BB430_8 Depth=1
	s_or_b64 exec, exec, s[2:3]
	ds_write_b128 v32, v[4:7]
	v_add_u32_e32 v4, s5, v30
	v_cmp_le_i32_e64 s[2:3], s7, v4
	s_or_b64 s[2:3], s[2:3], s[22:23]
	s_and_saveexec_b64 s[28:29], s[2:3]
	s_xor_b64 s[2:3], exec, s[28:29]
; %bb.11:                               ;   in Loop: Header=BB430_8 Depth=1
	ds_write_b128 v33, v[0:3]
; %bb.12:                               ;   in Loop: Header=BB430_8 Depth=1
	s_andn2_saveexec_b64 s[2:3], s[2:3]
	s_cbranch_execz .LBB430_7
; %bb.13:                               ;   in Loop: Header=BB430_8 Depth=1
	flat_load_dwordx4 v[4:7], v[10:11]
	s_waitcnt vmcnt(0) lgkmcnt(0)
	ds_write2_b64 v33, v[4:5], v[6:7] offset1:1
	s_branch .LBB430_7
.LBB430_14:
	s_load_dwordx2 s[2:3], s[0:1], 0x68
	s_load_dword s22, s[0:1], 0x60
	v_add_u32_e32 v4, s4, v28
	v_add_u32_e32 v10, s26, v29
	v_cmp_neq_f64_e64 s[0:1], s[10:11], 0
	s_waitcnt lgkmcnt(0)
	s_lshl_b64 s[2:3], s[2:3], 4
	s_add_u32 s8, s14, s2
	s_addc_u32 s9, s15, s3
	s_xor_b64 s[4:5], s[20:21], -1
	v_mad_i64_i32 v[0:1], s[2:3], v10, s22, 0
	s_or_b64 s[0:1], s[0:1], s[4:5]
	v_lshl_add_u64 v[8:9], v[0:1], 4, s[8:9]
	v_cmp_le_i32_e32 vcc, v10, v4
	v_cmp_gt_i32_e64 s[2:3], s6, v4
	v_cndmask_b32_e64 v0, 0, 1, s[0:1]
	s_and_b64 s[14:15], vcc, s[2:3]
	v_ashrrev_i32_e32 v5, 31, v4
	v_cmp_ne_u32_e64 s[0:1], 1, v0
	s_and_saveexec_b64 s[4:5], s[14:15]
	s_cbranch_execz .LBB430_18
; %bb.15:
	v_mul_f64 v[0:1], s[18:19], v[26:27]
	v_mul_f64 v[2:3], s[16:17], v[26:27]
	v_fma_f64 v[0:1], s[16:17], v[24:25], -v[0:1]
	v_fmac_f64_e32 v[2:3], s[18:19], v[24:25]
	s_and_b64 vcc, exec, s[0:1]
	v_lshl_add_u64 v[6:7], v[4:5], 4, v[8:9]
	s_cbranch_vccnz .LBB430_17
; %bb.16:
	flat_load_dwordx4 v[24:27], v[6:7]
	s_waitcnt vmcnt(0) lgkmcnt(0)
	v_mul_f64 v[28:29], s[12:13], v[26:27]
	v_mul_f64 v[26:27], s[10:11], v[26:27]
	v_fma_f64 v[28:29], s[10:11], v[24:25], -v[28:29]
	v_fmac_f64_e32 v[26:27], s[12:13], v[24:25]
	v_add_f64 v[0:1], v[0:1], v[28:29]
	v_add_f64 v[2:3], v[2:3], v[26:27]
.LBB430_17:
	flat_store_dwordx4 v[6:7], v[0:3]
.LBB430_18:
	s_or_b64 exec, exec, s[4:5]
	v_add_u32_e32 v6, 16, v4
	v_cmp_le_i32_e32 vcc, v10, v6
	v_cmp_gt_i32_e64 s[4:5], s6, v6
	s_and_b64 s[14:15], vcc, s[4:5]
	v_ashrrev_i32_e32 v7, 31, v6
	s_and_saveexec_b64 s[6:7], s[14:15]
	s_cbranch_execz .LBB430_22
; %bb.19:
	v_mul_f64 v[0:1], s[18:19], v[22:23]
	v_mul_f64 v[2:3], s[16:17], v[22:23]
	v_fma_f64 v[0:1], s[16:17], v[20:21], -v[0:1]
	v_fmac_f64_e32 v[2:3], s[18:19], v[20:21]
	s_and_b64 vcc, exec, s[0:1]
	v_lshl_add_u64 v[8:9], v[6:7], 4, v[8:9]
	s_cbranch_vccnz .LBB430_21
; %bb.20:
	flat_load_dwordx4 v[20:23], v[8:9]
	s_waitcnt vmcnt(0) lgkmcnt(0)
	v_mul_f64 v[24:25], s[12:13], v[22:23]
	v_mul_f64 v[22:23], s[10:11], v[22:23]
	v_fma_f64 v[24:25], s[10:11], v[20:21], -v[24:25]
	v_fmac_f64_e32 v[22:23], s[12:13], v[20:21]
	v_add_f64 v[0:1], v[0:1], v[24:25]
	v_add_f64 v[2:3], v[2:3], v[22:23]
.LBB430_21:
	flat_store_dwordx4 v[8:9], v[0:3]
.LBB430_22:
	s_or_b64 exec, exec, s[6:7]
	v_add_u32_e32 v10, 16, v10
	v_mad_i64_i32 v[0:1], s[6:7], v10, s22, 0
	v_cmp_le_i32_e32 vcc, v10, v4
	v_lshl_add_u64 v[8:9], v[0:1], 4, s[8:9]
	s_and_b64 s[6:7], vcc, s[2:3]
	s_and_saveexec_b64 s[2:3], s[6:7]
	s_cbranch_execz .LBB430_26
; %bb.23:
	v_mul_f64 v[0:1], s[18:19], v[18:19]
	v_mul_f64 v[2:3], s[16:17], v[18:19]
	v_fma_f64 v[0:1], s[16:17], v[16:17], -v[0:1]
	v_fmac_f64_e32 v[2:3], s[18:19], v[16:17]
	s_and_b64 vcc, exec, s[0:1]
	v_lshl_add_u64 v[4:5], v[4:5], 4, v[8:9]
	s_cbranch_vccnz .LBB430_25
; %bb.24:
	flat_load_dwordx4 v[16:19], v[4:5]
	s_waitcnt vmcnt(0) lgkmcnt(0)
	v_mul_f64 v[20:21], s[12:13], v[18:19]
	v_mul_f64 v[18:19], s[10:11], v[18:19]
	v_fma_f64 v[20:21], s[10:11], v[16:17], -v[20:21]
	v_fmac_f64_e32 v[18:19], s[12:13], v[16:17]
	v_add_f64 v[0:1], v[0:1], v[20:21]
	v_add_f64 v[2:3], v[2:3], v[18:19]
.LBB430_25:
	flat_store_dwordx4 v[4:5], v[0:3]
.LBB430_26:
	s_or_b64 exec, exec, s[2:3]
	v_cmp_le_i32_e32 vcc, v10, v6
	s_and_b64 s[2:3], vcc, s[4:5]
	s_and_saveexec_b64 s[4:5], s[2:3]
	s_cbranch_execz .LBB430_30
; %bb.27:
	v_mul_f64 v[0:1], s[18:19], v[12:13]
	v_mul_f64 v[2:3], s[16:17], v[12:13]
	v_fma_f64 v[0:1], s[16:17], v[14:15], -v[0:1]
	v_fmac_f64_e32 v[2:3], s[18:19], v[14:15]
	s_and_b64 vcc, exec, s[0:1]
	v_lshl_add_u64 v[4:5], v[6:7], 4, v[8:9]
	s_cbranch_vccnz .LBB430_29
; %bb.28:
	flat_load_dwordx4 v[6:9], v[4:5]
	s_waitcnt vmcnt(0) lgkmcnt(0)
	v_mul_f64 v[10:11], s[12:13], v[8:9]
	v_mul_f64 v[8:9], s[10:11], v[8:9]
	v_fma_f64 v[10:11], s[10:11], v[6:7], -v[10:11]
	v_fmac_f64_e32 v[8:9], s[12:13], v[6:7]
	v_add_f64 v[0:1], v[0:1], v[10:11]
	v_add_f64 v[2:3], v[2:3], v[8:9]
.LBB430_29:
	flat_store_dwordx4 v[4:5], v[0:3]
.LBB430_30:
	s_endpgm
	.section	.rodata,"a",@progbits
	.p2align	6, 0x0
	.amdhsa_kernel _ZL29rocblas_internal_gemmt_kernelIiLi16ELi32ELi8ELc67ELc84ELc76ELb1ELb0E19rocblas_complex_numIdES1_PKPKS1_PKPS1_EviT_T9_T10_S9_lSB_S9_lSA_T11_S9_li
		.amdhsa_group_segment_fixed_size 8192
		.amdhsa_private_segment_fixed_size 0
		.amdhsa_kernarg_size 116
		.amdhsa_user_sgpr_count 2
		.amdhsa_user_sgpr_dispatch_ptr 0
		.amdhsa_user_sgpr_queue_ptr 0
		.amdhsa_user_sgpr_kernarg_segment_ptr 1
		.amdhsa_user_sgpr_dispatch_id 0
		.amdhsa_user_sgpr_kernarg_preload_length 0
		.amdhsa_user_sgpr_kernarg_preload_offset 0
		.amdhsa_user_sgpr_private_segment_size 0
		.amdhsa_uses_dynamic_stack 0
		.amdhsa_enable_private_segment 0
		.amdhsa_system_sgpr_workgroup_id_x 1
		.amdhsa_system_sgpr_workgroup_id_y 1
		.amdhsa_system_sgpr_workgroup_id_z 1
		.amdhsa_system_sgpr_workgroup_info 0
		.amdhsa_system_vgpr_workitem_id 1
		.amdhsa_next_free_vgpr 62
		.amdhsa_next_free_sgpr 36
		.amdhsa_accum_offset 64
		.amdhsa_reserve_vcc 1
		.amdhsa_float_round_mode_32 0
		.amdhsa_float_round_mode_16_64 0
		.amdhsa_float_denorm_mode_32 3
		.amdhsa_float_denorm_mode_16_64 3
		.amdhsa_dx10_clamp 1
		.amdhsa_ieee_mode 1
		.amdhsa_fp16_overflow 0
		.amdhsa_tg_split 0
		.amdhsa_exception_fp_ieee_invalid_op 0
		.amdhsa_exception_fp_denorm_src 0
		.amdhsa_exception_fp_ieee_div_zero 0
		.amdhsa_exception_fp_ieee_overflow 0
		.amdhsa_exception_fp_ieee_underflow 0
		.amdhsa_exception_fp_ieee_inexact 0
		.amdhsa_exception_int_div_zero 0
	.end_amdhsa_kernel
	.section	.text._ZL29rocblas_internal_gemmt_kernelIiLi16ELi32ELi8ELc67ELc84ELc76ELb1ELb0E19rocblas_complex_numIdES1_PKPKS1_PKPS1_EviT_T9_T10_S9_lSB_S9_lSA_T11_S9_li,"axG",@progbits,_ZL29rocblas_internal_gemmt_kernelIiLi16ELi32ELi8ELc67ELc84ELc76ELb1ELb0E19rocblas_complex_numIdES1_PKPKS1_PKPS1_EviT_T9_T10_S9_lSB_S9_lSA_T11_S9_li,comdat
.Lfunc_end430:
	.size	_ZL29rocblas_internal_gemmt_kernelIiLi16ELi32ELi8ELc67ELc84ELc76ELb1ELb0E19rocblas_complex_numIdES1_PKPKS1_PKPS1_EviT_T9_T10_S9_lSB_S9_lSA_T11_S9_li, .Lfunc_end430-_ZL29rocblas_internal_gemmt_kernelIiLi16ELi32ELi8ELc67ELc84ELc76ELb1ELb0E19rocblas_complex_numIdES1_PKPKS1_PKPS1_EviT_T9_T10_S9_lSB_S9_lSA_T11_S9_li
                                        ; -- End function
	.set _ZL29rocblas_internal_gemmt_kernelIiLi16ELi32ELi8ELc67ELc84ELc76ELb1ELb0E19rocblas_complex_numIdES1_PKPKS1_PKPS1_EviT_T9_T10_S9_lSB_S9_lSA_T11_S9_li.num_vgpr, 62
	.set _ZL29rocblas_internal_gemmt_kernelIiLi16ELi32ELi8ELc67ELc84ELc76ELb1ELb0E19rocblas_complex_numIdES1_PKPKS1_PKPS1_EviT_T9_T10_S9_lSB_S9_lSA_T11_S9_li.num_agpr, 0
	.set _ZL29rocblas_internal_gemmt_kernelIiLi16ELi32ELi8ELc67ELc84ELc76ELb1ELb0E19rocblas_complex_numIdES1_PKPKS1_PKPS1_EviT_T9_T10_S9_lSB_S9_lSA_T11_S9_li.numbered_sgpr, 36
	.set _ZL29rocblas_internal_gemmt_kernelIiLi16ELi32ELi8ELc67ELc84ELc76ELb1ELb0E19rocblas_complex_numIdES1_PKPKS1_PKPS1_EviT_T9_T10_S9_lSB_S9_lSA_T11_S9_li.num_named_barrier, 0
	.set _ZL29rocblas_internal_gemmt_kernelIiLi16ELi32ELi8ELc67ELc84ELc76ELb1ELb0E19rocblas_complex_numIdES1_PKPKS1_PKPS1_EviT_T9_T10_S9_lSB_S9_lSA_T11_S9_li.private_seg_size, 0
	.set _ZL29rocblas_internal_gemmt_kernelIiLi16ELi32ELi8ELc67ELc84ELc76ELb1ELb0E19rocblas_complex_numIdES1_PKPKS1_PKPS1_EviT_T9_T10_S9_lSB_S9_lSA_T11_S9_li.uses_vcc, 1
	.set _ZL29rocblas_internal_gemmt_kernelIiLi16ELi32ELi8ELc67ELc84ELc76ELb1ELb0E19rocblas_complex_numIdES1_PKPKS1_PKPS1_EviT_T9_T10_S9_lSB_S9_lSA_T11_S9_li.uses_flat_scratch, 0
	.set _ZL29rocblas_internal_gemmt_kernelIiLi16ELi32ELi8ELc67ELc84ELc76ELb1ELb0E19rocblas_complex_numIdES1_PKPKS1_PKPS1_EviT_T9_T10_S9_lSB_S9_lSA_T11_S9_li.has_dyn_sized_stack, 0
	.set _ZL29rocblas_internal_gemmt_kernelIiLi16ELi32ELi8ELc67ELc84ELc76ELb1ELb0E19rocblas_complex_numIdES1_PKPKS1_PKPS1_EviT_T9_T10_S9_lSB_S9_lSA_T11_S9_li.has_recursion, 0
	.set _ZL29rocblas_internal_gemmt_kernelIiLi16ELi32ELi8ELc67ELc84ELc76ELb1ELb0E19rocblas_complex_numIdES1_PKPKS1_PKPS1_EviT_T9_T10_S9_lSB_S9_lSA_T11_S9_li.has_indirect_call, 0
	.section	.AMDGPU.csdata,"",@progbits
; Kernel info:
; codeLenInByte = 3112
; TotalNumSgprs: 42
; NumVgprs: 62
; NumAgprs: 0
; TotalNumVgprs: 62
; ScratchSize: 0
; MemoryBound: 1
; FloatMode: 240
; IeeeMode: 1
; LDSByteSize: 8192 bytes/workgroup (compile time only)
; SGPRBlocks: 5
; VGPRBlocks: 7
; NumSGPRsForWavesPerEU: 42
; NumVGPRsForWavesPerEU: 62
; AccumOffset: 64
; Occupancy: 8
; WaveLimiterHint : 1
; COMPUTE_PGM_RSRC2:SCRATCH_EN: 0
; COMPUTE_PGM_RSRC2:USER_SGPR: 2
; COMPUTE_PGM_RSRC2:TRAP_HANDLER: 0
; COMPUTE_PGM_RSRC2:TGID_X_EN: 1
; COMPUTE_PGM_RSRC2:TGID_Y_EN: 1
; COMPUTE_PGM_RSRC2:TGID_Z_EN: 1
; COMPUTE_PGM_RSRC2:TIDIG_COMP_CNT: 1
; COMPUTE_PGM_RSRC3_GFX90A:ACCUM_OFFSET: 15
; COMPUTE_PGM_RSRC3_GFX90A:TG_SPLIT: 0
	.section	.text._ZL29rocblas_internal_gemmt_kernelIiLi16ELi32ELi8ELc67ELc67ELc76ELb1ELb1E19rocblas_complex_numIdES1_PKPKS1_PKPS1_EviT_T9_T10_S9_lSB_S9_lSA_T11_S9_li,"axG",@progbits,_ZL29rocblas_internal_gemmt_kernelIiLi16ELi32ELi8ELc67ELc67ELc76ELb1ELb1E19rocblas_complex_numIdES1_PKPKS1_PKPS1_EviT_T9_T10_S9_lSB_S9_lSA_T11_S9_li,comdat
	.globl	_ZL29rocblas_internal_gemmt_kernelIiLi16ELi32ELi8ELc67ELc67ELc76ELb1ELb1E19rocblas_complex_numIdES1_PKPKS1_PKPS1_EviT_T9_T10_S9_lSB_S9_lSA_T11_S9_li ; -- Begin function _ZL29rocblas_internal_gemmt_kernelIiLi16ELi32ELi8ELc67ELc67ELc76ELb1ELb1E19rocblas_complex_numIdES1_PKPKS1_PKPS1_EviT_T9_T10_S9_lSB_S9_lSA_T11_S9_li
	.p2align	8
	.type	_ZL29rocblas_internal_gemmt_kernelIiLi16ELi32ELi8ELc67ELc67ELc76ELb1ELb1E19rocblas_complex_numIdES1_PKPKS1_PKPS1_EviT_T9_T10_S9_lSB_S9_lSA_T11_S9_li,@function
_ZL29rocblas_internal_gemmt_kernelIiLi16ELi32ELi8ELc67ELc67ELc76ELb1ELb1E19rocblas_complex_numIdES1_PKPKS1_PKPS1_EviT_T9_T10_S9_lSB_S9_lSA_T11_S9_li: ; @_ZL29rocblas_internal_gemmt_kernelIiLi16ELi32ELi8ELc67ELc67ELc76ELb1ELb1E19rocblas_complex_numIdES1_PKPKS1_PKPS1_EviT_T9_T10_S9_lSB_S9_lSA_T11_S9_li
; %bb.0:
	s_load_dwordx8 s[8:15], s[0:1], 0x40
	s_load_dwordx2 s[20:21], s[0:1], 0x0
	s_load_dwordx4 s[16:19], s[0:1], 0x8
	s_mov_b64 s[6:7], 0
	s_waitcnt lgkmcnt(0)
	v_cmp_eq_f64_e64 s[24:25], s[10:11], 1.0
	v_cmp_eq_f64_e64 s[22:23], s[12:13], 0
	s_and_b64 s[24:25], s[24:25], s[22:23]
	s_andn2_b64 vcc, exec, s[24:25]
	s_mov_b64 s[24:25], -1
	s_cbranch_vccnz .LBB431_4
; %bb.1:
	s_cmp_lg_u32 s21, 0
	s_cbranch_scc0 .LBB431_3
; %bb.2:
	v_cmp_neq_f64_e64 s[6:7], s[16:17], 0
	v_cmp_neq_f64_e64 s[24:25], s[18:19], 0
	s_or_b64 s[6:7], s[6:7], s[24:25]
.LBB431_3:
	s_mov_b64 s[24:25], s[6:7]
.LBB431_4:
	s_and_b64 vcc, exec, s[24:25]
	s_cbranch_vccz .LBB431_28
; %bb.5:
	s_mov_b32 s5, 0
	s_lshl_b64 s[6:7], s[4:5], 3
	s_add_u32 s14, s14, s6
	s_addc_u32 s15, s15, s7
	s_lshl_b32 s4, s2, 5
	s_lshl_b32 s26, s3, 5
	v_cmp_eq_f64_e64 s[2:3], s[16:17], 0
	v_cmp_eq_f64_e64 s[24:25], s[18:19], 0
	s_load_dwordx2 s[14:15], s[14:15], 0x0
	s_and_b64 s[2:3], s[2:3], s[24:25]
	s_cmp_lt_i32 s21, 1
	s_cselect_b64 s[24:25], -1, 0
	s_or_b64 s[2:3], s[2:3], s[24:25]
	v_and_b32_e32 v24, 0x3ff, v0
	v_bfe_u32 v25, v0, 10, 10
	v_mov_b64_e32 v[20:21], 0
	s_and_b64 vcc, exec, s[2:3]
	v_mov_b64_e32 v[22:23], 0
	v_mov_b64_e32 v[16:17], 0
	;; [unrolled: 1-line block ×7, first 2 shown]
	s_cbranch_vccnz .LBB431_12
; %bb.6:
	s_load_dwordx4 s[28:31], s[0:1], 0x28
	s_load_dword s24, s[0:1], 0x38
	s_load_dwordx2 s[2:3], s[0:1], 0x18
	s_load_dword s27, s[0:1], 0x20
	v_lshl_add_u32 v1, v25, 4, v24
	v_and_b32_e32 v3, 31, v1
	v_lshrrev_b32_e32 v27, 5, v1
	s_waitcnt lgkmcnt(0)
	s_ashr_i32 s25, s24, 31
	s_add_u32 s30, s30, s6
	v_lshrrev_b32_e32 v2, 3, v1
	v_or_b32_e32 v1, s4, v3
	s_addc_u32 s31, s31, s7
	v_and_b32_e32 v26, 7, v24
	s_add_u32 s2, s2, s6
	v_cmp_gt_i32_e32 vcc, s20, v1
	v_lshlrev_b32_e32 v1, 4, v3
	s_addc_u32 s3, s3, s7
	v_lshl_or_b32 v28, v27, 9, v1
	v_lshlrev_b32_e32 v1, 4, v26
	v_add_u32_e32 v0, s26, v2
	s_load_dwordx2 s[6:7], s[2:3], 0x0
	v_lshl_or_b32 v1, v2, 7, v1
	v_mov_b32_e32 v2, 0x1000
	v_lshl_add_u32 v31, v25, 7, v2
	v_add_u32_e32 v2, s4, v3
	v_mad_i64_i32 v[2:3], s[34:35], s27, v2, 0
	s_lshl_b64 s[28:29], s[28:29], 4
	v_lshl_add_u64 v[2:3], v[2:3], 4, s[28:29]
	v_lshlrev_b32_e32 v4, 4, v27
	v_mov_b32_e32 v5, 0
	s_load_dwordx2 s[30:31], s[30:31], 0x0
	v_lshl_add_u64 v[2:3], v[2:3], 0, v[4:5]
	s_waitcnt lgkmcnt(0)
	v_lshl_add_u64 v[4:5], s[6:7], 0, v[2:3]
	v_mad_i64_i32 v[2:3], s[6:7], s24, v26, 0
	s_lshl_b64 s[6:7], s[8:9], 4
	v_add_u32_e32 v29, 0x1000, v1
	v_ashrrev_i32_e32 v1, 31, v0
	v_lshl_add_u64 v[2:3], v[2:3], 4, s[6:7]
	v_cmp_gt_i32_e64 s[2:3], s20, v0
	v_lshl_add_u64 v[0:1], v[0:1], 4, v[2:3]
	v_lshlrev_b32_e32 v30, 4, v24
	v_lshl_add_u64 v[6:7], s[30:31], 0, v[0:1]
	s_lshl_b64 s[8:9], s[24:25], 7
	v_mov_b64_e32 v[8:9], 0
	s_mov_b64 s[24:25], 0x80
	v_mov_b64_e32 v[10:11], 0
	v_mov_b64_e32 v[14:15], 0
	;; [unrolled: 1-line block ×7, first 2 shown]
	s_branch .LBB431_8
.LBB431_7:                              ;   in Loop: Header=BB431_8 Depth=1
	s_or_b64 exec, exec, s[6:7]
	ds_write_b128 v29, v[0:3]
	s_waitcnt lgkmcnt(0)
	s_barrier
	ds_read_b128 v[0:3], v30
	ds_read_b128 v[32:35], v31
	ds_read_b128 v[36:39], v31 offset:16
	ds_read_b128 v[40:43], v31 offset:32
	ds_read_b128 v[44:47], v31 offset:48
	ds_read_b128 v[48:51], v30 offset:256
	s_waitcnt lgkmcnt(4)
	v_mul_f64 v[52:53], v[34:35], v[2:3]
	v_fma_f64 v[52:53], v[32:33], v[0:1], -v[52:53]
	v_mul_f64 v[54:55], v[32:33], v[2:3]
	v_fmac_f64_e32 v[54:55], v[34:35], v[0:1]
	v_add_f64 v[52:53], v[20:21], v[52:53]
	s_waitcnt lgkmcnt(0)
	v_mul_f64 v[20:21], v[34:35], v[50:51]
	v_add_f64 v[54:55], v[54:55], v[22:23]
	v_fma_f64 v[56:57], v[32:33], v[48:49], -v[20:21]
	ds_read_b128 v[20:23], v31 offset:2048
	v_mul_f64 v[32:33], v[32:33], v[50:51]
	v_fmac_f64_e32 v[32:33], v[34:35], v[48:49]
	v_add_f64 v[34:35], v[16:17], v[56:57]
	v_add_f64 v[32:33], v[32:33], v[18:19]
	ds_read_b128 v[16:19], v31 offset:2064
	s_waitcnt lgkmcnt(1)
	v_mul_f64 v[56:57], v[22:23], v[2:3]
	v_mul_f64 v[2:3], v[20:21], v[2:3]
	v_fma_f64 v[56:57], v[20:21], v[0:1], -v[56:57]
	v_fmac_f64_e32 v[2:3], v[22:23], v[0:1]
	v_mul_f64 v[0:1], v[22:23], v[50:51]
	v_add_f64 v[12:13], v[12:13], v[56:57]
	v_add_f64 v[14:15], v[2:3], v[14:15]
	v_fma_f64 v[56:57], v[20:21], v[48:49], -v[0:1]
	v_mul_f64 v[20:21], v[20:21], v[50:51]
	ds_read_b128 v[0:3], v30 offset:512
	v_fmac_f64_e32 v[20:21], v[22:23], v[48:49]
	v_add_f64 v[22:23], v[10:11], v[56:57]
	v_add_f64 v[20:21], v[20:21], v[8:9]
	ds_read_b128 v[8:11], v30 offset:768
	s_waitcnt lgkmcnt(1)
	v_mul_f64 v[48:49], v[38:39], v[2:3]
	v_fma_f64 v[48:49], v[36:37], v[0:1], -v[48:49]
	v_add_f64 v[48:49], v[52:53], v[48:49]
	v_mul_f64 v[50:51], v[36:37], v[2:3]
	s_waitcnt lgkmcnt(0)
	v_mul_f64 v[52:53], v[38:39], v[10:11]
	v_fma_f64 v[52:53], v[36:37], v[8:9], -v[52:53]
	v_mul_f64 v[36:37], v[36:37], v[10:11]
	v_fmac_f64_e32 v[36:37], v[38:39], v[8:9]
	v_add_f64 v[32:33], v[36:37], v[32:33]
	v_mul_f64 v[36:37], v[18:19], v[2:3]
	v_mul_f64 v[2:3], v[16:17], v[2:3]
	v_fmac_f64_e32 v[50:51], v[38:39], v[0:1]
	v_fma_f64 v[36:37], v[16:17], v[0:1], -v[36:37]
	v_fmac_f64_e32 v[2:3], v[18:19], v[0:1]
	v_mul_f64 v[0:1], v[18:19], v[10:11]
	v_add_f64 v[36:37], v[12:13], v[36:37]
	v_add_f64 v[38:39], v[2:3], v[14:15]
	v_fma_f64 v[12:13], v[16:17], v[8:9], -v[0:1]
	v_mul_f64 v[10:11], v[16:17], v[10:11]
	ds_read_b128 v[0:3], v30 offset:1024
	v_fmac_f64_e32 v[10:11], v[18:19], v[8:9]
	v_add_f64 v[20:21], v[10:11], v[20:21]
	ds_read_b128 v[8:11], v30 offset:1280
	v_add_f64 v[22:23], v[22:23], v[12:13]
	s_waitcnt lgkmcnt(1)
	v_mul_f64 v[12:13], v[42:43], v[2:3]
	v_fma_f64 v[12:13], v[40:41], v[0:1], -v[12:13]
	v_mul_f64 v[14:15], v[40:41], v[2:3]
	v_add_f64 v[50:51], v[50:51], v[54:55]
	v_fmac_f64_e32 v[14:15], v[42:43], v[0:1]
	v_add_f64 v[48:49], v[48:49], v[12:13]
	s_waitcnt lgkmcnt(0)
	v_mul_f64 v[12:13], v[42:43], v[10:11]
	v_add_f64 v[50:51], v[14:15], v[50:51]
	v_fma_f64 v[16:17], v[40:41], v[8:9], -v[12:13]
	ds_read_b128 v[12:15], v31 offset:2080
	v_mul_f64 v[18:19], v[40:41], v[10:11]
	v_add_f64 v[34:35], v[34:35], v[52:53]
	v_fmac_f64_e32 v[18:19], v[42:43], v[8:9]
	v_add_f64 v[34:35], v[34:35], v[16:17]
	v_add_f64 v[32:33], v[18:19], v[32:33]
	ds_read_b128 v[16:19], v31 offset:2096
	s_waitcnt lgkmcnt(1)
	v_mul_f64 v[40:41], v[14:15], v[2:3]
	v_mul_f64 v[2:3], v[12:13], v[2:3]
	v_fma_f64 v[40:41], v[12:13], v[0:1], -v[40:41]
	v_fmac_f64_e32 v[2:3], v[14:15], v[0:1]
	v_mul_f64 v[0:1], v[14:15], v[10:11]
	v_mul_f64 v[10:11], v[12:13], v[10:11]
	v_fmac_f64_e32 v[10:11], v[14:15], v[8:9]
	v_add_f64 v[36:37], v[36:37], v[40:41]
	v_add_f64 v[38:39], v[2:3], v[38:39]
	v_fma_f64 v[40:41], v[12:13], v[8:9], -v[0:1]
	ds_read_b128 v[0:3], v30 offset:1536
	v_add_f64 v[14:15], v[10:11], v[20:21]
	ds_read_b128 v[8:11], v30 offset:1792
	v_add_f64 v[12:13], v[22:23], v[40:41]
	s_add_i32 s5, s5, 8
	s_waitcnt lgkmcnt(1)
	v_mul_f64 v[20:21], v[46:47], v[2:3]
	v_mul_f64 v[22:23], v[44:45], v[2:3]
	s_waitcnt lgkmcnt(0)
	v_mul_f64 v[40:41], v[46:47], v[10:11]
	v_fma_f64 v[40:41], v[44:45], v[8:9], -v[40:41]
	v_add_f64 v[34:35], v[34:35], v[40:41]
	v_mul_f64 v[40:41], v[18:19], v[2:3]
	v_mul_f64 v[2:3], v[16:17], v[2:3]
	v_fma_f64 v[20:21], v[44:45], v[0:1], -v[20:21]
	v_fmac_f64_e32 v[22:23], v[46:47], v[0:1]
	v_fma_f64 v[40:41], v[16:17], v[0:1], -v[40:41]
	v_fmac_f64_e32 v[2:3], v[18:19], v[0:1]
	v_mul_f64 v[0:1], v[18:19], v[10:11]
	v_mul_f64 v[42:43], v[44:45], v[10:11]
	v_add_f64 v[36:37], v[36:37], v[40:41]
	v_fma_f64 v[40:41], v[16:17], v[8:9], -v[0:1]
	v_mul_f64 v[16:17], v[16:17], v[10:11]
	v_fmac_f64_e32 v[42:43], v[46:47], v[8:9]
	v_add_f64 v[38:39], v[2:3], v[38:39]
	v_fmac_f64_e32 v[16:17], v[18:19], v[8:9]
	ds_read_b128 v[0:3], v31 offset:64
	ds_read_b128 v[8:11], v30 offset:2048
	v_add_f64 v[32:33], v[42:43], v[32:33]
	v_add_f64 v[40:41], v[12:13], v[40:41]
	;; [unrolled: 1-line block ×3, first 2 shown]
	ds_read_b128 v[12:15], v30 offset:2304
	ds_read_b128 v[16:19], v31 offset:80
	s_waitcnt lgkmcnt(2)
	v_mul_f64 v[44:45], v[2:3], v[10:11]
	v_add_f64 v[20:21], v[48:49], v[20:21]
	v_fma_f64 v[44:45], v[0:1], v[8:9], -v[44:45]
	v_mul_f64 v[46:47], v[0:1], v[10:11]
	v_add_f64 v[22:23], v[22:23], v[50:51]
	v_fmac_f64_e32 v[46:47], v[2:3], v[8:9]
	v_add_f64 v[44:45], v[20:21], v[44:45]
	s_waitcnt lgkmcnt(1)
	v_mul_f64 v[20:21], v[2:3], v[14:15]
	v_add_f64 v[46:47], v[46:47], v[22:23]
	v_fma_f64 v[48:49], v[0:1], v[12:13], -v[20:21]
	ds_read_b128 v[20:23], v31 offset:2112
	v_mul_f64 v[0:1], v[0:1], v[14:15]
	v_fmac_f64_e32 v[0:1], v[2:3], v[12:13]
	v_add_f64 v[34:35], v[34:35], v[48:49]
	v_add_f64 v[32:33], v[0:1], v[32:33]
	ds_read_b128 v[0:3], v31 offset:2128
	s_waitcnt lgkmcnt(1)
	v_mul_f64 v[48:49], v[22:23], v[10:11]
	v_mul_f64 v[10:11], v[20:21], v[10:11]
	v_fma_f64 v[48:49], v[20:21], v[8:9], -v[48:49]
	v_fmac_f64_e32 v[10:11], v[22:23], v[8:9]
	v_mul_f64 v[8:9], v[22:23], v[14:15]
	v_add_f64 v[36:37], v[36:37], v[48:49]
	v_add_f64 v[38:39], v[10:11], v[38:39]
	v_fma_f64 v[48:49], v[20:21], v[12:13], -v[8:9]
	v_mul_f64 v[14:15], v[20:21], v[14:15]
	ds_read_b128 v[8:11], v30 offset:2560
	v_fmac_f64_e32 v[14:15], v[22:23], v[12:13]
	v_add_f64 v[22:23], v[14:15], v[42:43]
	ds_read_b128 v[12:15], v30 offset:2816
	v_add_f64 v[20:21], v[40:41], v[48:49]
	s_waitcnt lgkmcnt(1)
	v_mul_f64 v[40:41], v[18:19], v[10:11]
	v_fma_f64 v[40:41], v[16:17], v[8:9], -v[40:41]
	v_add_f64 v[40:41], v[44:45], v[40:41]
	s_waitcnt lgkmcnt(0)
	v_mul_f64 v[44:45], v[18:19], v[14:15]
	v_mul_f64 v[42:43], v[16:17], v[10:11]
	v_fma_f64 v[44:45], v[16:17], v[12:13], -v[44:45]
	v_mul_f64 v[16:17], v[16:17], v[14:15]
	v_fmac_f64_e32 v[16:17], v[18:19], v[12:13]
	v_add_f64 v[32:33], v[16:17], v[32:33]
	v_mul_f64 v[16:17], v[2:3], v[10:11]
	v_mul_f64 v[10:11], v[0:1], v[10:11]
	v_fmac_f64_e32 v[42:43], v[18:19], v[8:9]
	v_fma_f64 v[16:17], v[0:1], v[8:9], -v[16:17]
	v_fmac_f64_e32 v[10:11], v[2:3], v[8:9]
	v_mul_f64 v[8:9], v[2:3], v[14:15]
	v_mul_f64 v[14:15], v[0:1], v[14:15]
	v_add_f64 v[36:37], v[36:37], v[16:17]
	v_add_f64 v[38:39], v[10:11], v[38:39]
	v_fma_f64 v[16:17], v[0:1], v[12:13], -v[8:9]
	v_fmac_f64_e32 v[14:15], v[2:3], v[12:13]
	ds_read_b128 v[0:3], v31 offset:96
	ds_read_b128 v[8:11], v30 offset:3072
	v_add_f64 v[42:43], v[42:43], v[46:47]
	v_add_f64 v[34:35], v[34:35], v[44:45]
	;; [unrolled: 1-line block ×4, first 2 shown]
	ds_read_b128 v[12:15], v30 offset:3328
	ds_read_b128 v[16:19], v31 offset:112
	s_waitcnt lgkmcnt(2)
	v_mul_f64 v[20:21], v[2:3], v[10:11]
	v_fma_f64 v[20:21], v[0:1], v[8:9], -v[20:21]
	v_mul_f64 v[22:23], v[0:1], v[10:11]
	v_fmac_f64_e32 v[22:23], v[2:3], v[8:9]
	v_add_f64 v[40:41], v[40:41], v[20:21]
	s_waitcnt lgkmcnt(1)
	v_mul_f64 v[20:21], v[2:3], v[14:15]
	v_add_f64 v[42:43], v[22:23], v[42:43]
	v_fma_f64 v[48:49], v[0:1], v[12:13], -v[20:21]
	ds_read_b128 v[20:23], v31 offset:2144
	v_mul_f64 v[0:1], v[0:1], v[14:15]
	v_fmac_f64_e32 v[0:1], v[2:3], v[12:13]
	v_add_f64 v[50:51], v[0:1], v[32:33]
	ds_read_b128 v[0:3], v31 offset:2160
	s_waitcnt lgkmcnt(1)
	v_mul_f64 v[32:33], v[22:23], v[10:11]
	v_mul_f64 v[10:11], v[20:21], v[10:11]
	v_fma_f64 v[32:33], v[20:21], v[8:9], -v[32:33]
	v_fmac_f64_e32 v[10:11], v[22:23], v[8:9]
	v_mul_f64 v[8:9], v[22:23], v[14:15]
	v_add_f64 v[36:37], v[36:37], v[32:33]
	v_add_f64 v[38:39], v[10:11], v[38:39]
	v_fma_f64 v[32:33], v[20:21], v[12:13], -v[8:9]
	ds_read_b128 v[8:11], v30 offset:3584
	v_add_f64 v[48:49], v[34:35], v[48:49]
	v_add_f64 v[44:45], v[44:45], v[32:33]
	ds_read_b128 v[32:35], v30 offset:3840
	v_mul_f64 v[14:15], v[20:21], v[14:15]
	v_fmac_f64_e32 v[14:15], v[22:23], v[12:13]
	s_waitcnt lgkmcnt(1)
	v_mul_f64 v[12:13], v[18:19], v[10:11]
	v_fma_f64 v[12:13], v[16:17], v[8:9], -v[12:13]
	v_add_f64 v[46:47], v[14:15], v[46:47]
	v_mul_f64 v[14:15], v[16:17], v[10:11]
	v_add_f64 v[20:21], v[40:41], v[12:13]
	s_waitcnt lgkmcnt(0)
	v_mul_f64 v[12:13], v[18:19], v[34:35]
	v_fmac_f64_e32 v[14:15], v[18:19], v[8:9]
	v_fma_f64 v[12:13], v[16:17], v[32:33], -v[12:13]
	v_add_f64 v[22:23], v[14:15], v[42:43]
	v_mul_f64 v[14:15], v[16:17], v[34:35]
	v_add_f64 v[16:17], v[48:49], v[12:13]
	v_mul_f64 v[12:13], v[2:3], v[10:11]
	v_mul_f64 v[10:11], v[0:1], v[10:11]
	v_fma_f64 v[12:13], v[0:1], v[8:9], -v[12:13]
	v_fmac_f64_e32 v[10:11], v[2:3], v[8:9]
	v_mul_f64 v[8:9], v[2:3], v[34:35]
	v_fma_f64 v[8:9], v[0:1], v[32:33], -v[8:9]
	v_mul_f64 v[0:1], v[0:1], v[34:35]
	v_fmac_f64_e32 v[14:15], v[18:19], v[32:33]
	v_fmac_f64_e32 v[0:1], v[2:3], v[32:33]
	v_add_f64 v[18:19], v[14:15], v[50:51]
	v_add_f64 v[12:13], v[36:37], v[12:13]
	;; [unrolled: 1-line block ×5, first 2 shown]
	v_lshl_add_u64 v[4:5], v[4:5], 0, s[24:25]
	s_cmp_lt_i32 s5, s21
	v_lshl_add_u64 v[6:7], v[6:7], 0, s[8:9]
	s_barrier
	s_cbranch_scc0 .LBB431_12
.LBB431_8:                              ; =>This Inner Loop Header: Depth=1
	v_add_u32_e32 v0, s5, v27
	v_cmp_gt_i32_e64 s[6:7], s21, v0
	s_and_b64 s[28:29], vcc, s[6:7]
	v_mov_b64_e32 v[0:1], 0
	v_mov_b64_e32 v[2:3], 0
	s_and_saveexec_b64 s[6:7], s[28:29]
	s_cbranch_execz .LBB431_10
; %bb.9:                                ;   in Loop: Header=BB431_8 Depth=1
	flat_load_dwordx4 v[0:3], v[4:5]
	s_waitcnt vmcnt(0) lgkmcnt(0)
	v_xor_b32_e32 v3, 0x80000000, v3
.LBB431_10:                             ;   in Loop: Header=BB431_8 Depth=1
	s_or_b64 exec, exec, s[6:7]
	ds_write_b128 v28, v[0:3]
	v_add_u32_e32 v0, s5, v26
	v_cmp_gt_i32_e64 s[6:7], s21, v0
	s_and_b64 s[28:29], s[6:7], s[2:3]
	v_mov_b64_e32 v[0:1], 0
	v_mov_b64_e32 v[2:3], 0
	s_and_saveexec_b64 s[6:7], s[28:29]
	s_cbranch_execz .LBB431_7
; %bb.11:                               ;   in Loop: Header=BB431_8 Depth=1
	flat_load_dwordx4 v[0:3], v[6:7]
	s_waitcnt vmcnt(0) lgkmcnt(0)
	v_xor_b32_e32 v3, 0x80000000, v3
	s_branch .LBB431_7
.LBB431_12:
	s_load_dwordx2 s[2:3], s[0:1], 0x68
	s_load_dword s21, s[0:1], 0x60
	v_add_u32_e32 v4, s4, v24
	v_add_u32_e32 v26, s26, v25
	v_cmp_neq_f64_e64 s[0:1], s[10:11], 0
	s_waitcnt lgkmcnt(0)
	s_lshl_b64 s[2:3], s[2:3], 4
	s_add_u32 s6, s14, s2
	s_addc_u32 s7, s15, s3
	s_xor_b64 s[4:5], s[22:23], -1
	v_mad_i64_i32 v[0:1], s[2:3], v26, s21, 0
	s_or_b64 s[0:1], s[0:1], s[4:5]
	v_lshl_add_u64 v[24:25], v[0:1], 4, s[6:7]
	v_cmp_le_i32_e32 vcc, v26, v4
	v_cmp_gt_i32_e64 s[2:3], s20, v4
	v_cndmask_b32_e64 v0, 0, 1, s[0:1]
	s_and_b64 s[8:9], vcc, s[2:3]
	v_ashrrev_i32_e32 v5, 31, v4
	v_cmp_ne_u32_e64 s[0:1], 1, v0
	s_and_saveexec_b64 s[4:5], s[8:9]
	s_cbranch_execz .LBB431_16
; %bb.13:
	v_mul_f64 v[0:1], s[18:19], v[22:23]
	v_mul_f64 v[2:3], s[16:17], v[22:23]
	v_fma_f64 v[0:1], s[16:17], v[20:21], -v[0:1]
	v_fmac_f64_e32 v[2:3], s[18:19], v[20:21]
	s_and_b64 vcc, exec, s[0:1]
	v_lshl_add_u64 v[6:7], v[4:5], 4, v[24:25]
	s_cbranch_vccnz .LBB431_15
; %bb.14:
	flat_load_dwordx4 v[20:23], v[6:7]
	s_waitcnt vmcnt(0) lgkmcnt(0)
	v_mul_f64 v[28:29], s[12:13], v[22:23]
	v_mul_f64 v[22:23], s[10:11], v[22:23]
	v_fma_f64 v[28:29], s[10:11], v[20:21], -v[28:29]
	v_fmac_f64_e32 v[22:23], s[12:13], v[20:21]
	v_add_f64 v[0:1], v[0:1], v[28:29]
	v_add_f64 v[2:3], v[2:3], v[22:23]
.LBB431_15:
	flat_store_dwordx4 v[6:7], v[0:3]
.LBB431_16:
	s_or_b64 exec, exec, s[4:5]
	v_add_u32_e32 v6, 16, v4
	v_cmp_le_i32_e32 vcc, v26, v6
	v_cmp_gt_i32_e64 s[4:5], s20, v6
	s_and_b64 s[14:15], vcc, s[4:5]
	v_ashrrev_i32_e32 v7, 31, v6
	s_and_saveexec_b64 s[8:9], s[14:15]
	s_cbranch_execz .LBB431_20
; %bb.17:
	v_mul_f64 v[0:1], s[18:19], v[18:19]
	v_mul_f64 v[2:3], s[16:17], v[18:19]
	v_fma_f64 v[0:1], s[16:17], v[16:17], -v[0:1]
	v_fmac_f64_e32 v[2:3], s[18:19], v[16:17]
	s_and_b64 vcc, exec, s[0:1]
	v_lshl_add_u64 v[16:17], v[6:7], 4, v[24:25]
	s_cbranch_vccnz .LBB431_19
; %bb.18:
	flat_load_dwordx4 v[18:21], v[16:17]
	s_waitcnt vmcnt(0) lgkmcnt(0)
	v_mul_f64 v[22:23], s[12:13], v[20:21]
	v_mul_f64 v[20:21], s[10:11], v[20:21]
	v_fma_f64 v[22:23], s[10:11], v[18:19], -v[22:23]
	v_fmac_f64_e32 v[20:21], s[12:13], v[18:19]
	v_add_f64 v[0:1], v[0:1], v[22:23]
	v_add_f64 v[2:3], v[2:3], v[20:21]
.LBB431_19:
	flat_store_dwordx4 v[16:17], v[0:3]
.LBB431_20:
	s_or_b64 exec, exec, s[8:9]
	v_add_u32_e32 v18, 16, v26
	v_mad_i64_i32 v[0:1], s[8:9], v18, s21, 0
	v_cmp_le_i32_e32 vcc, v18, v4
	v_lshl_add_u64 v[16:17], v[0:1], 4, s[6:7]
	s_and_b64 s[6:7], vcc, s[2:3]
	s_and_saveexec_b64 s[2:3], s[6:7]
	s_cbranch_execz .LBB431_24
; %bb.21:
	v_mul_f64 v[0:1], s[18:19], v[14:15]
	v_mul_f64 v[2:3], s[16:17], v[14:15]
	v_fma_f64 v[0:1], s[16:17], v[12:13], -v[0:1]
	v_fmac_f64_e32 v[2:3], s[18:19], v[12:13]
	s_and_b64 vcc, exec, s[0:1]
	v_lshl_add_u64 v[4:5], v[4:5], 4, v[16:17]
	s_cbranch_vccnz .LBB431_23
; %bb.22:
	flat_load_dwordx4 v[12:15], v[4:5]
	s_waitcnt vmcnt(0) lgkmcnt(0)
	v_mul_f64 v[20:21], s[12:13], v[14:15]
	v_mul_f64 v[14:15], s[10:11], v[14:15]
	v_fma_f64 v[20:21], s[10:11], v[12:13], -v[20:21]
	v_fmac_f64_e32 v[14:15], s[12:13], v[12:13]
	v_add_f64 v[0:1], v[0:1], v[20:21]
	v_add_f64 v[2:3], v[2:3], v[14:15]
.LBB431_23:
	flat_store_dwordx4 v[4:5], v[0:3]
.LBB431_24:
	s_or_b64 exec, exec, s[2:3]
	v_cmp_le_i32_e32 vcc, v18, v6
	s_and_b64 s[2:3], vcc, s[4:5]
	s_and_saveexec_b64 s[4:5], s[2:3]
	s_cbranch_execz .LBB431_28
; %bb.25:
	v_mul_f64 v[0:1], s[18:19], v[8:9]
	v_mul_f64 v[2:3], s[16:17], v[8:9]
	v_fma_f64 v[0:1], s[16:17], v[10:11], -v[0:1]
	v_fmac_f64_e32 v[2:3], s[18:19], v[10:11]
	s_and_b64 vcc, exec, s[0:1]
	v_lshl_add_u64 v[4:5], v[6:7], 4, v[16:17]
	s_cbranch_vccnz .LBB431_27
; %bb.26:
	flat_load_dwordx4 v[6:9], v[4:5]
	s_waitcnt vmcnt(0) lgkmcnt(0)
	v_mul_f64 v[10:11], s[12:13], v[8:9]
	v_mul_f64 v[8:9], s[10:11], v[8:9]
	v_fma_f64 v[10:11], s[10:11], v[6:7], -v[10:11]
	v_fmac_f64_e32 v[8:9], s[12:13], v[6:7]
	v_add_f64 v[0:1], v[0:1], v[10:11]
	v_add_f64 v[2:3], v[2:3], v[8:9]
.LBB431_27:
	flat_store_dwordx4 v[4:5], v[0:3]
.LBB431_28:
	s_endpgm
	.section	.rodata,"a",@progbits
	.p2align	6, 0x0
	.amdhsa_kernel _ZL29rocblas_internal_gemmt_kernelIiLi16ELi32ELi8ELc67ELc67ELc76ELb1ELb1E19rocblas_complex_numIdES1_PKPKS1_PKPS1_EviT_T9_T10_S9_lSB_S9_lSA_T11_S9_li
		.amdhsa_group_segment_fixed_size 8192
		.amdhsa_private_segment_fixed_size 0
		.amdhsa_kernarg_size 116
		.amdhsa_user_sgpr_count 2
		.amdhsa_user_sgpr_dispatch_ptr 0
		.amdhsa_user_sgpr_queue_ptr 0
		.amdhsa_user_sgpr_kernarg_segment_ptr 1
		.amdhsa_user_sgpr_dispatch_id 0
		.amdhsa_user_sgpr_kernarg_preload_length 0
		.amdhsa_user_sgpr_kernarg_preload_offset 0
		.amdhsa_user_sgpr_private_segment_size 0
		.amdhsa_uses_dynamic_stack 0
		.amdhsa_enable_private_segment 0
		.amdhsa_system_sgpr_workgroup_id_x 1
		.amdhsa_system_sgpr_workgroup_id_y 1
		.amdhsa_system_sgpr_workgroup_id_z 1
		.amdhsa_system_sgpr_workgroup_info 0
		.amdhsa_system_vgpr_workitem_id 1
		.amdhsa_next_free_vgpr 58
		.amdhsa_next_free_sgpr 36
		.amdhsa_accum_offset 60
		.amdhsa_reserve_vcc 1
		.amdhsa_float_round_mode_32 0
		.amdhsa_float_round_mode_16_64 0
		.amdhsa_float_denorm_mode_32 3
		.amdhsa_float_denorm_mode_16_64 3
		.amdhsa_dx10_clamp 1
		.amdhsa_ieee_mode 1
		.amdhsa_fp16_overflow 0
		.amdhsa_tg_split 0
		.amdhsa_exception_fp_ieee_invalid_op 0
		.amdhsa_exception_fp_denorm_src 0
		.amdhsa_exception_fp_ieee_div_zero 0
		.amdhsa_exception_fp_ieee_overflow 0
		.amdhsa_exception_fp_ieee_underflow 0
		.amdhsa_exception_fp_ieee_inexact 0
		.amdhsa_exception_int_div_zero 0
	.end_amdhsa_kernel
	.section	.text._ZL29rocblas_internal_gemmt_kernelIiLi16ELi32ELi8ELc67ELc67ELc76ELb1ELb1E19rocblas_complex_numIdES1_PKPKS1_PKPS1_EviT_T9_T10_S9_lSB_S9_lSA_T11_S9_li,"axG",@progbits,_ZL29rocblas_internal_gemmt_kernelIiLi16ELi32ELi8ELc67ELc67ELc76ELb1ELb1E19rocblas_complex_numIdES1_PKPKS1_PKPS1_EviT_T9_T10_S9_lSB_S9_lSA_T11_S9_li,comdat
.Lfunc_end431:
	.size	_ZL29rocblas_internal_gemmt_kernelIiLi16ELi32ELi8ELc67ELc67ELc76ELb1ELb1E19rocblas_complex_numIdES1_PKPKS1_PKPS1_EviT_T9_T10_S9_lSB_S9_lSA_T11_S9_li, .Lfunc_end431-_ZL29rocblas_internal_gemmt_kernelIiLi16ELi32ELi8ELc67ELc67ELc76ELb1ELb1E19rocblas_complex_numIdES1_PKPKS1_PKPS1_EviT_T9_T10_S9_lSB_S9_lSA_T11_S9_li
                                        ; -- End function
	.set _ZL29rocblas_internal_gemmt_kernelIiLi16ELi32ELi8ELc67ELc67ELc76ELb1ELb1E19rocblas_complex_numIdES1_PKPKS1_PKPS1_EviT_T9_T10_S9_lSB_S9_lSA_T11_S9_li.num_vgpr, 58
	.set _ZL29rocblas_internal_gemmt_kernelIiLi16ELi32ELi8ELc67ELc67ELc76ELb1ELb1E19rocblas_complex_numIdES1_PKPKS1_PKPS1_EviT_T9_T10_S9_lSB_S9_lSA_T11_S9_li.num_agpr, 0
	.set _ZL29rocblas_internal_gemmt_kernelIiLi16ELi32ELi8ELc67ELc67ELc76ELb1ELb1E19rocblas_complex_numIdES1_PKPKS1_PKPS1_EviT_T9_T10_S9_lSB_S9_lSA_T11_S9_li.numbered_sgpr, 36
	.set _ZL29rocblas_internal_gemmt_kernelIiLi16ELi32ELi8ELc67ELc67ELc76ELb1ELb1E19rocblas_complex_numIdES1_PKPKS1_PKPS1_EviT_T9_T10_S9_lSB_S9_lSA_T11_S9_li.num_named_barrier, 0
	.set _ZL29rocblas_internal_gemmt_kernelIiLi16ELi32ELi8ELc67ELc67ELc76ELb1ELb1E19rocblas_complex_numIdES1_PKPKS1_PKPS1_EviT_T9_T10_S9_lSB_S9_lSA_T11_S9_li.private_seg_size, 0
	.set _ZL29rocblas_internal_gemmt_kernelIiLi16ELi32ELi8ELc67ELc67ELc76ELb1ELb1E19rocblas_complex_numIdES1_PKPKS1_PKPS1_EviT_T9_T10_S9_lSB_S9_lSA_T11_S9_li.uses_vcc, 1
	.set _ZL29rocblas_internal_gemmt_kernelIiLi16ELi32ELi8ELc67ELc67ELc76ELb1ELb1E19rocblas_complex_numIdES1_PKPKS1_PKPS1_EviT_T9_T10_S9_lSB_S9_lSA_T11_S9_li.uses_flat_scratch, 0
	.set _ZL29rocblas_internal_gemmt_kernelIiLi16ELi32ELi8ELc67ELc67ELc76ELb1ELb1E19rocblas_complex_numIdES1_PKPKS1_PKPS1_EviT_T9_T10_S9_lSB_S9_lSA_T11_S9_li.has_dyn_sized_stack, 0
	.set _ZL29rocblas_internal_gemmt_kernelIiLi16ELi32ELi8ELc67ELc67ELc76ELb1ELb1E19rocblas_complex_numIdES1_PKPKS1_PKPS1_EviT_T9_T10_S9_lSB_S9_lSA_T11_S9_li.has_recursion, 0
	.set _ZL29rocblas_internal_gemmt_kernelIiLi16ELi32ELi8ELc67ELc67ELc76ELb1ELb1E19rocblas_complex_numIdES1_PKPKS1_PKPS1_EviT_T9_T10_S9_lSB_S9_lSA_T11_S9_li.has_indirect_call, 0
	.section	.AMDGPU.csdata,"",@progbits
; Kernel info:
; codeLenInByte = 3096
; TotalNumSgprs: 42
; NumVgprs: 58
; NumAgprs: 0
; TotalNumVgprs: 58
; ScratchSize: 0
; MemoryBound: 1
; FloatMode: 240
; IeeeMode: 1
; LDSByteSize: 8192 bytes/workgroup (compile time only)
; SGPRBlocks: 5
; VGPRBlocks: 7
; NumSGPRsForWavesPerEU: 42
; NumVGPRsForWavesPerEU: 58
; AccumOffset: 60
; Occupancy: 8
; WaveLimiterHint : 1
; COMPUTE_PGM_RSRC2:SCRATCH_EN: 0
; COMPUTE_PGM_RSRC2:USER_SGPR: 2
; COMPUTE_PGM_RSRC2:TRAP_HANDLER: 0
; COMPUTE_PGM_RSRC2:TGID_X_EN: 1
; COMPUTE_PGM_RSRC2:TGID_Y_EN: 1
; COMPUTE_PGM_RSRC2:TGID_Z_EN: 1
; COMPUTE_PGM_RSRC2:TIDIG_COMP_CNT: 1
; COMPUTE_PGM_RSRC3_GFX90A:ACCUM_OFFSET: 14
; COMPUTE_PGM_RSRC3_GFX90A:TG_SPLIT: 0
	.section	.text._ZL29rocblas_internal_gemmt_kernelIlLi16ELi32ELi8ELc78ELc78ELc85ELb0ELb0EfPKfPKS1_PKPfEviT_T9_T10_S7_lS9_S7_lS8_T11_S7_li,"axG",@progbits,_ZL29rocblas_internal_gemmt_kernelIlLi16ELi32ELi8ELc78ELc78ELc85ELb0ELb0EfPKfPKS1_PKPfEviT_T9_T10_S7_lS9_S7_lS8_T11_S7_li,comdat
	.globl	_ZL29rocblas_internal_gemmt_kernelIlLi16ELi32ELi8ELc78ELc78ELc85ELb0ELb0EfPKfPKS1_PKPfEviT_T9_T10_S7_lS9_S7_lS8_T11_S7_li ; -- Begin function _ZL29rocblas_internal_gemmt_kernelIlLi16ELi32ELi8ELc78ELc78ELc85ELb0ELb0EfPKfPKS1_PKPfEviT_T9_T10_S7_lS9_S7_lS8_T11_S7_li
	.p2align	8
	.type	_ZL29rocblas_internal_gemmt_kernelIlLi16ELi32ELi8ELc78ELc78ELc85ELb0ELb0EfPKfPKS1_PKPfEviT_T9_T10_S7_lS9_S7_lS8_T11_S7_li,@function
_ZL29rocblas_internal_gemmt_kernelIlLi16ELi32ELi8ELc78ELc78ELc85ELb0ELb0EfPKfPKS1_PKPfEviT_T9_T10_S7_lS9_S7_lS8_T11_S7_li: ; @_ZL29rocblas_internal_gemmt_kernelIlLi16ELi32ELi8ELc78ELc78ELc85ELb0ELb0EfPKfPKS1_PKPfEviT_T9_T10_S7_lS9_S7_lS8_T11_S7_li
; %bb.0:
	s_load_dwordx8 s[24:31], s[0:1], 0x48
	s_load_dwordx16 s[8:23], s[0:1], 0x8
	s_waitcnt lgkmcnt(0)
	s_load_dword s33, s[24:25], 0x0
	s_load_dword s34, s[10:11], 0x0
	s_waitcnt lgkmcnt(0)
	v_cmp_neq_f32_e64 s[6:7], s33, 1.0
	s_and_b64 vcc, exec, s[6:7]
	s_cbranch_vccnz .LBB432_2
; %bb.1:
	s_cmp_lg_u64 s[8:9], 0
	s_cselect_b64 s[6:7], -1, 0
	v_cmp_neq_f32_e64 s[10:11], s34, 0
	s_and_b64 s[6:7], s[6:7], s[10:11]
.LBB432_2:
	s_andn2_b64 vcc, exec, s[6:7]
	s_cbranch_vccnz .LBB432_28
; %bb.3:
	s_mov_b32 s5, 0
	s_load_dword s24, s[0:1], 0x0
	s_lshl_b64 s[0:1], s[4:5], 3
	s_add_u32 s4, s26, s0
	s_addc_u32 s5, s27, s1
	s_load_dwordx2 s[4:5], s[4:5], 0x0
	s_lshl_b32 s25, s2, 5
	s_lshl_b32 s26, s3, 5
	v_cmp_eq_f32_e64 s[2:3], s34, 0
	v_cmp_lt_i64_e64 s[6:7], s[8:9], 1
	v_mov_b32_e32 v3, 0
	s_or_b64 s[2:3], s[2:3], s[6:7]
	v_and_b32_e32 v5, 0x3ff, v0
	v_bfe_u32 v7, v0, 10, 10
	s_and_b64 vcc, exec, s[2:3]
	v_mov_b32_e32 v2, v3
	v_mov_b32_e32 v1, v3
	;; [unrolled: 1-line block ×3, first 2 shown]
	s_cbranch_vccnz .LBB432_12
; %bb.4:
	s_add_u32 s2, s18, s0
	s_addc_u32 s3, s19, s1
	s_load_dwordx2 s[2:3], s[2:3], 0x0
	s_lshl_b64 s[6:7], s[22:23], 2
	v_lshl_add_u32 v0, v7, 4, v5
	v_and_b32_e32 v1, 31, v0
	v_lshrrev_b32_e32 v6, 5, v0
	s_waitcnt lgkmcnt(0)
	s_add_u32 s6, s2, s6
	s_addc_u32 s7, s3, s7
	s_add_u32 s0, s12, s0
	s_addc_u32 s1, s13, s1
	s_load_dwordx2 s[0:1], s[0:1], 0x0
	s_lshl_b64 s[2:3], s[16:17], 2
	v_lshrrev_b32_e32 v2, 3, v0
	v_or_b32_e32 v0, s25, v1
	v_lshlrev_b32_e32 v1, 2, v1
	s_waitcnt lgkmcnt(0)
	s_add_u32 s2, s0, s2
	v_and_b32_e32 v4, 7, v5
	s_addc_u32 s3, s1, s3
	v_lshl_or_b32 v14, v6, 7, v1
	v_ashrrev_i32_e32 v1, 31, v0
	v_cmp_gt_i32_e64 s[0:1], s24, v0
	v_lshl_add_u64 v[8:9], v[0:1], 2, s[2:3]
	v_lshlrev_b32_e32 v0, 2, v4
	v_add_u32_e32 v3, s26, v2
	v_lshl_or_b32 v0, v2, 5, v0
	v_add_u32_e32 v15, 0x400, v0
	v_ashrrev_i32_e32 v0, 31, v3
	v_mul_lo_u32 v2, s20, v0
	v_mul_lo_u32 v10, s21, v3
	v_mad_u64_u32 v[0:1], s[10:11], s20, v3, 0
	v_add3_u32 v1, v1, v2, v10
	v_lshl_add_u64 v[10:11], v[0:1], 2, s[6:7]
	v_mov_b32_e32 v0, 0x400
	v_mov_b32_e32 v13, 0
	v_cmp_gt_i32_e64 s[2:3], s24, v3
	v_lshlrev_b32_e32 v16, 2, v5
	v_lshl_add_u32 v17, v7, 5, v0
	s_mov_b64 s[6:7], 0
	v_mov_b32_e32 v0, v13
	v_mov_b32_e32 v1, v13
	;; [unrolled: 1-line block ×4, first 2 shown]
	s_branch .LBB432_6
.LBB432_5:                              ;   in Loop: Header=BB432_6 Depth=1
	s_or_b64 exec, exec, s[10:11]
	s_waitcnt vmcnt(0) lgkmcnt(0)
	ds_write_b32 v15, v18
	s_waitcnt lgkmcnt(0)
	s_barrier
	ds_read_b128 v[18:21], v17
	ds_read_b128 v[22:25], v17 offset:16
	ds_read2_b32 v[34:35], v16 offset1:16
	ds_read2_b32 v[36:37], v16 offset0:32 offset1:48
	ds_read2_b32 v[38:39], v16 offset0:64 offset1:80
	ds_read2_b32 v[40:41], v16 offset0:96 offset1:112
	ds_read2_b32 v[42:43], v16 offset0:128 offset1:144
	ds_read_b128 v[26:29], v17 offset:512
	ds_read_b128 v[30:33], v17 offset:528
	ds_read2_b32 v[44:45], v16 offset0:160 offset1:176
	ds_read2_b32 v[46:47], v16 offset0:192 offset1:208
	;; [unrolled: 1-line block ×3, first 2 shown]
	s_waitcnt lgkmcnt(9)
	v_pk_fma_f32 v[2:3], v[34:35], v[18:19], v[2:3] op_sel_hi:[1,0,1]
	v_mov_b32_e32 v12, v21
	s_waitcnt lgkmcnt(8)
	v_pk_fma_f32 v[2:3], v[36:37], v[18:19], v[2:3] op_sel:[0,1,0]
	s_waitcnt lgkmcnt(4)
	v_pk_fma_f32 v[0:1], v[34:35], v[26:27], v[0:1] op_sel_hi:[1,0,1]
	v_pk_fma_f32 v[2:3], v[38:39], v[20:21], v[2:3] op_sel_hi:[1,0,1]
	v_pk_fma_f32 v[0:1], v[36:37], v[26:27], v[0:1] op_sel:[0,1,0]
	v_pk_fma_f32 v[2:3], v[40:41], v[12:13], v[2:3] op_sel_hi:[1,0,1]
	v_mov_b32_e32 v12, v25
	v_pk_fma_f32 v[2:3], v[42:43], v[22:23], v[2:3] op_sel_hi:[1,0,1]
	v_pk_fma_f32 v[0:1], v[38:39], v[28:29], v[0:1] op_sel_hi:[1,0,1]
	s_waitcnt lgkmcnt(2)
	v_pk_fma_f32 v[2:3], v[44:45], v[22:23], v[2:3] op_sel:[0,1,0]
	s_add_u32 s6, s6, 8
	s_waitcnt lgkmcnt(1)
	v_pk_fma_f32 v[2:3], v[46:47], v[24:25], v[2:3] op_sel_hi:[1,0,1]
	s_addc_u32 s7, s7, 0
	s_waitcnt lgkmcnt(0)
	v_pk_fma_f32 v[2:3], v[48:49], v[12:13], v[2:3] op_sel_hi:[1,0,1]
	v_mov_b32_e32 v12, v29
	v_pk_fma_f32 v[0:1], v[40:41], v[12:13], v[0:1] op_sel_hi:[1,0,1]
	v_mov_b64_e32 v[18:19], s[6:7]
	v_pk_fma_f32 v[0:1], v[42:43], v[30:31], v[0:1] op_sel_hi:[1,0,1]
	v_mov_b32_e32 v12, v33
	v_pk_fma_f32 v[0:1], v[44:45], v[30:31], v[0:1] op_sel:[0,1,0]
	v_cmp_gt_i64_e32 vcc, s[8:9], v[18:19]
	v_pk_fma_f32 v[0:1], v[46:47], v[32:33], v[0:1] op_sel_hi:[1,0,1]
	s_nop 0
	v_pk_fma_f32 v[0:1], v[48:49], v[12:13], v[0:1] op_sel_hi:[1,0,1]
	s_barrier
	s_cbranch_vccz .LBB432_12
.LBB432_6:                              ; =>This Inner Loop Header: Depth=1
	v_mov_b32_e32 v18, 0
	s_and_saveexec_b64 s[10:11], s[0:1]
	s_cbranch_execz .LBB432_10
; %bb.7:                                ;   in Loop: Header=BB432_6 Depth=1
	v_add_u32_e32 v12, s6, v6
	v_cmp_gt_u64_e32 vcc, s[8:9], v[12:13]
	v_mov_b32_e32 v18, 0
	s_and_saveexec_b64 s[12:13], vcc
	s_cbranch_execz .LBB432_9
; %bb.8:                                ;   in Loop: Header=BB432_6 Depth=1
	v_mad_u64_u32 v[18:19], s[16:17], s14, v12, 0
	v_mov_b32_e32 v20, v19
	v_mad_u64_u32 v[20:21], s[16:17], s15, v12, v[20:21]
	v_mov_b32_e32 v19, v20
	v_lshl_add_u64 v[18:19], v[18:19], 2, v[8:9]
	flat_load_dword v18, v[18:19]
.LBB432_9:                              ;   in Loop: Header=BB432_6 Depth=1
	s_or_b64 exec, exec, s[12:13]
.LBB432_10:                             ;   in Loop: Header=BB432_6 Depth=1
	s_or_b64 exec, exec, s[10:11]
	v_add_u32_e32 v12, s6, v4
	v_cmp_gt_u64_e32 vcc, s[8:9], v[12:13]
	s_waitcnt vmcnt(0) lgkmcnt(0)
	ds_write_b32 v14, v18
	s_and_b64 s[12:13], vcc, s[2:3]
	v_mov_b32_e32 v18, 0
	s_and_saveexec_b64 s[10:11], s[12:13]
	s_cbranch_execz .LBB432_5
; %bb.11:                               ;   in Loop: Header=BB432_6 Depth=1
	v_lshl_add_u64 v[18:19], v[12:13], 2, v[10:11]
	flat_load_dword v18, v[18:19]
	s_branch .LBB432_5
.LBB432_12:
	s_lshl_b64 s[0:1], s[30:31], 2
	v_add_u32_e32 v10, s26, v7
	s_waitcnt lgkmcnt(0)
	s_add_u32 s4, s4, s0
	v_add_u32_e32 v4, s25, v5
	v_ashrrev_i32_e32 v5, 31, v10
	s_addc_u32 s5, s5, s1
	v_mul_lo_u32 v5, s28, v5
	v_mul_lo_u32 v8, s29, v10
	v_mad_u64_u32 v[6:7], s[0:1], s28, v10, 0
	v_add3_u32 v7, v7, v5, v8
	v_cmp_neq_f32_e64 s[0:1], s33, 0
	v_cmp_gt_i32_e64 s[2:3], s24, v10
	v_lshl_add_u64 v[8:9], v[6:7], 2, s[4:5]
	v_cmp_le_i32_e32 vcc, v4, v10
	v_cndmask_b32_e64 v6, 0, 1, s[0:1]
	s_and_b64 s[8:9], s[2:3], vcc
	v_ashrrev_i32_e32 v5, 31, v4
	v_cmp_ne_u32_e64 s[0:1], 1, v6
	s_and_saveexec_b64 s[6:7], s[8:9]
	s_cbranch_execz .LBB432_16
; %bb.13:
	v_mul_f32_e32 v2, s34, v2
	s_and_b64 vcc, exec, s[0:1]
	v_lshl_add_u64 v[6:7], v[4:5], 2, v[8:9]
	s_cbranch_vccnz .LBB432_15
; %bb.14:
	flat_load_dword v11, v[6:7]
	s_waitcnt vmcnt(0) lgkmcnt(0)
	v_fmac_f32_e32 v2, s33, v11
.LBB432_15:
	flat_store_dword v[6:7], v2
.LBB432_16:
	s_or_b64 exec, exec, s[6:7]
	v_add_u32_e32 v6, 16, v4
	v_cmp_le_i32_e32 vcc, v6, v10
	s_and_b64 s[6:7], s[2:3], vcc
	v_ashrrev_i32_e32 v7, 31, v6
	s_and_saveexec_b64 s[2:3], s[6:7]
	s_cbranch_execz .LBB432_20
; %bb.17:
	v_mul_f32_e32 v11, s34, v3
	s_and_b64 vcc, exec, s[0:1]
	v_lshl_add_u64 v[2:3], v[6:7], 2, v[8:9]
	s_cbranch_vccnz .LBB432_19
; %bb.18:
	flat_load_dword v8, v[2:3]
	s_waitcnt vmcnt(0) lgkmcnt(0)
	v_fmac_f32_e32 v11, s33, v8
.LBB432_19:
	flat_store_dword v[2:3], v11
.LBB432_20:
	s_or_b64 exec, exec, s[2:3]
	v_add_u32_e32 v8, 16, v10
	v_ashrrev_i32_e32 v2, 31, v8
	v_mul_lo_u32 v9, s28, v2
	v_mul_lo_u32 v10, s29, v8
	v_mad_u64_u32 v[2:3], s[6:7], s28, v8, 0
	v_cmp_gt_i32_e64 s[2:3], s24, v8
	v_add3_u32 v3, v3, v9, v10
	v_cmp_le_i32_e32 vcc, v4, v8
	v_lshl_add_u64 v[2:3], v[2:3], 2, s[4:5]
	s_and_b64 s[6:7], s[2:3], vcc
	s_and_saveexec_b64 s[4:5], s[6:7]
	s_cbranch_execz .LBB432_24
; %bb.21:
	v_mul_f32_e32 v0, s34, v0
	s_and_b64 vcc, exec, s[0:1]
	v_lshl_add_u64 v[4:5], v[4:5], 2, v[2:3]
	s_cbranch_vccnz .LBB432_23
; %bb.22:
	flat_load_dword v9, v[4:5]
	s_waitcnt vmcnt(0) lgkmcnt(0)
	v_fmac_f32_e32 v0, s33, v9
.LBB432_23:
	flat_store_dword v[4:5], v0
.LBB432_24:
	s_or_b64 exec, exec, s[4:5]
	v_cmp_le_i32_e32 vcc, v6, v8
	s_and_b64 s[2:3], s[2:3], vcc
	s_and_saveexec_b64 s[4:5], s[2:3]
	s_cbranch_execz .LBB432_28
; %bb.25:
	v_mul_f32_e32 v4, s34, v1
	s_and_b64 vcc, exec, s[0:1]
	v_lshl_add_u64 v[0:1], v[6:7], 2, v[2:3]
	s_cbranch_vccnz .LBB432_27
; %bb.26:
	flat_load_dword v2, v[0:1]
	s_waitcnt vmcnt(0) lgkmcnt(0)
	v_fmac_f32_e32 v4, s33, v2
.LBB432_27:
	flat_store_dword v[0:1], v4
.LBB432_28:
	s_endpgm
	.section	.rodata,"a",@progbits
	.p2align	6, 0x0
	.amdhsa_kernel _ZL29rocblas_internal_gemmt_kernelIlLi16ELi32ELi8ELc78ELc78ELc85ELb0ELb0EfPKfPKS1_PKPfEviT_T9_T10_S7_lS9_S7_lS8_T11_S7_li
		.amdhsa_group_segment_fixed_size 2048
		.amdhsa_private_segment_fixed_size 0
		.amdhsa_kernarg_size 108
		.amdhsa_user_sgpr_count 2
		.amdhsa_user_sgpr_dispatch_ptr 0
		.amdhsa_user_sgpr_queue_ptr 0
		.amdhsa_user_sgpr_kernarg_segment_ptr 1
		.amdhsa_user_sgpr_dispatch_id 0
		.amdhsa_user_sgpr_kernarg_preload_length 0
		.amdhsa_user_sgpr_kernarg_preload_offset 0
		.amdhsa_user_sgpr_private_segment_size 0
		.amdhsa_uses_dynamic_stack 0
		.amdhsa_enable_private_segment 0
		.amdhsa_system_sgpr_workgroup_id_x 1
		.amdhsa_system_sgpr_workgroup_id_y 1
		.amdhsa_system_sgpr_workgroup_id_z 1
		.amdhsa_system_sgpr_workgroup_info 0
		.amdhsa_system_vgpr_workitem_id 1
		.amdhsa_next_free_vgpr 50
		.amdhsa_next_free_sgpr 35
		.amdhsa_accum_offset 52
		.amdhsa_reserve_vcc 1
		.amdhsa_float_round_mode_32 0
		.amdhsa_float_round_mode_16_64 0
		.amdhsa_float_denorm_mode_32 3
		.amdhsa_float_denorm_mode_16_64 3
		.amdhsa_dx10_clamp 1
		.amdhsa_ieee_mode 1
		.amdhsa_fp16_overflow 0
		.amdhsa_tg_split 0
		.amdhsa_exception_fp_ieee_invalid_op 0
		.amdhsa_exception_fp_denorm_src 0
		.amdhsa_exception_fp_ieee_div_zero 0
		.amdhsa_exception_fp_ieee_overflow 0
		.amdhsa_exception_fp_ieee_underflow 0
		.amdhsa_exception_fp_ieee_inexact 0
		.amdhsa_exception_int_div_zero 0
	.end_amdhsa_kernel
	.section	.text._ZL29rocblas_internal_gemmt_kernelIlLi16ELi32ELi8ELc78ELc78ELc85ELb0ELb0EfPKfPKS1_PKPfEviT_T9_T10_S7_lS9_S7_lS8_T11_S7_li,"axG",@progbits,_ZL29rocblas_internal_gemmt_kernelIlLi16ELi32ELi8ELc78ELc78ELc85ELb0ELb0EfPKfPKS1_PKPfEviT_T9_T10_S7_lS9_S7_lS8_T11_S7_li,comdat
.Lfunc_end432:
	.size	_ZL29rocblas_internal_gemmt_kernelIlLi16ELi32ELi8ELc78ELc78ELc85ELb0ELb0EfPKfPKS1_PKPfEviT_T9_T10_S7_lS9_S7_lS8_T11_S7_li, .Lfunc_end432-_ZL29rocblas_internal_gemmt_kernelIlLi16ELi32ELi8ELc78ELc78ELc85ELb0ELb0EfPKfPKS1_PKPfEviT_T9_T10_S7_lS9_S7_lS8_T11_S7_li
                                        ; -- End function
	.set _ZL29rocblas_internal_gemmt_kernelIlLi16ELi32ELi8ELc78ELc78ELc85ELb0ELb0EfPKfPKS1_PKPfEviT_T9_T10_S7_lS9_S7_lS8_T11_S7_li.num_vgpr, 50
	.set _ZL29rocblas_internal_gemmt_kernelIlLi16ELi32ELi8ELc78ELc78ELc85ELb0ELb0EfPKfPKS1_PKPfEviT_T9_T10_S7_lS9_S7_lS8_T11_S7_li.num_agpr, 0
	.set _ZL29rocblas_internal_gemmt_kernelIlLi16ELi32ELi8ELc78ELc78ELc85ELb0ELb0EfPKfPKS1_PKPfEviT_T9_T10_S7_lS9_S7_lS8_T11_S7_li.numbered_sgpr, 35
	.set _ZL29rocblas_internal_gemmt_kernelIlLi16ELi32ELi8ELc78ELc78ELc85ELb0ELb0EfPKfPKS1_PKPfEviT_T9_T10_S7_lS9_S7_lS8_T11_S7_li.num_named_barrier, 0
	.set _ZL29rocblas_internal_gemmt_kernelIlLi16ELi32ELi8ELc78ELc78ELc85ELb0ELb0EfPKfPKS1_PKPfEviT_T9_T10_S7_lS9_S7_lS8_T11_S7_li.private_seg_size, 0
	.set _ZL29rocblas_internal_gemmt_kernelIlLi16ELi32ELi8ELc78ELc78ELc85ELb0ELb0EfPKfPKS1_PKPfEviT_T9_T10_S7_lS9_S7_lS8_T11_S7_li.uses_vcc, 1
	.set _ZL29rocblas_internal_gemmt_kernelIlLi16ELi32ELi8ELc78ELc78ELc85ELb0ELb0EfPKfPKS1_PKPfEviT_T9_T10_S7_lS9_S7_lS8_T11_S7_li.uses_flat_scratch, 0
	.set _ZL29rocblas_internal_gemmt_kernelIlLi16ELi32ELi8ELc78ELc78ELc85ELb0ELb0EfPKfPKS1_PKPfEviT_T9_T10_S7_lS9_S7_lS8_T11_S7_li.has_dyn_sized_stack, 0
	.set _ZL29rocblas_internal_gemmt_kernelIlLi16ELi32ELi8ELc78ELc78ELc85ELb0ELb0EfPKfPKS1_PKPfEviT_T9_T10_S7_lS9_S7_lS8_T11_S7_li.has_recursion, 0
	.set _ZL29rocblas_internal_gemmt_kernelIlLi16ELi32ELi8ELc78ELc78ELc85ELb0ELb0EfPKfPKS1_PKPfEviT_T9_T10_S7_lS9_S7_lS8_T11_S7_li.has_indirect_call, 0
	.section	.AMDGPU.csdata,"",@progbits
; Kernel info:
; codeLenInByte = 1308
; TotalNumSgprs: 41
; NumVgprs: 50
; NumAgprs: 0
; TotalNumVgprs: 50
; ScratchSize: 0
; MemoryBound: 0
; FloatMode: 240
; IeeeMode: 1
; LDSByteSize: 2048 bytes/workgroup (compile time only)
; SGPRBlocks: 5
; VGPRBlocks: 6
; NumSGPRsForWavesPerEU: 41
; NumVGPRsForWavesPerEU: 50
; AccumOffset: 52
; Occupancy: 8
; WaveLimiterHint : 1
; COMPUTE_PGM_RSRC2:SCRATCH_EN: 0
; COMPUTE_PGM_RSRC2:USER_SGPR: 2
; COMPUTE_PGM_RSRC2:TRAP_HANDLER: 0
; COMPUTE_PGM_RSRC2:TGID_X_EN: 1
; COMPUTE_PGM_RSRC2:TGID_Y_EN: 1
; COMPUTE_PGM_RSRC2:TGID_Z_EN: 1
; COMPUTE_PGM_RSRC2:TIDIG_COMP_CNT: 1
; COMPUTE_PGM_RSRC3_GFX90A:ACCUM_OFFSET: 12
; COMPUTE_PGM_RSRC3_GFX90A:TG_SPLIT: 0
	.section	.text._ZL29rocblas_internal_gemmt_kernelIlLi16ELi32ELi8ELc78ELc84ELc85ELb0ELb0EfPKfPKS1_PKPfEviT_T9_T10_S7_lS9_S7_lS8_T11_S7_li,"axG",@progbits,_ZL29rocblas_internal_gemmt_kernelIlLi16ELi32ELi8ELc78ELc84ELc85ELb0ELb0EfPKfPKS1_PKPfEviT_T9_T10_S7_lS9_S7_lS8_T11_S7_li,comdat
	.globl	_ZL29rocblas_internal_gemmt_kernelIlLi16ELi32ELi8ELc78ELc84ELc85ELb0ELb0EfPKfPKS1_PKPfEviT_T9_T10_S7_lS9_S7_lS8_T11_S7_li ; -- Begin function _ZL29rocblas_internal_gemmt_kernelIlLi16ELi32ELi8ELc78ELc84ELc85ELb0ELb0EfPKfPKS1_PKPfEviT_T9_T10_S7_lS9_S7_lS8_T11_S7_li
	.p2align	8
	.type	_ZL29rocblas_internal_gemmt_kernelIlLi16ELi32ELi8ELc78ELc84ELc85ELb0ELb0EfPKfPKS1_PKPfEviT_T9_T10_S7_lS9_S7_lS8_T11_S7_li,@function
_ZL29rocblas_internal_gemmt_kernelIlLi16ELi32ELi8ELc78ELc84ELc85ELb0ELb0EfPKfPKS1_PKPfEviT_T9_T10_S7_lS9_S7_lS8_T11_S7_li: ; @_ZL29rocblas_internal_gemmt_kernelIlLi16ELi32ELi8ELc78ELc84ELc85ELb0ELb0EfPKfPKS1_PKPfEviT_T9_T10_S7_lS9_S7_lS8_T11_S7_li
; %bb.0:
	s_load_dwordx8 s[24:31], s[0:1], 0x48
	s_load_dwordx16 s[8:23], s[0:1], 0x8
	s_waitcnt lgkmcnt(0)
	s_load_dword s33, s[24:25], 0x0
	s_load_dword s34, s[10:11], 0x0
	s_waitcnt lgkmcnt(0)
	v_cmp_neq_f32_e64 s[6:7], s33, 1.0
	s_and_b64 vcc, exec, s[6:7]
	s_cbranch_vccnz .LBB433_2
; %bb.1:
	s_cmp_lg_u64 s[8:9], 0
	s_cselect_b64 s[6:7], -1, 0
	v_cmp_neq_f32_e64 s[10:11], s34, 0
	s_and_b64 s[6:7], s[6:7], s[10:11]
.LBB433_2:
	s_andn2_b64 vcc, exec, s[6:7]
	s_cbranch_vccnz .LBB433_28
; %bb.3:
	s_mov_b32 s5, 0
	s_load_dword s24, s[0:1], 0x0
	s_lshl_b64 s[0:1], s[4:5], 3
	s_add_u32 s4, s26, s0
	s_addc_u32 s5, s27, s1
	s_load_dwordx2 s[4:5], s[4:5], 0x0
	s_lshl_b32 s25, s2, 5
	s_lshl_b32 s26, s3, 5
	v_cmp_eq_f32_e64 s[2:3], s34, 0
	v_cmp_lt_i64_e64 s[6:7], s[8:9], 1
	v_mov_b32_e32 v3, 0
	s_or_b64 s[2:3], s[2:3], s[6:7]
	v_and_b32_e32 v5, 0x3ff, v0
	v_bfe_u32 v7, v0, 10, 10
	s_and_b64 vcc, exec, s[2:3]
	v_mov_b32_e32 v2, v3
	v_mov_b32_e32 v1, v3
	;; [unrolled: 1-line block ×3, first 2 shown]
	s_cbranch_vccnz .LBB433_12
; %bb.4:
	s_add_u32 s2, s18, s0
	s_addc_u32 s3, s19, s1
	s_load_dwordx2 s[2:3], s[2:3], 0x0
	s_lshl_b64 s[6:7], s[22:23], 2
	v_lshl_add_u32 v1, v7, 4, v5
	v_lshrrev_b32_e32 v6, 5, v1
	v_lshrrev_b32_e32 v10, 3, v1
	s_waitcnt lgkmcnt(0)
	s_add_u32 s6, s2, s6
	s_addc_u32 s7, s3, s7
	s_add_u32 s0, s12, s0
	s_addc_u32 s1, s13, s1
	s_load_dwordx2 s[0:1], s[0:1], 0x0
	v_and_b32_e32 v1, 31, v1
	v_and_b32_e32 v4, 7, v5
	v_or_b32_e32 v2, s25, v1
	v_lshlrev_b32_e32 v1, 2, v1
	s_lshl_b64 s[2:3], s[16:17], 2
	v_lshl_or_b32 v14, v6, 7, v1
	v_lshlrev_b32_e32 v1, 2, v4
	v_add_u32_e32 v0, s26, v10
	s_waitcnt lgkmcnt(0)
	s_add_u32 s2, s0, s2
	v_lshl_or_b32 v1, v10, 5, v1
	s_addc_u32 s3, s1, s3
	v_ashrrev_i32_e32 v3, 31, v2
	v_add_u32_e32 v15, 0x400, v1
	v_ashrrev_i32_e32 v1, 31, v0
	v_lshl_add_u64 v[8:9], v[2:3], 2, s[2:3]
	v_cmp_gt_i32_e64 s[2:3], s24, v0
	v_lshl_add_u64 v[10:11], v[0:1], 2, s[6:7]
	v_mov_b32_e32 v0, 0x400
	v_mov_b32_e32 v13, 0
	v_cmp_gt_i32_e64 s[0:1], s24, v2
	v_lshlrev_b32_e32 v16, 2, v5
	v_lshl_add_u32 v17, v7, 5, v0
	s_mov_b64 s[6:7], 0
	v_mov_b32_e32 v0, v13
	v_mov_b32_e32 v1, v13
	;; [unrolled: 1-line block ×4, first 2 shown]
	s_branch .LBB433_6
.LBB433_5:                              ;   in Loop: Header=BB433_6 Depth=1
	s_or_b64 exec, exec, s[10:11]
	s_waitcnt vmcnt(0) lgkmcnt(0)
	ds_write_b32 v15, v18
	s_waitcnt lgkmcnt(0)
	s_barrier
	ds_read_b128 v[18:21], v17
	ds_read_b128 v[22:25], v17 offset:16
	ds_read2_b32 v[34:35], v16 offset1:16
	ds_read2_b32 v[36:37], v16 offset0:32 offset1:48
	ds_read2_b32 v[38:39], v16 offset0:64 offset1:80
	;; [unrolled: 1-line block ×4, first 2 shown]
	ds_read_b128 v[26:29], v17 offset:512
	ds_read_b128 v[30:33], v17 offset:528
	ds_read2_b32 v[44:45], v16 offset0:160 offset1:176
	ds_read2_b32 v[46:47], v16 offset0:192 offset1:208
	;; [unrolled: 1-line block ×3, first 2 shown]
	s_waitcnt lgkmcnt(9)
	v_pk_fma_f32 v[2:3], v[34:35], v[18:19], v[2:3] op_sel_hi:[1,0,1]
	v_mov_b32_e32 v12, v21
	s_waitcnt lgkmcnt(8)
	v_pk_fma_f32 v[2:3], v[36:37], v[18:19], v[2:3] op_sel:[0,1,0]
	s_waitcnt lgkmcnt(4)
	v_pk_fma_f32 v[0:1], v[34:35], v[26:27], v[0:1] op_sel_hi:[1,0,1]
	v_pk_fma_f32 v[2:3], v[38:39], v[20:21], v[2:3] op_sel_hi:[1,0,1]
	v_pk_fma_f32 v[0:1], v[36:37], v[26:27], v[0:1] op_sel:[0,1,0]
	v_pk_fma_f32 v[2:3], v[40:41], v[12:13], v[2:3] op_sel_hi:[1,0,1]
	v_mov_b32_e32 v12, v25
	v_pk_fma_f32 v[2:3], v[42:43], v[22:23], v[2:3] op_sel_hi:[1,0,1]
	v_pk_fma_f32 v[0:1], v[38:39], v[28:29], v[0:1] op_sel_hi:[1,0,1]
	s_waitcnt lgkmcnt(2)
	v_pk_fma_f32 v[2:3], v[44:45], v[22:23], v[2:3] op_sel:[0,1,0]
	s_add_u32 s6, s6, 8
	s_waitcnt lgkmcnt(1)
	v_pk_fma_f32 v[2:3], v[46:47], v[24:25], v[2:3] op_sel_hi:[1,0,1]
	s_addc_u32 s7, s7, 0
	s_waitcnt lgkmcnt(0)
	v_pk_fma_f32 v[2:3], v[48:49], v[12:13], v[2:3] op_sel_hi:[1,0,1]
	v_mov_b32_e32 v12, v29
	v_pk_fma_f32 v[0:1], v[40:41], v[12:13], v[0:1] op_sel_hi:[1,0,1]
	v_mov_b64_e32 v[18:19], s[6:7]
	v_pk_fma_f32 v[0:1], v[42:43], v[30:31], v[0:1] op_sel_hi:[1,0,1]
	v_mov_b32_e32 v12, v33
	v_pk_fma_f32 v[0:1], v[44:45], v[30:31], v[0:1] op_sel:[0,1,0]
	v_cmp_gt_i64_e32 vcc, s[8:9], v[18:19]
	v_pk_fma_f32 v[0:1], v[46:47], v[32:33], v[0:1] op_sel_hi:[1,0,1]
	s_nop 0
	v_pk_fma_f32 v[0:1], v[48:49], v[12:13], v[0:1] op_sel_hi:[1,0,1]
	s_barrier
	s_cbranch_vccz .LBB433_12
.LBB433_6:                              ; =>This Inner Loop Header: Depth=1
	v_mov_b32_e32 v18, 0
	s_and_saveexec_b64 s[10:11], s[0:1]
	s_cbranch_execz .LBB433_10
; %bb.7:                                ;   in Loop: Header=BB433_6 Depth=1
	v_add_u32_e32 v12, s6, v6
	v_cmp_gt_u64_e32 vcc, s[8:9], v[12:13]
	v_mov_b32_e32 v18, 0
	s_and_saveexec_b64 s[12:13], vcc
	s_cbranch_execz .LBB433_9
; %bb.8:                                ;   in Loop: Header=BB433_6 Depth=1
	v_mad_u64_u32 v[18:19], s[16:17], s14, v12, 0
	v_mov_b32_e32 v20, v19
	v_mad_u64_u32 v[20:21], s[16:17], s15, v12, v[20:21]
	v_mov_b32_e32 v19, v20
	v_lshl_add_u64 v[18:19], v[18:19], 2, v[8:9]
	flat_load_dword v18, v[18:19]
.LBB433_9:                              ;   in Loop: Header=BB433_6 Depth=1
	s_or_b64 exec, exec, s[12:13]
.LBB433_10:                             ;   in Loop: Header=BB433_6 Depth=1
	s_or_b64 exec, exec, s[10:11]
	v_add_u32_e32 v12, s6, v4
	v_cmp_gt_u64_e32 vcc, s[8:9], v[12:13]
	s_waitcnt vmcnt(0) lgkmcnt(0)
	ds_write_b32 v14, v18
	s_and_b64 s[12:13], vcc, s[2:3]
	v_mov_b32_e32 v18, 0
	s_and_saveexec_b64 s[10:11], s[12:13]
	s_cbranch_execz .LBB433_5
; %bb.11:                               ;   in Loop: Header=BB433_6 Depth=1
	v_mad_u64_u32 v[18:19], s[12:13], s20, v12, 0
	v_mov_b32_e32 v20, v19
	v_mad_u64_u32 v[20:21], s[12:13], s21, v12, v[20:21]
	v_mov_b32_e32 v19, v20
	v_lshl_add_u64 v[18:19], v[18:19], 2, v[10:11]
	flat_load_dword v18, v[18:19]
	s_branch .LBB433_5
.LBB433_12:
	s_lshl_b64 s[0:1], s[30:31], 2
	v_add_u32_e32 v10, s26, v7
	s_waitcnt lgkmcnt(0)
	s_add_u32 s4, s4, s0
	v_add_u32_e32 v4, s25, v5
	v_ashrrev_i32_e32 v5, 31, v10
	s_addc_u32 s5, s5, s1
	v_mul_lo_u32 v5, s28, v5
	v_mul_lo_u32 v8, s29, v10
	v_mad_u64_u32 v[6:7], s[0:1], s28, v10, 0
	v_add3_u32 v7, v7, v5, v8
	v_cmp_neq_f32_e64 s[0:1], s33, 0
	v_cmp_gt_i32_e64 s[2:3], s24, v10
	v_lshl_add_u64 v[8:9], v[6:7], 2, s[4:5]
	v_cmp_le_i32_e32 vcc, v4, v10
	v_cndmask_b32_e64 v6, 0, 1, s[0:1]
	s_and_b64 s[8:9], s[2:3], vcc
	v_ashrrev_i32_e32 v5, 31, v4
	v_cmp_ne_u32_e64 s[0:1], 1, v6
	s_and_saveexec_b64 s[6:7], s[8:9]
	s_cbranch_execz .LBB433_16
; %bb.13:
	v_mul_f32_e32 v2, s34, v2
	s_and_b64 vcc, exec, s[0:1]
	v_lshl_add_u64 v[6:7], v[4:5], 2, v[8:9]
	s_cbranch_vccnz .LBB433_15
; %bb.14:
	flat_load_dword v11, v[6:7]
	s_waitcnt vmcnt(0) lgkmcnt(0)
	v_fmac_f32_e32 v2, s33, v11
.LBB433_15:
	flat_store_dword v[6:7], v2
.LBB433_16:
	s_or_b64 exec, exec, s[6:7]
	v_add_u32_e32 v6, 16, v4
	v_cmp_le_i32_e32 vcc, v6, v10
	s_and_b64 s[6:7], s[2:3], vcc
	v_ashrrev_i32_e32 v7, 31, v6
	s_and_saveexec_b64 s[2:3], s[6:7]
	s_cbranch_execz .LBB433_20
; %bb.17:
	v_mul_f32_e32 v11, s34, v3
	s_and_b64 vcc, exec, s[0:1]
	v_lshl_add_u64 v[2:3], v[6:7], 2, v[8:9]
	s_cbranch_vccnz .LBB433_19
; %bb.18:
	flat_load_dword v8, v[2:3]
	s_waitcnt vmcnt(0) lgkmcnt(0)
	v_fmac_f32_e32 v11, s33, v8
.LBB433_19:
	flat_store_dword v[2:3], v11
.LBB433_20:
	s_or_b64 exec, exec, s[2:3]
	v_add_u32_e32 v8, 16, v10
	v_ashrrev_i32_e32 v2, 31, v8
	v_mul_lo_u32 v9, s28, v2
	v_mul_lo_u32 v10, s29, v8
	v_mad_u64_u32 v[2:3], s[6:7], s28, v8, 0
	v_cmp_gt_i32_e64 s[2:3], s24, v8
	v_add3_u32 v3, v3, v9, v10
	v_cmp_le_i32_e32 vcc, v4, v8
	v_lshl_add_u64 v[2:3], v[2:3], 2, s[4:5]
	s_and_b64 s[6:7], s[2:3], vcc
	s_and_saveexec_b64 s[4:5], s[6:7]
	s_cbranch_execz .LBB433_24
; %bb.21:
	v_mul_f32_e32 v0, s34, v0
	s_and_b64 vcc, exec, s[0:1]
	v_lshl_add_u64 v[4:5], v[4:5], 2, v[2:3]
	s_cbranch_vccnz .LBB433_23
; %bb.22:
	flat_load_dword v9, v[4:5]
	s_waitcnt vmcnt(0) lgkmcnt(0)
	v_fmac_f32_e32 v0, s33, v9
.LBB433_23:
	flat_store_dword v[4:5], v0
.LBB433_24:
	s_or_b64 exec, exec, s[4:5]
	v_cmp_le_i32_e32 vcc, v6, v8
	s_and_b64 s[2:3], s[2:3], vcc
	s_and_saveexec_b64 s[4:5], s[2:3]
	s_cbranch_execz .LBB433_28
; %bb.25:
	v_mul_f32_e32 v4, s34, v1
	s_and_b64 vcc, exec, s[0:1]
	v_lshl_add_u64 v[0:1], v[6:7], 2, v[2:3]
	s_cbranch_vccnz .LBB433_27
; %bb.26:
	flat_load_dword v2, v[0:1]
	s_waitcnt vmcnt(0) lgkmcnt(0)
	v_fmac_f32_e32 v4, s33, v2
.LBB433_27:
	flat_store_dword v[0:1], v4
.LBB433_28:
	s_endpgm
	.section	.rodata,"a",@progbits
	.p2align	6, 0x0
	.amdhsa_kernel _ZL29rocblas_internal_gemmt_kernelIlLi16ELi32ELi8ELc78ELc84ELc85ELb0ELb0EfPKfPKS1_PKPfEviT_T9_T10_S7_lS9_S7_lS8_T11_S7_li
		.amdhsa_group_segment_fixed_size 2048
		.amdhsa_private_segment_fixed_size 0
		.amdhsa_kernarg_size 108
		.amdhsa_user_sgpr_count 2
		.amdhsa_user_sgpr_dispatch_ptr 0
		.amdhsa_user_sgpr_queue_ptr 0
		.amdhsa_user_sgpr_kernarg_segment_ptr 1
		.amdhsa_user_sgpr_dispatch_id 0
		.amdhsa_user_sgpr_kernarg_preload_length 0
		.amdhsa_user_sgpr_kernarg_preload_offset 0
		.amdhsa_user_sgpr_private_segment_size 0
		.amdhsa_uses_dynamic_stack 0
		.amdhsa_enable_private_segment 0
		.amdhsa_system_sgpr_workgroup_id_x 1
		.amdhsa_system_sgpr_workgroup_id_y 1
		.amdhsa_system_sgpr_workgroup_id_z 1
		.amdhsa_system_sgpr_workgroup_info 0
		.amdhsa_system_vgpr_workitem_id 1
		.amdhsa_next_free_vgpr 50
		.amdhsa_next_free_sgpr 35
		.amdhsa_accum_offset 52
		.amdhsa_reserve_vcc 1
		.amdhsa_float_round_mode_32 0
		.amdhsa_float_round_mode_16_64 0
		.amdhsa_float_denorm_mode_32 3
		.amdhsa_float_denorm_mode_16_64 3
		.amdhsa_dx10_clamp 1
		.amdhsa_ieee_mode 1
		.amdhsa_fp16_overflow 0
		.amdhsa_tg_split 0
		.amdhsa_exception_fp_ieee_invalid_op 0
		.amdhsa_exception_fp_denorm_src 0
		.amdhsa_exception_fp_ieee_div_zero 0
		.amdhsa_exception_fp_ieee_overflow 0
		.amdhsa_exception_fp_ieee_underflow 0
		.amdhsa_exception_fp_ieee_inexact 0
		.amdhsa_exception_int_div_zero 0
	.end_amdhsa_kernel
	.section	.text._ZL29rocblas_internal_gemmt_kernelIlLi16ELi32ELi8ELc78ELc84ELc85ELb0ELb0EfPKfPKS1_PKPfEviT_T9_T10_S7_lS9_S7_lS8_T11_S7_li,"axG",@progbits,_ZL29rocblas_internal_gemmt_kernelIlLi16ELi32ELi8ELc78ELc84ELc85ELb0ELb0EfPKfPKS1_PKPfEviT_T9_T10_S7_lS9_S7_lS8_T11_S7_li,comdat
.Lfunc_end433:
	.size	_ZL29rocblas_internal_gemmt_kernelIlLi16ELi32ELi8ELc78ELc84ELc85ELb0ELb0EfPKfPKS1_PKPfEviT_T9_T10_S7_lS9_S7_lS8_T11_S7_li, .Lfunc_end433-_ZL29rocblas_internal_gemmt_kernelIlLi16ELi32ELi8ELc78ELc84ELc85ELb0ELb0EfPKfPKS1_PKPfEviT_T9_T10_S7_lS9_S7_lS8_T11_S7_li
                                        ; -- End function
	.set _ZL29rocblas_internal_gemmt_kernelIlLi16ELi32ELi8ELc78ELc84ELc85ELb0ELb0EfPKfPKS1_PKPfEviT_T9_T10_S7_lS9_S7_lS8_T11_S7_li.num_vgpr, 50
	.set _ZL29rocblas_internal_gemmt_kernelIlLi16ELi32ELi8ELc78ELc84ELc85ELb0ELb0EfPKfPKS1_PKPfEviT_T9_T10_S7_lS9_S7_lS8_T11_S7_li.num_agpr, 0
	.set _ZL29rocblas_internal_gemmt_kernelIlLi16ELi32ELi8ELc78ELc84ELc85ELb0ELb0EfPKfPKS1_PKPfEviT_T9_T10_S7_lS9_S7_lS8_T11_S7_li.numbered_sgpr, 35
	.set _ZL29rocblas_internal_gemmt_kernelIlLi16ELi32ELi8ELc78ELc84ELc85ELb0ELb0EfPKfPKS1_PKPfEviT_T9_T10_S7_lS9_S7_lS8_T11_S7_li.num_named_barrier, 0
	.set _ZL29rocblas_internal_gemmt_kernelIlLi16ELi32ELi8ELc78ELc84ELc85ELb0ELb0EfPKfPKS1_PKPfEviT_T9_T10_S7_lS9_S7_lS8_T11_S7_li.private_seg_size, 0
	.set _ZL29rocblas_internal_gemmt_kernelIlLi16ELi32ELi8ELc78ELc84ELc85ELb0ELb0EfPKfPKS1_PKPfEviT_T9_T10_S7_lS9_S7_lS8_T11_S7_li.uses_vcc, 1
	.set _ZL29rocblas_internal_gemmt_kernelIlLi16ELi32ELi8ELc78ELc84ELc85ELb0ELb0EfPKfPKS1_PKPfEviT_T9_T10_S7_lS9_S7_lS8_T11_S7_li.uses_flat_scratch, 0
	.set _ZL29rocblas_internal_gemmt_kernelIlLi16ELi32ELi8ELc78ELc84ELc85ELb0ELb0EfPKfPKS1_PKPfEviT_T9_T10_S7_lS9_S7_lS8_T11_S7_li.has_dyn_sized_stack, 0
	.set _ZL29rocblas_internal_gemmt_kernelIlLi16ELi32ELi8ELc78ELc84ELc85ELb0ELb0EfPKfPKS1_PKPfEviT_T9_T10_S7_lS9_S7_lS8_T11_S7_li.has_recursion, 0
	.set _ZL29rocblas_internal_gemmt_kernelIlLi16ELi32ELi8ELc78ELc84ELc85ELb0ELb0EfPKfPKS1_PKPfEviT_T9_T10_S7_lS9_S7_lS8_T11_S7_li.has_indirect_call, 0
	.section	.AMDGPU.csdata,"",@progbits
; Kernel info:
; codeLenInByte = 1300
; TotalNumSgprs: 41
; NumVgprs: 50
; NumAgprs: 0
; TotalNumVgprs: 50
; ScratchSize: 0
; MemoryBound: 0
; FloatMode: 240
; IeeeMode: 1
; LDSByteSize: 2048 bytes/workgroup (compile time only)
; SGPRBlocks: 5
; VGPRBlocks: 6
; NumSGPRsForWavesPerEU: 41
; NumVGPRsForWavesPerEU: 50
; AccumOffset: 52
; Occupancy: 8
; WaveLimiterHint : 1
; COMPUTE_PGM_RSRC2:SCRATCH_EN: 0
; COMPUTE_PGM_RSRC2:USER_SGPR: 2
; COMPUTE_PGM_RSRC2:TRAP_HANDLER: 0
; COMPUTE_PGM_RSRC2:TGID_X_EN: 1
; COMPUTE_PGM_RSRC2:TGID_Y_EN: 1
; COMPUTE_PGM_RSRC2:TGID_Z_EN: 1
; COMPUTE_PGM_RSRC2:TIDIG_COMP_CNT: 1
; COMPUTE_PGM_RSRC3_GFX90A:ACCUM_OFFSET: 12
; COMPUTE_PGM_RSRC3_GFX90A:TG_SPLIT: 0
	.section	.text._ZL29rocblas_internal_gemmt_kernelIlLi16ELi32ELi8ELc78ELc67ELc85ELb0ELb0EfPKfPKS1_PKPfEviT_T9_T10_S7_lS9_S7_lS8_T11_S7_li,"axG",@progbits,_ZL29rocblas_internal_gemmt_kernelIlLi16ELi32ELi8ELc78ELc67ELc85ELb0ELb0EfPKfPKS1_PKPfEviT_T9_T10_S7_lS9_S7_lS8_T11_S7_li,comdat
	.globl	_ZL29rocblas_internal_gemmt_kernelIlLi16ELi32ELi8ELc78ELc67ELc85ELb0ELb0EfPKfPKS1_PKPfEviT_T9_T10_S7_lS9_S7_lS8_T11_S7_li ; -- Begin function _ZL29rocblas_internal_gemmt_kernelIlLi16ELi32ELi8ELc78ELc67ELc85ELb0ELb0EfPKfPKS1_PKPfEviT_T9_T10_S7_lS9_S7_lS8_T11_S7_li
	.p2align	8
	.type	_ZL29rocblas_internal_gemmt_kernelIlLi16ELi32ELi8ELc78ELc67ELc85ELb0ELb0EfPKfPKS1_PKPfEviT_T9_T10_S7_lS9_S7_lS8_T11_S7_li,@function
_ZL29rocblas_internal_gemmt_kernelIlLi16ELi32ELi8ELc78ELc67ELc85ELb0ELb0EfPKfPKS1_PKPfEviT_T9_T10_S7_lS9_S7_lS8_T11_S7_li: ; @_ZL29rocblas_internal_gemmt_kernelIlLi16ELi32ELi8ELc78ELc67ELc85ELb0ELb0EfPKfPKS1_PKPfEviT_T9_T10_S7_lS9_S7_lS8_T11_S7_li
; %bb.0:
	s_load_dwordx8 s[24:31], s[0:1], 0x48
	s_load_dwordx16 s[8:23], s[0:1], 0x8
	s_waitcnt lgkmcnt(0)
	s_load_dword s33, s[24:25], 0x0
	s_load_dword s34, s[10:11], 0x0
	s_waitcnt lgkmcnt(0)
	v_cmp_neq_f32_e64 s[6:7], s33, 1.0
	s_and_b64 vcc, exec, s[6:7]
	s_cbranch_vccnz .LBB434_2
; %bb.1:
	s_cmp_lg_u64 s[8:9], 0
	s_cselect_b64 s[6:7], -1, 0
	v_cmp_neq_f32_e64 s[10:11], s34, 0
	s_and_b64 s[6:7], s[6:7], s[10:11]
.LBB434_2:
	s_andn2_b64 vcc, exec, s[6:7]
	s_cbranch_vccnz .LBB434_28
; %bb.3:
	s_mov_b32 s5, 0
	s_load_dword s24, s[0:1], 0x0
	s_lshl_b64 s[0:1], s[4:5], 3
	s_add_u32 s4, s26, s0
	s_addc_u32 s5, s27, s1
	s_load_dwordx2 s[4:5], s[4:5], 0x0
	s_lshl_b32 s25, s2, 5
	s_lshl_b32 s26, s3, 5
	v_cmp_eq_f32_e64 s[2:3], s34, 0
	v_cmp_lt_i64_e64 s[6:7], s[8:9], 1
	v_mov_b32_e32 v3, 0
	s_or_b64 s[2:3], s[2:3], s[6:7]
	v_and_b32_e32 v5, 0x3ff, v0
	v_bfe_u32 v7, v0, 10, 10
	s_and_b64 vcc, exec, s[2:3]
	v_mov_b32_e32 v2, v3
	v_mov_b32_e32 v1, v3
	;; [unrolled: 1-line block ×3, first 2 shown]
	s_cbranch_vccnz .LBB434_12
; %bb.4:
	s_add_u32 s2, s18, s0
	s_addc_u32 s3, s19, s1
	s_load_dwordx2 s[2:3], s[2:3], 0x0
	s_lshl_b64 s[6:7], s[22:23], 2
	v_lshl_add_u32 v1, v7, 4, v5
	v_lshrrev_b32_e32 v6, 5, v1
	v_lshrrev_b32_e32 v10, 3, v1
	s_waitcnt lgkmcnt(0)
	s_add_u32 s6, s2, s6
	s_addc_u32 s7, s3, s7
	s_add_u32 s0, s12, s0
	s_addc_u32 s1, s13, s1
	s_load_dwordx2 s[0:1], s[0:1], 0x0
	v_and_b32_e32 v1, 31, v1
	v_and_b32_e32 v4, 7, v5
	v_or_b32_e32 v2, s25, v1
	v_lshlrev_b32_e32 v1, 2, v1
	s_lshl_b64 s[2:3], s[16:17], 2
	v_lshl_or_b32 v14, v6, 7, v1
	v_lshlrev_b32_e32 v1, 2, v4
	v_add_u32_e32 v0, s26, v10
	s_waitcnt lgkmcnt(0)
	s_add_u32 s2, s0, s2
	v_lshl_or_b32 v1, v10, 5, v1
	s_addc_u32 s3, s1, s3
	v_ashrrev_i32_e32 v3, 31, v2
	v_add_u32_e32 v15, 0x400, v1
	v_ashrrev_i32_e32 v1, 31, v0
	v_lshl_add_u64 v[8:9], v[2:3], 2, s[2:3]
	v_cmp_gt_i32_e64 s[2:3], s24, v0
	v_lshl_add_u64 v[10:11], v[0:1], 2, s[6:7]
	v_mov_b32_e32 v0, 0x400
	v_mov_b32_e32 v13, 0
	v_cmp_gt_i32_e64 s[0:1], s24, v2
	v_lshlrev_b32_e32 v16, 2, v5
	v_lshl_add_u32 v17, v7, 5, v0
	s_mov_b64 s[6:7], 0
	v_mov_b32_e32 v0, v13
	v_mov_b32_e32 v1, v13
	;; [unrolled: 1-line block ×4, first 2 shown]
	s_branch .LBB434_6
.LBB434_5:                              ;   in Loop: Header=BB434_6 Depth=1
	s_or_b64 exec, exec, s[10:11]
	s_waitcnt vmcnt(0) lgkmcnt(0)
	ds_write_b32 v15, v18
	s_waitcnt lgkmcnt(0)
	s_barrier
	ds_read_b128 v[18:21], v17
	ds_read_b128 v[22:25], v17 offset:16
	ds_read2_b32 v[34:35], v16 offset1:16
	ds_read2_b32 v[36:37], v16 offset0:32 offset1:48
	ds_read2_b32 v[38:39], v16 offset0:64 offset1:80
	;; [unrolled: 1-line block ×4, first 2 shown]
	ds_read_b128 v[26:29], v17 offset:512
	ds_read_b128 v[30:33], v17 offset:528
	ds_read2_b32 v[44:45], v16 offset0:160 offset1:176
	ds_read2_b32 v[46:47], v16 offset0:192 offset1:208
	;; [unrolled: 1-line block ×3, first 2 shown]
	s_waitcnt lgkmcnt(9)
	v_pk_fma_f32 v[2:3], v[34:35], v[18:19], v[2:3] op_sel_hi:[1,0,1]
	v_mov_b32_e32 v12, v21
	s_waitcnt lgkmcnt(8)
	v_pk_fma_f32 v[2:3], v[36:37], v[18:19], v[2:3] op_sel:[0,1,0]
	s_waitcnt lgkmcnt(4)
	v_pk_fma_f32 v[0:1], v[34:35], v[26:27], v[0:1] op_sel_hi:[1,0,1]
	v_pk_fma_f32 v[2:3], v[38:39], v[20:21], v[2:3] op_sel_hi:[1,0,1]
	v_pk_fma_f32 v[0:1], v[36:37], v[26:27], v[0:1] op_sel:[0,1,0]
	v_pk_fma_f32 v[2:3], v[40:41], v[12:13], v[2:3] op_sel_hi:[1,0,1]
	v_mov_b32_e32 v12, v25
	v_pk_fma_f32 v[2:3], v[42:43], v[22:23], v[2:3] op_sel_hi:[1,0,1]
	v_pk_fma_f32 v[0:1], v[38:39], v[28:29], v[0:1] op_sel_hi:[1,0,1]
	s_waitcnt lgkmcnt(2)
	v_pk_fma_f32 v[2:3], v[44:45], v[22:23], v[2:3] op_sel:[0,1,0]
	s_add_u32 s6, s6, 8
	s_waitcnt lgkmcnt(1)
	v_pk_fma_f32 v[2:3], v[46:47], v[24:25], v[2:3] op_sel_hi:[1,0,1]
	s_addc_u32 s7, s7, 0
	s_waitcnt lgkmcnt(0)
	v_pk_fma_f32 v[2:3], v[48:49], v[12:13], v[2:3] op_sel_hi:[1,0,1]
	v_mov_b32_e32 v12, v29
	v_pk_fma_f32 v[0:1], v[40:41], v[12:13], v[0:1] op_sel_hi:[1,0,1]
	v_mov_b64_e32 v[18:19], s[6:7]
	v_pk_fma_f32 v[0:1], v[42:43], v[30:31], v[0:1] op_sel_hi:[1,0,1]
	v_mov_b32_e32 v12, v33
	v_pk_fma_f32 v[0:1], v[44:45], v[30:31], v[0:1] op_sel:[0,1,0]
	v_cmp_gt_i64_e32 vcc, s[8:9], v[18:19]
	v_pk_fma_f32 v[0:1], v[46:47], v[32:33], v[0:1] op_sel_hi:[1,0,1]
	s_nop 0
	v_pk_fma_f32 v[0:1], v[48:49], v[12:13], v[0:1] op_sel_hi:[1,0,1]
	s_barrier
	s_cbranch_vccz .LBB434_12
.LBB434_6:                              ; =>This Inner Loop Header: Depth=1
	v_mov_b32_e32 v18, 0
	s_and_saveexec_b64 s[10:11], s[0:1]
	s_cbranch_execz .LBB434_10
; %bb.7:                                ;   in Loop: Header=BB434_6 Depth=1
	v_add_u32_e32 v12, s6, v6
	v_cmp_gt_u64_e32 vcc, s[8:9], v[12:13]
	v_mov_b32_e32 v18, 0
	s_and_saveexec_b64 s[12:13], vcc
	s_cbranch_execz .LBB434_9
; %bb.8:                                ;   in Loop: Header=BB434_6 Depth=1
	v_mad_u64_u32 v[18:19], s[16:17], s14, v12, 0
	v_mov_b32_e32 v20, v19
	v_mad_u64_u32 v[20:21], s[16:17], s15, v12, v[20:21]
	v_mov_b32_e32 v19, v20
	v_lshl_add_u64 v[18:19], v[18:19], 2, v[8:9]
	flat_load_dword v18, v[18:19]
.LBB434_9:                              ;   in Loop: Header=BB434_6 Depth=1
	s_or_b64 exec, exec, s[12:13]
.LBB434_10:                             ;   in Loop: Header=BB434_6 Depth=1
	s_or_b64 exec, exec, s[10:11]
	v_add_u32_e32 v12, s6, v4
	v_cmp_gt_u64_e32 vcc, s[8:9], v[12:13]
	s_waitcnt vmcnt(0) lgkmcnt(0)
	ds_write_b32 v14, v18
	s_and_b64 s[12:13], vcc, s[2:3]
	v_mov_b32_e32 v18, 0
	s_and_saveexec_b64 s[10:11], s[12:13]
	s_cbranch_execz .LBB434_5
; %bb.11:                               ;   in Loop: Header=BB434_6 Depth=1
	v_mad_u64_u32 v[18:19], s[12:13], s20, v12, 0
	v_mov_b32_e32 v20, v19
	v_mad_u64_u32 v[20:21], s[12:13], s21, v12, v[20:21]
	v_mov_b32_e32 v19, v20
	v_lshl_add_u64 v[18:19], v[18:19], 2, v[10:11]
	flat_load_dword v18, v[18:19]
	s_branch .LBB434_5
.LBB434_12:
	s_lshl_b64 s[0:1], s[30:31], 2
	v_add_u32_e32 v10, s26, v7
	s_waitcnt lgkmcnt(0)
	s_add_u32 s4, s4, s0
	v_add_u32_e32 v4, s25, v5
	v_ashrrev_i32_e32 v5, 31, v10
	s_addc_u32 s5, s5, s1
	v_mul_lo_u32 v5, s28, v5
	v_mul_lo_u32 v8, s29, v10
	v_mad_u64_u32 v[6:7], s[0:1], s28, v10, 0
	v_add3_u32 v7, v7, v5, v8
	v_cmp_neq_f32_e64 s[0:1], s33, 0
	v_cmp_gt_i32_e64 s[2:3], s24, v10
	v_lshl_add_u64 v[8:9], v[6:7], 2, s[4:5]
	v_cmp_le_i32_e32 vcc, v4, v10
	v_cndmask_b32_e64 v6, 0, 1, s[0:1]
	s_and_b64 s[8:9], s[2:3], vcc
	v_ashrrev_i32_e32 v5, 31, v4
	v_cmp_ne_u32_e64 s[0:1], 1, v6
	s_and_saveexec_b64 s[6:7], s[8:9]
	s_cbranch_execz .LBB434_16
; %bb.13:
	v_mul_f32_e32 v2, s34, v2
	s_and_b64 vcc, exec, s[0:1]
	v_lshl_add_u64 v[6:7], v[4:5], 2, v[8:9]
	s_cbranch_vccnz .LBB434_15
; %bb.14:
	flat_load_dword v11, v[6:7]
	s_waitcnt vmcnt(0) lgkmcnt(0)
	v_fmac_f32_e32 v2, s33, v11
.LBB434_15:
	flat_store_dword v[6:7], v2
.LBB434_16:
	s_or_b64 exec, exec, s[6:7]
	v_add_u32_e32 v6, 16, v4
	v_cmp_le_i32_e32 vcc, v6, v10
	s_and_b64 s[6:7], s[2:3], vcc
	v_ashrrev_i32_e32 v7, 31, v6
	s_and_saveexec_b64 s[2:3], s[6:7]
	s_cbranch_execz .LBB434_20
; %bb.17:
	v_mul_f32_e32 v11, s34, v3
	s_and_b64 vcc, exec, s[0:1]
	v_lshl_add_u64 v[2:3], v[6:7], 2, v[8:9]
	s_cbranch_vccnz .LBB434_19
; %bb.18:
	flat_load_dword v8, v[2:3]
	s_waitcnt vmcnt(0) lgkmcnt(0)
	v_fmac_f32_e32 v11, s33, v8
.LBB434_19:
	flat_store_dword v[2:3], v11
.LBB434_20:
	s_or_b64 exec, exec, s[2:3]
	v_add_u32_e32 v8, 16, v10
	v_ashrrev_i32_e32 v2, 31, v8
	v_mul_lo_u32 v9, s28, v2
	v_mul_lo_u32 v10, s29, v8
	v_mad_u64_u32 v[2:3], s[6:7], s28, v8, 0
	v_cmp_gt_i32_e64 s[2:3], s24, v8
	v_add3_u32 v3, v3, v9, v10
	v_cmp_le_i32_e32 vcc, v4, v8
	v_lshl_add_u64 v[2:3], v[2:3], 2, s[4:5]
	s_and_b64 s[6:7], s[2:3], vcc
	s_and_saveexec_b64 s[4:5], s[6:7]
	s_cbranch_execz .LBB434_24
; %bb.21:
	v_mul_f32_e32 v0, s34, v0
	s_and_b64 vcc, exec, s[0:1]
	v_lshl_add_u64 v[4:5], v[4:5], 2, v[2:3]
	s_cbranch_vccnz .LBB434_23
; %bb.22:
	flat_load_dword v9, v[4:5]
	s_waitcnt vmcnt(0) lgkmcnt(0)
	v_fmac_f32_e32 v0, s33, v9
.LBB434_23:
	flat_store_dword v[4:5], v0
.LBB434_24:
	s_or_b64 exec, exec, s[4:5]
	v_cmp_le_i32_e32 vcc, v6, v8
	s_and_b64 s[2:3], s[2:3], vcc
	s_and_saveexec_b64 s[4:5], s[2:3]
	s_cbranch_execz .LBB434_28
; %bb.25:
	v_mul_f32_e32 v4, s34, v1
	s_and_b64 vcc, exec, s[0:1]
	v_lshl_add_u64 v[0:1], v[6:7], 2, v[2:3]
	s_cbranch_vccnz .LBB434_27
; %bb.26:
	flat_load_dword v2, v[0:1]
	s_waitcnt vmcnt(0) lgkmcnt(0)
	v_fmac_f32_e32 v4, s33, v2
.LBB434_27:
	flat_store_dword v[0:1], v4
.LBB434_28:
	s_endpgm
	.section	.rodata,"a",@progbits
	.p2align	6, 0x0
	.amdhsa_kernel _ZL29rocblas_internal_gemmt_kernelIlLi16ELi32ELi8ELc78ELc67ELc85ELb0ELb0EfPKfPKS1_PKPfEviT_T9_T10_S7_lS9_S7_lS8_T11_S7_li
		.amdhsa_group_segment_fixed_size 2048
		.amdhsa_private_segment_fixed_size 0
		.amdhsa_kernarg_size 108
		.amdhsa_user_sgpr_count 2
		.amdhsa_user_sgpr_dispatch_ptr 0
		.amdhsa_user_sgpr_queue_ptr 0
		.amdhsa_user_sgpr_kernarg_segment_ptr 1
		.amdhsa_user_sgpr_dispatch_id 0
		.amdhsa_user_sgpr_kernarg_preload_length 0
		.amdhsa_user_sgpr_kernarg_preload_offset 0
		.amdhsa_user_sgpr_private_segment_size 0
		.amdhsa_uses_dynamic_stack 0
		.amdhsa_enable_private_segment 0
		.amdhsa_system_sgpr_workgroup_id_x 1
		.amdhsa_system_sgpr_workgroup_id_y 1
		.amdhsa_system_sgpr_workgroup_id_z 1
		.amdhsa_system_sgpr_workgroup_info 0
		.amdhsa_system_vgpr_workitem_id 1
		.amdhsa_next_free_vgpr 50
		.amdhsa_next_free_sgpr 35
		.amdhsa_accum_offset 52
		.amdhsa_reserve_vcc 1
		.amdhsa_float_round_mode_32 0
		.amdhsa_float_round_mode_16_64 0
		.amdhsa_float_denorm_mode_32 3
		.amdhsa_float_denorm_mode_16_64 3
		.amdhsa_dx10_clamp 1
		.amdhsa_ieee_mode 1
		.amdhsa_fp16_overflow 0
		.amdhsa_tg_split 0
		.amdhsa_exception_fp_ieee_invalid_op 0
		.amdhsa_exception_fp_denorm_src 0
		.amdhsa_exception_fp_ieee_div_zero 0
		.amdhsa_exception_fp_ieee_overflow 0
		.amdhsa_exception_fp_ieee_underflow 0
		.amdhsa_exception_fp_ieee_inexact 0
		.amdhsa_exception_int_div_zero 0
	.end_amdhsa_kernel
	.section	.text._ZL29rocblas_internal_gemmt_kernelIlLi16ELi32ELi8ELc78ELc67ELc85ELb0ELb0EfPKfPKS1_PKPfEviT_T9_T10_S7_lS9_S7_lS8_T11_S7_li,"axG",@progbits,_ZL29rocblas_internal_gemmt_kernelIlLi16ELi32ELi8ELc78ELc67ELc85ELb0ELb0EfPKfPKS1_PKPfEviT_T9_T10_S7_lS9_S7_lS8_T11_S7_li,comdat
.Lfunc_end434:
	.size	_ZL29rocblas_internal_gemmt_kernelIlLi16ELi32ELi8ELc78ELc67ELc85ELb0ELb0EfPKfPKS1_PKPfEviT_T9_T10_S7_lS9_S7_lS8_T11_S7_li, .Lfunc_end434-_ZL29rocblas_internal_gemmt_kernelIlLi16ELi32ELi8ELc78ELc67ELc85ELb0ELb0EfPKfPKS1_PKPfEviT_T9_T10_S7_lS9_S7_lS8_T11_S7_li
                                        ; -- End function
	.set _ZL29rocblas_internal_gemmt_kernelIlLi16ELi32ELi8ELc78ELc67ELc85ELb0ELb0EfPKfPKS1_PKPfEviT_T9_T10_S7_lS9_S7_lS8_T11_S7_li.num_vgpr, 50
	.set _ZL29rocblas_internal_gemmt_kernelIlLi16ELi32ELi8ELc78ELc67ELc85ELb0ELb0EfPKfPKS1_PKPfEviT_T9_T10_S7_lS9_S7_lS8_T11_S7_li.num_agpr, 0
	.set _ZL29rocblas_internal_gemmt_kernelIlLi16ELi32ELi8ELc78ELc67ELc85ELb0ELb0EfPKfPKS1_PKPfEviT_T9_T10_S7_lS9_S7_lS8_T11_S7_li.numbered_sgpr, 35
	.set _ZL29rocblas_internal_gemmt_kernelIlLi16ELi32ELi8ELc78ELc67ELc85ELb0ELb0EfPKfPKS1_PKPfEviT_T9_T10_S7_lS9_S7_lS8_T11_S7_li.num_named_barrier, 0
	.set _ZL29rocblas_internal_gemmt_kernelIlLi16ELi32ELi8ELc78ELc67ELc85ELb0ELb0EfPKfPKS1_PKPfEviT_T9_T10_S7_lS9_S7_lS8_T11_S7_li.private_seg_size, 0
	.set _ZL29rocblas_internal_gemmt_kernelIlLi16ELi32ELi8ELc78ELc67ELc85ELb0ELb0EfPKfPKS1_PKPfEviT_T9_T10_S7_lS9_S7_lS8_T11_S7_li.uses_vcc, 1
	.set _ZL29rocblas_internal_gemmt_kernelIlLi16ELi32ELi8ELc78ELc67ELc85ELb0ELb0EfPKfPKS1_PKPfEviT_T9_T10_S7_lS9_S7_lS8_T11_S7_li.uses_flat_scratch, 0
	.set _ZL29rocblas_internal_gemmt_kernelIlLi16ELi32ELi8ELc78ELc67ELc85ELb0ELb0EfPKfPKS1_PKPfEviT_T9_T10_S7_lS9_S7_lS8_T11_S7_li.has_dyn_sized_stack, 0
	.set _ZL29rocblas_internal_gemmt_kernelIlLi16ELi32ELi8ELc78ELc67ELc85ELb0ELb0EfPKfPKS1_PKPfEviT_T9_T10_S7_lS9_S7_lS8_T11_S7_li.has_recursion, 0
	.set _ZL29rocblas_internal_gemmt_kernelIlLi16ELi32ELi8ELc78ELc67ELc85ELb0ELb0EfPKfPKS1_PKPfEviT_T9_T10_S7_lS9_S7_lS8_T11_S7_li.has_indirect_call, 0
	.section	.AMDGPU.csdata,"",@progbits
; Kernel info:
; codeLenInByte = 1300
; TotalNumSgprs: 41
; NumVgprs: 50
; NumAgprs: 0
; TotalNumVgprs: 50
; ScratchSize: 0
; MemoryBound: 0
; FloatMode: 240
; IeeeMode: 1
; LDSByteSize: 2048 bytes/workgroup (compile time only)
; SGPRBlocks: 5
; VGPRBlocks: 6
; NumSGPRsForWavesPerEU: 41
; NumVGPRsForWavesPerEU: 50
; AccumOffset: 52
; Occupancy: 8
; WaveLimiterHint : 1
; COMPUTE_PGM_RSRC2:SCRATCH_EN: 0
; COMPUTE_PGM_RSRC2:USER_SGPR: 2
; COMPUTE_PGM_RSRC2:TRAP_HANDLER: 0
; COMPUTE_PGM_RSRC2:TGID_X_EN: 1
; COMPUTE_PGM_RSRC2:TGID_Y_EN: 1
; COMPUTE_PGM_RSRC2:TGID_Z_EN: 1
; COMPUTE_PGM_RSRC2:TIDIG_COMP_CNT: 1
; COMPUTE_PGM_RSRC3_GFX90A:ACCUM_OFFSET: 12
; COMPUTE_PGM_RSRC3_GFX90A:TG_SPLIT: 0
	.section	.text._ZL29rocblas_internal_gemmt_kernelIlLi16ELi32ELi8ELc84ELc78ELc85ELb0ELb0EfPKfPKS1_PKPfEviT_T9_T10_S7_lS9_S7_lS8_T11_S7_li,"axG",@progbits,_ZL29rocblas_internal_gemmt_kernelIlLi16ELi32ELi8ELc84ELc78ELc85ELb0ELb0EfPKfPKS1_PKPfEviT_T9_T10_S7_lS9_S7_lS8_T11_S7_li,comdat
	.globl	_ZL29rocblas_internal_gemmt_kernelIlLi16ELi32ELi8ELc84ELc78ELc85ELb0ELb0EfPKfPKS1_PKPfEviT_T9_T10_S7_lS9_S7_lS8_T11_S7_li ; -- Begin function _ZL29rocblas_internal_gemmt_kernelIlLi16ELi32ELi8ELc84ELc78ELc85ELb0ELb0EfPKfPKS1_PKPfEviT_T9_T10_S7_lS9_S7_lS8_T11_S7_li
	.p2align	8
	.type	_ZL29rocblas_internal_gemmt_kernelIlLi16ELi32ELi8ELc84ELc78ELc85ELb0ELb0EfPKfPKS1_PKPfEviT_T9_T10_S7_lS9_S7_lS8_T11_S7_li,@function
_ZL29rocblas_internal_gemmt_kernelIlLi16ELi32ELi8ELc84ELc78ELc85ELb0ELb0EfPKfPKS1_PKPfEviT_T9_T10_S7_lS9_S7_lS8_T11_S7_li: ; @_ZL29rocblas_internal_gemmt_kernelIlLi16ELi32ELi8ELc84ELc78ELc85ELb0ELb0EfPKfPKS1_PKPfEviT_T9_T10_S7_lS9_S7_lS8_T11_S7_li
; %bb.0:
	s_load_dwordx8 s[24:31], s[0:1], 0x48
	s_load_dwordx16 s[8:23], s[0:1], 0x8
	s_waitcnt lgkmcnt(0)
	s_load_dword s33, s[24:25], 0x0
	s_load_dword s34, s[10:11], 0x0
	s_waitcnt lgkmcnt(0)
	v_cmp_neq_f32_e64 s[6:7], s33, 1.0
	s_and_b64 vcc, exec, s[6:7]
	s_cbranch_vccnz .LBB435_2
; %bb.1:
	s_cmp_lg_u64 s[8:9], 0
	s_cselect_b64 s[6:7], -1, 0
	v_cmp_neq_f32_e64 s[10:11], s34, 0
	s_and_b64 s[6:7], s[6:7], s[10:11]
.LBB435_2:
	s_andn2_b64 vcc, exec, s[6:7]
	s_cbranch_vccnz .LBB435_28
; %bb.3:
	s_mov_b32 s5, 0
	s_load_dword s24, s[0:1], 0x0
	s_lshl_b64 s[0:1], s[4:5], 3
	s_add_u32 s4, s26, s0
	s_addc_u32 s5, s27, s1
	s_load_dwordx2 s[4:5], s[4:5], 0x0
	s_lshl_b32 s25, s2, 5
	s_lshl_b32 s26, s3, 5
	v_cmp_eq_f32_e64 s[2:3], s34, 0
	v_cmp_lt_i64_e64 s[6:7], s[8:9], 1
	v_mov_b32_e32 v3, 0
	s_or_b64 s[2:3], s[2:3], s[6:7]
	v_and_b32_e32 v5, 0x3ff, v0
	v_bfe_u32 v7, v0, 10, 10
	s_and_b64 vcc, exec, s[2:3]
	v_mov_b32_e32 v2, v3
	v_mov_b32_e32 v1, v3
	;; [unrolled: 1-line block ×3, first 2 shown]
	s_cbranch_vccnz .LBB435_12
; %bb.4:
	s_add_u32 s2, s18, s0
	s_addc_u32 s3, s19, s1
	s_load_dwordx2 s[2:3], s[2:3], 0x0
	s_lshl_b64 s[6:7], s[22:23], 2
	v_lshl_add_u32 v0, v7, 4, v5
	v_lshrrev_b32_e32 v6, 5, v0
	v_lshrrev_b32_e32 v2, 3, v0
	s_waitcnt lgkmcnt(0)
	s_add_u32 s6, s2, s6
	s_addc_u32 s7, s3, s7
	s_add_u32 s0, s12, s0
	s_addc_u32 s1, s13, s1
	s_load_dwordx2 s[0:1], s[0:1], 0x0
	v_and_b32_e32 v0, 31, v0
	s_lshl_b64 s[2:3], s[16:17], 2
	v_or_b32_e32 v1, s25, v0
	v_lshlrev_b32_e32 v0, 2, v0
	s_waitcnt lgkmcnt(0)
	s_add_u32 s2, s0, s2
	s_addc_u32 s3, s1, s3
	v_cmp_gt_i32_e64 s[0:1], s24, v1
	v_lshl_or_b32 v14, v6, 7, v0
	s_ashr_i32 s12, s25, 31
	v_mul_lo_u32 v8, s15, v1
	v_mad_u64_u32 v[0:1], s[10:11], s14, v1, 0
	s_mul_i32 s10, s14, s12
	v_and_b32_e32 v4, 7, v5
	v_add3_u32 v1, v1, s10, v8
	v_lshl_add_u64 v[8:9], v[0:1], 2, s[2:3]
	v_lshlrev_b32_e32 v0, 2, v4
	v_add_u32_e32 v3, s26, v2
	v_lshl_or_b32 v0, v2, 5, v0
	v_add_u32_e32 v15, 0x400, v0
	v_ashrrev_i32_e32 v0, 31, v3
	v_mul_lo_u32 v2, s20, v0
	v_mul_lo_u32 v10, s21, v3
	v_mad_u64_u32 v[0:1], s[10:11], s20, v3, 0
	v_add3_u32 v1, v1, v2, v10
	v_lshl_add_u64 v[10:11], v[0:1], 2, s[6:7]
	v_mov_b32_e32 v0, 0x400
	v_mov_b32_e32 v13, 0
	v_cmp_gt_i32_e64 s[2:3], s24, v3
	v_lshlrev_b32_e32 v16, 2, v5
	v_lshl_add_u32 v17, v7, 5, v0
	s_mov_b64 s[6:7], 0
	v_mov_b32_e32 v0, v13
	v_mov_b32_e32 v1, v13
	;; [unrolled: 1-line block ×4, first 2 shown]
	s_branch .LBB435_6
.LBB435_5:                              ;   in Loop: Header=BB435_6 Depth=1
	s_or_b64 exec, exec, s[10:11]
	s_waitcnt vmcnt(0) lgkmcnt(0)
	ds_write_b32 v15, v18
	s_waitcnt lgkmcnt(0)
	s_barrier
	ds_read_b128 v[18:21], v17
	ds_read_b128 v[22:25], v17 offset:16
	ds_read2_b32 v[34:35], v16 offset1:16
	ds_read2_b32 v[36:37], v16 offset0:32 offset1:48
	ds_read2_b32 v[38:39], v16 offset0:64 offset1:80
	;; [unrolled: 1-line block ×4, first 2 shown]
	ds_read_b128 v[26:29], v17 offset:512
	ds_read_b128 v[30:33], v17 offset:528
	ds_read2_b32 v[44:45], v16 offset0:160 offset1:176
	ds_read2_b32 v[46:47], v16 offset0:192 offset1:208
	;; [unrolled: 1-line block ×3, first 2 shown]
	s_waitcnt lgkmcnt(9)
	v_pk_fma_f32 v[2:3], v[34:35], v[18:19], v[2:3] op_sel_hi:[1,0,1]
	v_mov_b32_e32 v12, v21
	s_waitcnt lgkmcnt(8)
	v_pk_fma_f32 v[2:3], v[36:37], v[18:19], v[2:3] op_sel:[0,1,0]
	s_waitcnt lgkmcnt(4)
	v_pk_fma_f32 v[0:1], v[34:35], v[26:27], v[0:1] op_sel_hi:[1,0,1]
	v_pk_fma_f32 v[2:3], v[38:39], v[20:21], v[2:3] op_sel_hi:[1,0,1]
	v_pk_fma_f32 v[0:1], v[36:37], v[26:27], v[0:1] op_sel:[0,1,0]
	v_pk_fma_f32 v[2:3], v[40:41], v[12:13], v[2:3] op_sel_hi:[1,0,1]
	v_mov_b32_e32 v12, v25
	v_pk_fma_f32 v[2:3], v[42:43], v[22:23], v[2:3] op_sel_hi:[1,0,1]
	v_pk_fma_f32 v[0:1], v[38:39], v[28:29], v[0:1] op_sel_hi:[1,0,1]
	s_waitcnt lgkmcnt(2)
	v_pk_fma_f32 v[2:3], v[44:45], v[22:23], v[2:3] op_sel:[0,1,0]
	s_add_u32 s6, s6, 8
	s_waitcnt lgkmcnt(1)
	v_pk_fma_f32 v[2:3], v[46:47], v[24:25], v[2:3] op_sel_hi:[1,0,1]
	s_addc_u32 s7, s7, 0
	s_waitcnt lgkmcnt(0)
	v_pk_fma_f32 v[2:3], v[48:49], v[12:13], v[2:3] op_sel_hi:[1,0,1]
	v_mov_b32_e32 v12, v29
	v_pk_fma_f32 v[0:1], v[40:41], v[12:13], v[0:1] op_sel_hi:[1,0,1]
	v_mov_b64_e32 v[18:19], s[6:7]
	v_pk_fma_f32 v[0:1], v[42:43], v[30:31], v[0:1] op_sel_hi:[1,0,1]
	v_mov_b32_e32 v12, v33
	v_pk_fma_f32 v[0:1], v[44:45], v[30:31], v[0:1] op_sel:[0,1,0]
	v_cmp_gt_i64_e32 vcc, s[8:9], v[18:19]
	v_pk_fma_f32 v[0:1], v[46:47], v[32:33], v[0:1] op_sel_hi:[1,0,1]
	s_nop 0
	v_pk_fma_f32 v[0:1], v[48:49], v[12:13], v[0:1] op_sel_hi:[1,0,1]
	s_barrier
	s_cbranch_vccz .LBB435_12
.LBB435_6:                              ; =>This Inner Loop Header: Depth=1
	v_mov_b32_e32 v18, 0
	s_and_saveexec_b64 s[10:11], s[0:1]
	s_cbranch_execz .LBB435_10
; %bb.7:                                ;   in Loop: Header=BB435_6 Depth=1
	v_add_u32_e32 v12, s6, v6
	v_cmp_gt_u64_e32 vcc, s[8:9], v[12:13]
	v_mov_b32_e32 v18, 0
	s_and_saveexec_b64 s[12:13], vcc
	s_cbranch_execz .LBB435_9
; %bb.8:                                ;   in Loop: Header=BB435_6 Depth=1
	v_lshl_add_u64 v[18:19], v[12:13], 2, v[8:9]
	flat_load_dword v18, v[18:19]
.LBB435_9:                              ;   in Loop: Header=BB435_6 Depth=1
	s_or_b64 exec, exec, s[12:13]
.LBB435_10:                             ;   in Loop: Header=BB435_6 Depth=1
	s_or_b64 exec, exec, s[10:11]
	v_add_u32_e32 v12, s6, v4
	v_cmp_gt_u64_e32 vcc, s[8:9], v[12:13]
	s_waitcnt vmcnt(0) lgkmcnt(0)
	ds_write_b32 v14, v18
	s_and_b64 s[12:13], vcc, s[2:3]
	v_mov_b32_e32 v18, 0
	s_and_saveexec_b64 s[10:11], s[12:13]
	s_cbranch_execz .LBB435_5
; %bb.11:                               ;   in Loop: Header=BB435_6 Depth=1
	v_lshl_add_u64 v[18:19], v[12:13], 2, v[10:11]
	flat_load_dword v18, v[18:19]
	s_branch .LBB435_5
.LBB435_12:
	s_lshl_b64 s[0:1], s[30:31], 2
	v_add_u32_e32 v10, s26, v7
	s_waitcnt lgkmcnt(0)
	s_add_u32 s4, s4, s0
	v_add_u32_e32 v4, s25, v5
	v_ashrrev_i32_e32 v5, 31, v10
	s_addc_u32 s5, s5, s1
	v_mul_lo_u32 v5, s28, v5
	v_mul_lo_u32 v8, s29, v10
	v_mad_u64_u32 v[6:7], s[0:1], s28, v10, 0
	v_add3_u32 v7, v7, v5, v8
	v_cmp_neq_f32_e64 s[0:1], s33, 0
	v_cmp_gt_i32_e64 s[2:3], s24, v10
	v_lshl_add_u64 v[8:9], v[6:7], 2, s[4:5]
	v_cmp_le_i32_e32 vcc, v4, v10
	v_cndmask_b32_e64 v6, 0, 1, s[0:1]
	s_and_b64 s[8:9], s[2:3], vcc
	v_ashrrev_i32_e32 v5, 31, v4
	v_cmp_ne_u32_e64 s[0:1], 1, v6
	s_and_saveexec_b64 s[6:7], s[8:9]
	s_cbranch_execz .LBB435_16
; %bb.13:
	v_mul_f32_e32 v2, s34, v2
	s_and_b64 vcc, exec, s[0:1]
	v_lshl_add_u64 v[6:7], v[4:5], 2, v[8:9]
	s_cbranch_vccnz .LBB435_15
; %bb.14:
	flat_load_dword v11, v[6:7]
	s_waitcnt vmcnt(0) lgkmcnt(0)
	v_fmac_f32_e32 v2, s33, v11
.LBB435_15:
	flat_store_dword v[6:7], v2
.LBB435_16:
	s_or_b64 exec, exec, s[6:7]
	v_add_u32_e32 v6, 16, v4
	v_cmp_le_i32_e32 vcc, v6, v10
	s_and_b64 s[6:7], s[2:3], vcc
	v_ashrrev_i32_e32 v7, 31, v6
	s_and_saveexec_b64 s[2:3], s[6:7]
	s_cbranch_execz .LBB435_20
; %bb.17:
	v_mul_f32_e32 v11, s34, v3
	s_and_b64 vcc, exec, s[0:1]
	v_lshl_add_u64 v[2:3], v[6:7], 2, v[8:9]
	s_cbranch_vccnz .LBB435_19
; %bb.18:
	flat_load_dword v8, v[2:3]
	s_waitcnt vmcnt(0) lgkmcnt(0)
	v_fmac_f32_e32 v11, s33, v8
.LBB435_19:
	flat_store_dword v[2:3], v11
.LBB435_20:
	s_or_b64 exec, exec, s[2:3]
	v_add_u32_e32 v8, 16, v10
	v_ashrrev_i32_e32 v2, 31, v8
	v_mul_lo_u32 v9, s28, v2
	v_mul_lo_u32 v10, s29, v8
	v_mad_u64_u32 v[2:3], s[6:7], s28, v8, 0
	v_cmp_gt_i32_e64 s[2:3], s24, v8
	v_add3_u32 v3, v3, v9, v10
	v_cmp_le_i32_e32 vcc, v4, v8
	v_lshl_add_u64 v[2:3], v[2:3], 2, s[4:5]
	s_and_b64 s[6:7], s[2:3], vcc
	s_and_saveexec_b64 s[4:5], s[6:7]
	s_cbranch_execz .LBB435_24
; %bb.21:
	v_mul_f32_e32 v0, s34, v0
	s_and_b64 vcc, exec, s[0:1]
	v_lshl_add_u64 v[4:5], v[4:5], 2, v[2:3]
	s_cbranch_vccnz .LBB435_23
; %bb.22:
	flat_load_dword v9, v[4:5]
	s_waitcnt vmcnt(0) lgkmcnt(0)
	v_fmac_f32_e32 v0, s33, v9
.LBB435_23:
	flat_store_dword v[4:5], v0
.LBB435_24:
	s_or_b64 exec, exec, s[4:5]
	v_cmp_le_i32_e32 vcc, v6, v8
	s_and_b64 s[2:3], s[2:3], vcc
	s_and_saveexec_b64 s[4:5], s[2:3]
	s_cbranch_execz .LBB435_28
; %bb.25:
	v_mul_f32_e32 v4, s34, v1
	s_and_b64 vcc, exec, s[0:1]
	v_lshl_add_u64 v[0:1], v[6:7], 2, v[2:3]
	s_cbranch_vccnz .LBB435_27
; %bb.26:
	flat_load_dword v2, v[0:1]
	s_waitcnt vmcnt(0) lgkmcnt(0)
	v_fmac_f32_e32 v4, s33, v2
.LBB435_27:
	flat_store_dword v[0:1], v4
.LBB435_28:
	s_endpgm
	.section	.rodata,"a",@progbits
	.p2align	6, 0x0
	.amdhsa_kernel _ZL29rocblas_internal_gemmt_kernelIlLi16ELi32ELi8ELc84ELc78ELc85ELb0ELb0EfPKfPKS1_PKPfEviT_T9_T10_S7_lS9_S7_lS8_T11_S7_li
		.amdhsa_group_segment_fixed_size 2048
		.amdhsa_private_segment_fixed_size 0
		.amdhsa_kernarg_size 108
		.amdhsa_user_sgpr_count 2
		.amdhsa_user_sgpr_dispatch_ptr 0
		.amdhsa_user_sgpr_queue_ptr 0
		.amdhsa_user_sgpr_kernarg_segment_ptr 1
		.amdhsa_user_sgpr_dispatch_id 0
		.amdhsa_user_sgpr_kernarg_preload_length 0
		.amdhsa_user_sgpr_kernarg_preload_offset 0
		.amdhsa_user_sgpr_private_segment_size 0
		.amdhsa_uses_dynamic_stack 0
		.amdhsa_enable_private_segment 0
		.amdhsa_system_sgpr_workgroup_id_x 1
		.amdhsa_system_sgpr_workgroup_id_y 1
		.amdhsa_system_sgpr_workgroup_id_z 1
		.amdhsa_system_sgpr_workgroup_info 0
		.amdhsa_system_vgpr_workitem_id 1
		.amdhsa_next_free_vgpr 50
		.amdhsa_next_free_sgpr 35
		.amdhsa_accum_offset 52
		.amdhsa_reserve_vcc 1
		.amdhsa_float_round_mode_32 0
		.amdhsa_float_round_mode_16_64 0
		.amdhsa_float_denorm_mode_32 3
		.amdhsa_float_denorm_mode_16_64 3
		.amdhsa_dx10_clamp 1
		.amdhsa_ieee_mode 1
		.amdhsa_fp16_overflow 0
		.amdhsa_tg_split 0
		.amdhsa_exception_fp_ieee_invalid_op 0
		.amdhsa_exception_fp_denorm_src 0
		.amdhsa_exception_fp_ieee_div_zero 0
		.amdhsa_exception_fp_ieee_overflow 0
		.amdhsa_exception_fp_ieee_underflow 0
		.amdhsa_exception_fp_ieee_inexact 0
		.amdhsa_exception_int_div_zero 0
	.end_amdhsa_kernel
	.section	.text._ZL29rocblas_internal_gemmt_kernelIlLi16ELi32ELi8ELc84ELc78ELc85ELb0ELb0EfPKfPKS1_PKPfEviT_T9_T10_S7_lS9_S7_lS8_T11_S7_li,"axG",@progbits,_ZL29rocblas_internal_gemmt_kernelIlLi16ELi32ELi8ELc84ELc78ELc85ELb0ELb0EfPKfPKS1_PKPfEviT_T9_T10_S7_lS9_S7_lS8_T11_S7_li,comdat
.Lfunc_end435:
	.size	_ZL29rocblas_internal_gemmt_kernelIlLi16ELi32ELi8ELc84ELc78ELc85ELb0ELb0EfPKfPKS1_PKPfEviT_T9_T10_S7_lS9_S7_lS8_T11_S7_li, .Lfunc_end435-_ZL29rocblas_internal_gemmt_kernelIlLi16ELi32ELi8ELc84ELc78ELc85ELb0ELb0EfPKfPKS1_PKPfEviT_T9_T10_S7_lS9_S7_lS8_T11_S7_li
                                        ; -- End function
	.set _ZL29rocblas_internal_gemmt_kernelIlLi16ELi32ELi8ELc84ELc78ELc85ELb0ELb0EfPKfPKS1_PKPfEviT_T9_T10_S7_lS9_S7_lS8_T11_S7_li.num_vgpr, 50
	.set _ZL29rocblas_internal_gemmt_kernelIlLi16ELi32ELi8ELc84ELc78ELc85ELb0ELb0EfPKfPKS1_PKPfEviT_T9_T10_S7_lS9_S7_lS8_T11_S7_li.num_agpr, 0
	.set _ZL29rocblas_internal_gemmt_kernelIlLi16ELi32ELi8ELc84ELc78ELc85ELb0ELb0EfPKfPKS1_PKPfEviT_T9_T10_S7_lS9_S7_lS8_T11_S7_li.numbered_sgpr, 35
	.set _ZL29rocblas_internal_gemmt_kernelIlLi16ELi32ELi8ELc84ELc78ELc85ELb0ELb0EfPKfPKS1_PKPfEviT_T9_T10_S7_lS9_S7_lS8_T11_S7_li.num_named_barrier, 0
	.set _ZL29rocblas_internal_gemmt_kernelIlLi16ELi32ELi8ELc84ELc78ELc85ELb0ELb0EfPKfPKS1_PKPfEviT_T9_T10_S7_lS9_S7_lS8_T11_S7_li.private_seg_size, 0
	.set _ZL29rocblas_internal_gemmt_kernelIlLi16ELi32ELi8ELc84ELc78ELc85ELb0ELb0EfPKfPKS1_PKPfEviT_T9_T10_S7_lS9_S7_lS8_T11_S7_li.uses_vcc, 1
	.set _ZL29rocblas_internal_gemmt_kernelIlLi16ELi32ELi8ELc84ELc78ELc85ELb0ELb0EfPKfPKS1_PKPfEviT_T9_T10_S7_lS9_S7_lS8_T11_S7_li.uses_flat_scratch, 0
	.set _ZL29rocblas_internal_gemmt_kernelIlLi16ELi32ELi8ELc84ELc78ELc85ELb0ELb0EfPKfPKS1_PKPfEviT_T9_T10_S7_lS9_S7_lS8_T11_S7_li.has_dyn_sized_stack, 0
	.set _ZL29rocblas_internal_gemmt_kernelIlLi16ELi32ELi8ELc84ELc78ELc85ELb0ELb0EfPKfPKS1_PKPfEviT_T9_T10_S7_lS9_S7_lS8_T11_S7_li.has_recursion, 0
	.set _ZL29rocblas_internal_gemmt_kernelIlLi16ELi32ELi8ELc84ELc78ELc85ELb0ELb0EfPKfPKS1_PKPfEviT_T9_T10_S7_lS9_S7_lS8_T11_S7_li.has_indirect_call, 0
	.section	.AMDGPU.csdata,"",@progbits
; Kernel info:
; codeLenInByte = 1312
; TotalNumSgprs: 41
; NumVgprs: 50
; NumAgprs: 0
; TotalNumVgprs: 50
; ScratchSize: 0
; MemoryBound: 0
; FloatMode: 240
; IeeeMode: 1
; LDSByteSize: 2048 bytes/workgroup (compile time only)
; SGPRBlocks: 5
; VGPRBlocks: 6
; NumSGPRsForWavesPerEU: 41
; NumVGPRsForWavesPerEU: 50
; AccumOffset: 52
; Occupancy: 8
; WaveLimiterHint : 1
; COMPUTE_PGM_RSRC2:SCRATCH_EN: 0
; COMPUTE_PGM_RSRC2:USER_SGPR: 2
; COMPUTE_PGM_RSRC2:TRAP_HANDLER: 0
; COMPUTE_PGM_RSRC2:TGID_X_EN: 1
; COMPUTE_PGM_RSRC2:TGID_Y_EN: 1
; COMPUTE_PGM_RSRC2:TGID_Z_EN: 1
; COMPUTE_PGM_RSRC2:TIDIG_COMP_CNT: 1
; COMPUTE_PGM_RSRC3_GFX90A:ACCUM_OFFSET: 12
; COMPUTE_PGM_RSRC3_GFX90A:TG_SPLIT: 0
	.section	.text._ZL29rocblas_internal_gemmt_kernelIlLi16ELi32ELi8ELc84ELc84ELc85ELb0ELb0EfPKfPKS1_PKPfEviT_T9_T10_S7_lS9_S7_lS8_T11_S7_li,"axG",@progbits,_ZL29rocblas_internal_gemmt_kernelIlLi16ELi32ELi8ELc84ELc84ELc85ELb0ELb0EfPKfPKS1_PKPfEviT_T9_T10_S7_lS9_S7_lS8_T11_S7_li,comdat
	.globl	_ZL29rocblas_internal_gemmt_kernelIlLi16ELi32ELi8ELc84ELc84ELc85ELb0ELb0EfPKfPKS1_PKPfEviT_T9_T10_S7_lS9_S7_lS8_T11_S7_li ; -- Begin function _ZL29rocblas_internal_gemmt_kernelIlLi16ELi32ELi8ELc84ELc84ELc85ELb0ELb0EfPKfPKS1_PKPfEviT_T9_T10_S7_lS9_S7_lS8_T11_S7_li
	.p2align	8
	.type	_ZL29rocblas_internal_gemmt_kernelIlLi16ELi32ELi8ELc84ELc84ELc85ELb0ELb0EfPKfPKS1_PKPfEviT_T9_T10_S7_lS9_S7_lS8_T11_S7_li,@function
_ZL29rocblas_internal_gemmt_kernelIlLi16ELi32ELi8ELc84ELc84ELc85ELb0ELb0EfPKfPKS1_PKPfEviT_T9_T10_S7_lS9_S7_lS8_T11_S7_li: ; @_ZL29rocblas_internal_gemmt_kernelIlLi16ELi32ELi8ELc84ELc84ELc85ELb0ELb0EfPKfPKS1_PKPfEviT_T9_T10_S7_lS9_S7_lS8_T11_S7_li
; %bb.0:
	s_load_dwordx8 s[24:31], s[0:1], 0x48
	s_load_dwordx16 s[8:23], s[0:1], 0x8
	s_waitcnt lgkmcnt(0)
	s_load_dword s33, s[24:25], 0x0
	s_load_dword s34, s[10:11], 0x0
	s_waitcnt lgkmcnt(0)
	v_cmp_neq_f32_e64 s[6:7], s33, 1.0
	s_and_b64 vcc, exec, s[6:7]
	s_cbranch_vccnz .LBB436_2
; %bb.1:
	s_cmp_lg_u64 s[8:9], 0
	s_cselect_b64 s[6:7], -1, 0
	v_cmp_neq_f32_e64 s[10:11], s34, 0
	s_and_b64 s[6:7], s[6:7], s[10:11]
.LBB436_2:
	s_andn2_b64 vcc, exec, s[6:7]
	s_cbranch_vccnz .LBB436_28
; %bb.3:
	s_mov_b32 s5, 0
	s_load_dword s24, s[0:1], 0x0
	s_lshl_b64 s[0:1], s[4:5], 3
	s_add_u32 s4, s26, s0
	s_addc_u32 s5, s27, s1
	s_load_dwordx2 s[4:5], s[4:5], 0x0
	s_lshl_b32 s25, s2, 5
	s_lshl_b32 s26, s3, 5
	v_cmp_eq_f32_e64 s[2:3], s34, 0
	v_cmp_lt_i64_e64 s[6:7], s[8:9], 1
	v_mov_b32_e32 v3, 0
	s_or_b64 s[2:3], s[2:3], s[6:7]
	v_and_b32_e32 v5, 0x3ff, v0
	v_bfe_u32 v7, v0, 10, 10
	s_and_b64 vcc, exec, s[2:3]
	v_mov_b32_e32 v2, v3
	v_mov_b32_e32 v1, v3
	;; [unrolled: 1-line block ×3, first 2 shown]
	s_cbranch_vccnz .LBB436_12
; %bb.4:
	s_add_u32 s2, s18, s0
	s_addc_u32 s3, s19, s1
	s_load_dwordx2 s[2:3], s[2:3], 0x0
	s_lshl_b64 s[6:7], s[22:23], 2
	v_lshl_add_u32 v1, v7, 4, v5
	v_lshrrev_b32_e32 v6, 5, v1
	v_lshrrev_b32_e32 v10, 3, v1
	s_waitcnt lgkmcnt(0)
	s_add_u32 s6, s2, s6
	s_addc_u32 s7, s3, s7
	s_add_u32 s0, s12, s0
	s_addc_u32 s1, s13, s1
	s_load_dwordx2 s[0:1], s[0:1], 0x0
	v_and_b32_e32 v1, 31, v1
	s_lshl_b64 s[2:3], s[16:17], 2
	v_or_b32_e32 v2, s25, v1
	v_lshlrev_b32_e32 v1, 2, v1
	s_waitcnt lgkmcnt(0)
	s_add_u32 s2, s0, s2
	s_addc_u32 s3, s1, s3
	v_cmp_gt_i32_e64 s[0:1], s24, v2
	v_lshl_or_b32 v14, v6, 7, v1
	s_ashr_i32 s12, s25, 31
	v_mul_lo_u32 v1, s15, v2
	v_mad_u64_u32 v[2:3], s[10:11], s14, v2, 0
	v_and_b32_e32 v4, 7, v5
	s_mul_i32 s10, s14, s12
	v_add3_u32 v3, v3, s10, v1
	v_lshlrev_b32_e32 v1, 2, v4
	v_add_u32_e32 v0, s26, v10
	v_lshl_or_b32 v1, v10, 5, v1
	v_add_u32_e32 v15, 0x400, v1
	v_ashrrev_i32_e32 v1, 31, v0
	v_lshl_add_u64 v[8:9], v[2:3], 2, s[2:3]
	v_cmp_gt_i32_e64 s[2:3], s24, v0
	v_lshl_add_u64 v[10:11], v[0:1], 2, s[6:7]
	v_mov_b32_e32 v0, 0x400
	v_mov_b32_e32 v13, 0
	v_lshlrev_b32_e32 v16, 2, v5
	v_lshl_add_u32 v17, v7, 5, v0
	s_mov_b64 s[6:7], 0
	v_mov_b32_e32 v0, v13
	v_mov_b32_e32 v1, v13
	v_mov_b32_e32 v2, v13
	v_mov_b32_e32 v3, v13
	s_branch .LBB436_6
.LBB436_5:                              ;   in Loop: Header=BB436_6 Depth=1
	s_or_b64 exec, exec, s[10:11]
	s_waitcnt vmcnt(0) lgkmcnt(0)
	ds_write_b32 v15, v18
	s_waitcnt lgkmcnt(0)
	s_barrier
	ds_read_b128 v[18:21], v17
	ds_read_b128 v[22:25], v17 offset:16
	ds_read2_b32 v[34:35], v16 offset1:16
	ds_read2_b32 v[36:37], v16 offset0:32 offset1:48
	ds_read2_b32 v[38:39], v16 offset0:64 offset1:80
	ds_read2_b32 v[40:41], v16 offset0:96 offset1:112
	ds_read2_b32 v[42:43], v16 offset0:128 offset1:144
	ds_read_b128 v[26:29], v17 offset:512
	ds_read_b128 v[30:33], v17 offset:528
	ds_read2_b32 v[44:45], v16 offset0:160 offset1:176
	ds_read2_b32 v[46:47], v16 offset0:192 offset1:208
	;; [unrolled: 1-line block ×3, first 2 shown]
	s_waitcnt lgkmcnt(9)
	v_pk_fma_f32 v[2:3], v[34:35], v[18:19], v[2:3] op_sel_hi:[1,0,1]
	v_mov_b32_e32 v12, v21
	s_waitcnt lgkmcnt(8)
	v_pk_fma_f32 v[2:3], v[36:37], v[18:19], v[2:3] op_sel:[0,1,0]
	s_waitcnt lgkmcnt(4)
	v_pk_fma_f32 v[0:1], v[34:35], v[26:27], v[0:1] op_sel_hi:[1,0,1]
	v_pk_fma_f32 v[2:3], v[38:39], v[20:21], v[2:3] op_sel_hi:[1,0,1]
	v_pk_fma_f32 v[0:1], v[36:37], v[26:27], v[0:1] op_sel:[0,1,0]
	v_pk_fma_f32 v[2:3], v[40:41], v[12:13], v[2:3] op_sel_hi:[1,0,1]
	v_mov_b32_e32 v12, v25
	v_pk_fma_f32 v[2:3], v[42:43], v[22:23], v[2:3] op_sel_hi:[1,0,1]
	v_pk_fma_f32 v[0:1], v[38:39], v[28:29], v[0:1] op_sel_hi:[1,0,1]
	s_waitcnt lgkmcnt(2)
	v_pk_fma_f32 v[2:3], v[44:45], v[22:23], v[2:3] op_sel:[0,1,0]
	s_add_u32 s6, s6, 8
	s_waitcnt lgkmcnt(1)
	v_pk_fma_f32 v[2:3], v[46:47], v[24:25], v[2:3] op_sel_hi:[1,0,1]
	s_addc_u32 s7, s7, 0
	s_waitcnt lgkmcnt(0)
	v_pk_fma_f32 v[2:3], v[48:49], v[12:13], v[2:3] op_sel_hi:[1,0,1]
	v_mov_b32_e32 v12, v29
	v_pk_fma_f32 v[0:1], v[40:41], v[12:13], v[0:1] op_sel_hi:[1,0,1]
	v_mov_b64_e32 v[18:19], s[6:7]
	v_pk_fma_f32 v[0:1], v[42:43], v[30:31], v[0:1] op_sel_hi:[1,0,1]
	v_mov_b32_e32 v12, v33
	v_pk_fma_f32 v[0:1], v[44:45], v[30:31], v[0:1] op_sel:[0,1,0]
	v_cmp_gt_i64_e32 vcc, s[8:9], v[18:19]
	v_pk_fma_f32 v[0:1], v[46:47], v[32:33], v[0:1] op_sel_hi:[1,0,1]
	s_nop 0
	v_pk_fma_f32 v[0:1], v[48:49], v[12:13], v[0:1] op_sel_hi:[1,0,1]
	s_barrier
	s_cbranch_vccz .LBB436_12
.LBB436_6:                              ; =>This Inner Loop Header: Depth=1
	v_mov_b32_e32 v18, 0
	s_and_saveexec_b64 s[10:11], s[0:1]
	s_cbranch_execz .LBB436_10
; %bb.7:                                ;   in Loop: Header=BB436_6 Depth=1
	v_add_u32_e32 v12, s6, v6
	v_cmp_gt_u64_e32 vcc, s[8:9], v[12:13]
	v_mov_b32_e32 v18, 0
	s_and_saveexec_b64 s[12:13], vcc
	s_cbranch_execz .LBB436_9
; %bb.8:                                ;   in Loop: Header=BB436_6 Depth=1
	v_lshl_add_u64 v[18:19], v[12:13], 2, v[8:9]
	flat_load_dword v18, v[18:19]
.LBB436_9:                              ;   in Loop: Header=BB436_6 Depth=1
	s_or_b64 exec, exec, s[12:13]
.LBB436_10:                             ;   in Loop: Header=BB436_6 Depth=1
	s_or_b64 exec, exec, s[10:11]
	v_add_u32_e32 v12, s6, v4
	v_cmp_gt_u64_e32 vcc, s[8:9], v[12:13]
	s_waitcnt vmcnt(0) lgkmcnt(0)
	ds_write_b32 v14, v18
	s_and_b64 s[12:13], vcc, s[2:3]
	v_mov_b32_e32 v18, 0
	s_and_saveexec_b64 s[10:11], s[12:13]
	s_cbranch_execz .LBB436_5
; %bb.11:                               ;   in Loop: Header=BB436_6 Depth=1
	v_mad_u64_u32 v[18:19], s[12:13], s20, v12, 0
	v_mov_b32_e32 v20, v19
	v_mad_u64_u32 v[20:21], s[12:13], s21, v12, v[20:21]
	v_mov_b32_e32 v19, v20
	v_lshl_add_u64 v[18:19], v[18:19], 2, v[10:11]
	flat_load_dword v18, v[18:19]
	s_branch .LBB436_5
.LBB436_12:
	s_lshl_b64 s[0:1], s[30:31], 2
	v_add_u32_e32 v10, s26, v7
	s_waitcnt lgkmcnt(0)
	s_add_u32 s4, s4, s0
	v_add_u32_e32 v4, s25, v5
	v_ashrrev_i32_e32 v5, 31, v10
	s_addc_u32 s5, s5, s1
	v_mul_lo_u32 v5, s28, v5
	v_mul_lo_u32 v8, s29, v10
	v_mad_u64_u32 v[6:7], s[0:1], s28, v10, 0
	v_add3_u32 v7, v7, v5, v8
	v_cmp_neq_f32_e64 s[0:1], s33, 0
	v_cmp_gt_i32_e64 s[2:3], s24, v10
	v_lshl_add_u64 v[8:9], v[6:7], 2, s[4:5]
	v_cmp_le_i32_e32 vcc, v4, v10
	v_cndmask_b32_e64 v6, 0, 1, s[0:1]
	s_and_b64 s[8:9], s[2:3], vcc
	v_ashrrev_i32_e32 v5, 31, v4
	v_cmp_ne_u32_e64 s[0:1], 1, v6
	s_and_saveexec_b64 s[6:7], s[8:9]
	s_cbranch_execz .LBB436_16
; %bb.13:
	v_mul_f32_e32 v2, s34, v2
	s_and_b64 vcc, exec, s[0:1]
	v_lshl_add_u64 v[6:7], v[4:5], 2, v[8:9]
	s_cbranch_vccnz .LBB436_15
; %bb.14:
	flat_load_dword v11, v[6:7]
	s_waitcnt vmcnt(0) lgkmcnt(0)
	v_fmac_f32_e32 v2, s33, v11
.LBB436_15:
	flat_store_dword v[6:7], v2
.LBB436_16:
	s_or_b64 exec, exec, s[6:7]
	v_add_u32_e32 v6, 16, v4
	v_cmp_le_i32_e32 vcc, v6, v10
	s_and_b64 s[6:7], s[2:3], vcc
	v_ashrrev_i32_e32 v7, 31, v6
	s_and_saveexec_b64 s[2:3], s[6:7]
	s_cbranch_execz .LBB436_20
; %bb.17:
	v_mul_f32_e32 v11, s34, v3
	s_and_b64 vcc, exec, s[0:1]
	v_lshl_add_u64 v[2:3], v[6:7], 2, v[8:9]
	s_cbranch_vccnz .LBB436_19
; %bb.18:
	flat_load_dword v8, v[2:3]
	s_waitcnt vmcnt(0) lgkmcnt(0)
	v_fmac_f32_e32 v11, s33, v8
.LBB436_19:
	flat_store_dword v[2:3], v11
.LBB436_20:
	s_or_b64 exec, exec, s[2:3]
	v_add_u32_e32 v8, 16, v10
	v_ashrrev_i32_e32 v2, 31, v8
	v_mul_lo_u32 v9, s28, v2
	v_mul_lo_u32 v10, s29, v8
	v_mad_u64_u32 v[2:3], s[6:7], s28, v8, 0
	v_cmp_gt_i32_e64 s[2:3], s24, v8
	v_add3_u32 v3, v3, v9, v10
	v_cmp_le_i32_e32 vcc, v4, v8
	v_lshl_add_u64 v[2:3], v[2:3], 2, s[4:5]
	s_and_b64 s[6:7], s[2:3], vcc
	s_and_saveexec_b64 s[4:5], s[6:7]
	s_cbranch_execz .LBB436_24
; %bb.21:
	v_mul_f32_e32 v0, s34, v0
	s_and_b64 vcc, exec, s[0:1]
	v_lshl_add_u64 v[4:5], v[4:5], 2, v[2:3]
	s_cbranch_vccnz .LBB436_23
; %bb.22:
	flat_load_dword v9, v[4:5]
	s_waitcnt vmcnt(0) lgkmcnt(0)
	v_fmac_f32_e32 v0, s33, v9
.LBB436_23:
	flat_store_dword v[4:5], v0
.LBB436_24:
	s_or_b64 exec, exec, s[4:5]
	v_cmp_le_i32_e32 vcc, v6, v8
	s_and_b64 s[2:3], s[2:3], vcc
	s_and_saveexec_b64 s[4:5], s[2:3]
	s_cbranch_execz .LBB436_28
; %bb.25:
	v_mul_f32_e32 v4, s34, v1
	s_and_b64 vcc, exec, s[0:1]
	v_lshl_add_u64 v[0:1], v[6:7], 2, v[2:3]
	s_cbranch_vccnz .LBB436_27
; %bb.26:
	flat_load_dword v2, v[0:1]
	s_waitcnt vmcnt(0) lgkmcnt(0)
	v_fmac_f32_e32 v4, s33, v2
.LBB436_27:
	flat_store_dword v[0:1], v4
.LBB436_28:
	s_endpgm
	.section	.rodata,"a",@progbits
	.p2align	6, 0x0
	.amdhsa_kernel _ZL29rocblas_internal_gemmt_kernelIlLi16ELi32ELi8ELc84ELc84ELc85ELb0ELb0EfPKfPKS1_PKPfEviT_T9_T10_S7_lS9_S7_lS8_T11_S7_li
		.amdhsa_group_segment_fixed_size 2048
		.amdhsa_private_segment_fixed_size 0
		.amdhsa_kernarg_size 108
		.amdhsa_user_sgpr_count 2
		.amdhsa_user_sgpr_dispatch_ptr 0
		.amdhsa_user_sgpr_queue_ptr 0
		.amdhsa_user_sgpr_kernarg_segment_ptr 1
		.amdhsa_user_sgpr_dispatch_id 0
		.amdhsa_user_sgpr_kernarg_preload_length 0
		.amdhsa_user_sgpr_kernarg_preload_offset 0
		.amdhsa_user_sgpr_private_segment_size 0
		.amdhsa_uses_dynamic_stack 0
		.amdhsa_enable_private_segment 0
		.amdhsa_system_sgpr_workgroup_id_x 1
		.amdhsa_system_sgpr_workgroup_id_y 1
		.amdhsa_system_sgpr_workgroup_id_z 1
		.amdhsa_system_sgpr_workgroup_info 0
		.amdhsa_system_vgpr_workitem_id 1
		.amdhsa_next_free_vgpr 50
		.amdhsa_next_free_sgpr 35
		.amdhsa_accum_offset 52
		.amdhsa_reserve_vcc 1
		.amdhsa_float_round_mode_32 0
		.amdhsa_float_round_mode_16_64 0
		.amdhsa_float_denorm_mode_32 3
		.amdhsa_float_denorm_mode_16_64 3
		.amdhsa_dx10_clamp 1
		.amdhsa_ieee_mode 1
		.amdhsa_fp16_overflow 0
		.amdhsa_tg_split 0
		.amdhsa_exception_fp_ieee_invalid_op 0
		.amdhsa_exception_fp_denorm_src 0
		.amdhsa_exception_fp_ieee_div_zero 0
		.amdhsa_exception_fp_ieee_overflow 0
		.amdhsa_exception_fp_ieee_underflow 0
		.amdhsa_exception_fp_ieee_inexact 0
		.amdhsa_exception_int_div_zero 0
	.end_amdhsa_kernel
	.section	.text._ZL29rocblas_internal_gemmt_kernelIlLi16ELi32ELi8ELc84ELc84ELc85ELb0ELb0EfPKfPKS1_PKPfEviT_T9_T10_S7_lS9_S7_lS8_T11_S7_li,"axG",@progbits,_ZL29rocblas_internal_gemmt_kernelIlLi16ELi32ELi8ELc84ELc84ELc85ELb0ELb0EfPKfPKS1_PKPfEviT_T9_T10_S7_lS9_S7_lS8_T11_S7_li,comdat
.Lfunc_end436:
	.size	_ZL29rocblas_internal_gemmt_kernelIlLi16ELi32ELi8ELc84ELc84ELc85ELb0ELb0EfPKfPKS1_PKPfEviT_T9_T10_S7_lS9_S7_lS8_T11_S7_li, .Lfunc_end436-_ZL29rocblas_internal_gemmt_kernelIlLi16ELi32ELi8ELc84ELc84ELc85ELb0ELb0EfPKfPKS1_PKPfEviT_T9_T10_S7_lS9_S7_lS8_T11_S7_li
                                        ; -- End function
	.set _ZL29rocblas_internal_gemmt_kernelIlLi16ELi32ELi8ELc84ELc84ELc85ELb0ELb0EfPKfPKS1_PKPfEviT_T9_T10_S7_lS9_S7_lS8_T11_S7_li.num_vgpr, 50
	.set _ZL29rocblas_internal_gemmt_kernelIlLi16ELi32ELi8ELc84ELc84ELc85ELb0ELb0EfPKfPKS1_PKPfEviT_T9_T10_S7_lS9_S7_lS8_T11_S7_li.num_agpr, 0
	.set _ZL29rocblas_internal_gemmt_kernelIlLi16ELi32ELi8ELc84ELc84ELc85ELb0ELb0EfPKfPKS1_PKPfEviT_T9_T10_S7_lS9_S7_lS8_T11_S7_li.numbered_sgpr, 35
	.set _ZL29rocblas_internal_gemmt_kernelIlLi16ELi32ELi8ELc84ELc84ELc85ELb0ELb0EfPKfPKS1_PKPfEviT_T9_T10_S7_lS9_S7_lS8_T11_S7_li.num_named_barrier, 0
	.set _ZL29rocblas_internal_gemmt_kernelIlLi16ELi32ELi8ELc84ELc84ELc85ELb0ELb0EfPKfPKS1_PKPfEviT_T9_T10_S7_lS9_S7_lS8_T11_S7_li.private_seg_size, 0
	.set _ZL29rocblas_internal_gemmt_kernelIlLi16ELi32ELi8ELc84ELc84ELc85ELb0ELb0EfPKfPKS1_PKPfEviT_T9_T10_S7_lS9_S7_lS8_T11_S7_li.uses_vcc, 1
	.set _ZL29rocblas_internal_gemmt_kernelIlLi16ELi32ELi8ELc84ELc84ELc85ELb0ELb0EfPKfPKS1_PKPfEviT_T9_T10_S7_lS9_S7_lS8_T11_S7_li.uses_flat_scratch, 0
	.set _ZL29rocblas_internal_gemmt_kernelIlLi16ELi32ELi8ELc84ELc84ELc85ELb0ELb0EfPKfPKS1_PKPfEviT_T9_T10_S7_lS9_S7_lS8_T11_S7_li.has_dyn_sized_stack, 0
	.set _ZL29rocblas_internal_gemmt_kernelIlLi16ELi32ELi8ELc84ELc84ELc85ELb0ELb0EfPKfPKS1_PKPfEviT_T9_T10_S7_lS9_S7_lS8_T11_S7_li.has_recursion, 0
	.set _ZL29rocblas_internal_gemmt_kernelIlLi16ELi32ELi8ELc84ELc84ELc85ELb0ELb0EfPKfPKS1_PKPfEviT_T9_T10_S7_lS9_S7_lS8_T11_S7_li.has_indirect_call, 0
	.section	.AMDGPU.csdata,"",@progbits
; Kernel info:
; codeLenInByte = 1304
; TotalNumSgprs: 41
; NumVgprs: 50
; NumAgprs: 0
; TotalNumVgprs: 50
; ScratchSize: 0
; MemoryBound: 0
; FloatMode: 240
; IeeeMode: 1
; LDSByteSize: 2048 bytes/workgroup (compile time only)
; SGPRBlocks: 5
; VGPRBlocks: 6
; NumSGPRsForWavesPerEU: 41
; NumVGPRsForWavesPerEU: 50
; AccumOffset: 52
; Occupancy: 8
; WaveLimiterHint : 1
; COMPUTE_PGM_RSRC2:SCRATCH_EN: 0
; COMPUTE_PGM_RSRC2:USER_SGPR: 2
; COMPUTE_PGM_RSRC2:TRAP_HANDLER: 0
; COMPUTE_PGM_RSRC2:TGID_X_EN: 1
; COMPUTE_PGM_RSRC2:TGID_Y_EN: 1
; COMPUTE_PGM_RSRC2:TGID_Z_EN: 1
; COMPUTE_PGM_RSRC2:TIDIG_COMP_CNT: 1
; COMPUTE_PGM_RSRC3_GFX90A:ACCUM_OFFSET: 12
; COMPUTE_PGM_RSRC3_GFX90A:TG_SPLIT: 0
	.section	.text._ZL29rocblas_internal_gemmt_kernelIlLi16ELi32ELi8ELc84ELc67ELc85ELb0ELb0EfPKfPKS1_PKPfEviT_T9_T10_S7_lS9_S7_lS8_T11_S7_li,"axG",@progbits,_ZL29rocblas_internal_gemmt_kernelIlLi16ELi32ELi8ELc84ELc67ELc85ELb0ELb0EfPKfPKS1_PKPfEviT_T9_T10_S7_lS9_S7_lS8_T11_S7_li,comdat
	.globl	_ZL29rocblas_internal_gemmt_kernelIlLi16ELi32ELi8ELc84ELc67ELc85ELb0ELb0EfPKfPKS1_PKPfEviT_T9_T10_S7_lS9_S7_lS8_T11_S7_li ; -- Begin function _ZL29rocblas_internal_gemmt_kernelIlLi16ELi32ELi8ELc84ELc67ELc85ELb0ELb0EfPKfPKS1_PKPfEviT_T9_T10_S7_lS9_S7_lS8_T11_S7_li
	.p2align	8
	.type	_ZL29rocblas_internal_gemmt_kernelIlLi16ELi32ELi8ELc84ELc67ELc85ELb0ELb0EfPKfPKS1_PKPfEviT_T9_T10_S7_lS9_S7_lS8_T11_S7_li,@function
_ZL29rocblas_internal_gemmt_kernelIlLi16ELi32ELi8ELc84ELc67ELc85ELb0ELb0EfPKfPKS1_PKPfEviT_T9_T10_S7_lS9_S7_lS8_T11_S7_li: ; @_ZL29rocblas_internal_gemmt_kernelIlLi16ELi32ELi8ELc84ELc67ELc85ELb0ELb0EfPKfPKS1_PKPfEviT_T9_T10_S7_lS9_S7_lS8_T11_S7_li
; %bb.0:
	s_load_dwordx8 s[24:31], s[0:1], 0x48
	s_load_dwordx16 s[8:23], s[0:1], 0x8
	s_waitcnt lgkmcnt(0)
	s_load_dword s33, s[24:25], 0x0
	s_load_dword s34, s[10:11], 0x0
	s_waitcnt lgkmcnt(0)
	v_cmp_neq_f32_e64 s[6:7], s33, 1.0
	s_and_b64 vcc, exec, s[6:7]
	s_cbranch_vccnz .LBB437_2
; %bb.1:
	s_cmp_lg_u64 s[8:9], 0
	s_cselect_b64 s[6:7], -1, 0
	v_cmp_neq_f32_e64 s[10:11], s34, 0
	s_and_b64 s[6:7], s[6:7], s[10:11]
.LBB437_2:
	s_andn2_b64 vcc, exec, s[6:7]
	s_cbranch_vccnz .LBB437_28
; %bb.3:
	s_mov_b32 s5, 0
	s_load_dword s24, s[0:1], 0x0
	s_lshl_b64 s[0:1], s[4:5], 3
	s_add_u32 s4, s26, s0
	s_addc_u32 s5, s27, s1
	s_load_dwordx2 s[4:5], s[4:5], 0x0
	s_lshl_b32 s25, s2, 5
	s_lshl_b32 s26, s3, 5
	v_cmp_eq_f32_e64 s[2:3], s34, 0
	v_cmp_lt_i64_e64 s[6:7], s[8:9], 1
	v_mov_b32_e32 v3, 0
	s_or_b64 s[2:3], s[2:3], s[6:7]
	v_and_b32_e32 v5, 0x3ff, v0
	v_bfe_u32 v7, v0, 10, 10
	s_and_b64 vcc, exec, s[2:3]
	v_mov_b32_e32 v2, v3
	v_mov_b32_e32 v1, v3
	;; [unrolled: 1-line block ×3, first 2 shown]
	s_cbranch_vccnz .LBB437_12
; %bb.4:
	s_add_u32 s2, s18, s0
	s_addc_u32 s3, s19, s1
	s_load_dwordx2 s[2:3], s[2:3], 0x0
	s_lshl_b64 s[6:7], s[22:23], 2
	v_lshl_add_u32 v1, v7, 4, v5
	v_lshrrev_b32_e32 v6, 5, v1
	v_lshrrev_b32_e32 v10, 3, v1
	s_waitcnt lgkmcnt(0)
	s_add_u32 s6, s2, s6
	s_addc_u32 s7, s3, s7
	s_add_u32 s0, s12, s0
	s_addc_u32 s1, s13, s1
	s_load_dwordx2 s[0:1], s[0:1], 0x0
	v_and_b32_e32 v1, 31, v1
	s_lshl_b64 s[2:3], s[16:17], 2
	v_or_b32_e32 v2, s25, v1
	v_lshlrev_b32_e32 v1, 2, v1
	s_waitcnt lgkmcnt(0)
	s_add_u32 s2, s0, s2
	s_addc_u32 s3, s1, s3
	v_cmp_gt_i32_e64 s[0:1], s24, v2
	v_lshl_or_b32 v14, v6, 7, v1
	s_ashr_i32 s12, s25, 31
	v_mul_lo_u32 v1, s15, v2
	v_mad_u64_u32 v[2:3], s[10:11], s14, v2, 0
	v_and_b32_e32 v4, 7, v5
	s_mul_i32 s10, s14, s12
	v_add3_u32 v3, v3, s10, v1
	v_lshlrev_b32_e32 v1, 2, v4
	v_add_u32_e32 v0, s26, v10
	v_lshl_or_b32 v1, v10, 5, v1
	v_add_u32_e32 v15, 0x400, v1
	v_ashrrev_i32_e32 v1, 31, v0
	v_lshl_add_u64 v[8:9], v[2:3], 2, s[2:3]
	v_cmp_gt_i32_e64 s[2:3], s24, v0
	v_lshl_add_u64 v[10:11], v[0:1], 2, s[6:7]
	v_mov_b32_e32 v0, 0x400
	v_mov_b32_e32 v13, 0
	v_lshlrev_b32_e32 v16, 2, v5
	v_lshl_add_u32 v17, v7, 5, v0
	s_mov_b64 s[6:7], 0
	v_mov_b32_e32 v0, v13
	v_mov_b32_e32 v1, v13
	;; [unrolled: 1-line block ×4, first 2 shown]
	s_branch .LBB437_6
.LBB437_5:                              ;   in Loop: Header=BB437_6 Depth=1
	s_or_b64 exec, exec, s[10:11]
	s_waitcnt vmcnt(0) lgkmcnt(0)
	ds_write_b32 v15, v18
	s_waitcnt lgkmcnt(0)
	s_barrier
	ds_read_b128 v[18:21], v17
	ds_read_b128 v[22:25], v17 offset:16
	ds_read2_b32 v[34:35], v16 offset1:16
	ds_read2_b32 v[36:37], v16 offset0:32 offset1:48
	ds_read2_b32 v[38:39], v16 offset0:64 offset1:80
	;; [unrolled: 1-line block ×4, first 2 shown]
	ds_read_b128 v[26:29], v17 offset:512
	ds_read_b128 v[30:33], v17 offset:528
	ds_read2_b32 v[44:45], v16 offset0:160 offset1:176
	ds_read2_b32 v[46:47], v16 offset0:192 offset1:208
	;; [unrolled: 1-line block ×3, first 2 shown]
	s_waitcnt lgkmcnt(9)
	v_pk_fma_f32 v[2:3], v[34:35], v[18:19], v[2:3] op_sel_hi:[1,0,1]
	v_mov_b32_e32 v12, v21
	s_waitcnt lgkmcnt(8)
	v_pk_fma_f32 v[2:3], v[36:37], v[18:19], v[2:3] op_sel:[0,1,0]
	s_waitcnt lgkmcnt(4)
	v_pk_fma_f32 v[0:1], v[34:35], v[26:27], v[0:1] op_sel_hi:[1,0,1]
	v_pk_fma_f32 v[2:3], v[38:39], v[20:21], v[2:3] op_sel_hi:[1,0,1]
	v_pk_fma_f32 v[0:1], v[36:37], v[26:27], v[0:1] op_sel:[0,1,0]
	v_pk_fma_f32 v[2:3], v[40:41], v[12:13], v[2:3] op_sel_hi:[1,0,1]
	v_mov_b32_e32 v12, v25
	v_pk_fma_f32 v[2:3], v[42:43], v[22:23], v[2:3] op_sel_hi:[1,0,1]
	v_pk_fma_f32 v[0:1], v[38:39], v[28:29], v[0:1] op_sel_hi:[1,0,1]
	s_waitcnt lgkmcnt(2)
	v_pk_fma_f32 v[2:3], v[44:45], v[22:23], v[2:3] op_sel:[0,1,0]
	s_add_u32 s6, s6, 8
	s_waitcnt lgkmcnt(1)
	v_pk_fma_f32 v[2:3], v[46:47], v[24:25], v[2:3] op_sel_hi:[1,0,1]
	s_addc_u32 s7, s7, 0
	s_waitcnt lgkmcnt(0)
	v_pk_fma_f32 v[2:3], v[48:49], v[12:13], v[2:3] op_sel_hi:[1,0,1]
	v_mov_b32_e32 v12, v29
	v_pk_fma_f32 v[0:1], v[40:41], v[12:13], v[0:1] op_sel_hi:[1,0,1]
	v_mov_b64_e32 v[18:19], s[6:7]
	v_pk_fma_f32 v[0:1], v[42:43], v[30:31], v[0:1] op_sel_hi:[1,0,1]
	v_mov_b32_e32 v12, v33
	v_pk_fma_f32 v[0:1], v[44:45], v[30:31], v[0:1] op_sel:[0,1,0]
	v_cmp_gt_i64_e32 vcc, s[8:9], v[18:19]
	v_pk_fma_f32 v[0:1], v[46:47], v[32:33], v[0:1] op_sel_hi:[1,0,1]
	s_nop 0
	v_pk_fma_f32 v[0:1], v[48:49], v[12:13], v[0:1] op_sel_hi:[1,0,1]
	s_barrier
	s_cbranch_vccz .LBB437_12
.LBB437_6:                              ; =>This Inner Loop Header: Depth=1
	v_mov_b32_e32 v18, 0
	s_and_saveexec_b64 s[10:11], s[0:1]
	s_cbranch_execz .LBB437_10
; %bb.7:                                ;   in Loop: Header=BB437_6 Depth=1
	v_add_u32_e32 v12, s6, v6
	v_cmp_gt_u64_e32 vcc, s[8:9], v[12:13]
	v_mov_b32_e32 v18, 0
	s_and_saveexec_b64 s[12:13], vcc
	s_cbranch_execz .LBB437_9
; %bb.8:                                ;   in Loop: Header=BB437_6 Depth=1
	v_lshl_add_u64 v[18:19], v[12:13], 2, v[8:9]
	flat_load_dword v18, v[18:19]
.LBB437_9:                              ;   in Loop: Header=BB437_6 Depth=1
	s_or_b64 exec, exec, s[12:13]
.LBB437_10:                             ;   in Loop: Header=BB437_6 Depth=1
	s_or_b64 exec, exec, s[10:11]
	v_add_u32_e32 v12, s6, v4
	v_cmp_gt_u64_e32 vcc, s[8:9], v[12:13]
	s_waitcnt vmcnt(0) lgkmcnt(0)
	ds_write_b32 v14, v18
	s_and_b64 s[12:13], vcc, s[2:3]
	v_mov_b32_e32 v18, 0
	s_and_saveexec_b64 s[10:11], s[12:13]
	s_cbranch_execz .LBB437_5
; %bb.11:                               ;   in Loop: Header=BB437_6 Depth=1
	v_mad_u64_u32 v[18:19], s[12:13], s20, v12, 0
	v_mov_b32_e32 v20, v19
	v_mad_u64_u32 v[20:21], s[12:13], s21, v12, v[20:21]
	v_mov_b32_e32 v19, v20
	v_lshl_add_u64 v[18:19], v[18:19], 2, v[10:11]
	flat_load_dword v18, v[18:19]
	s_branch .LBB437_5
.LBB437_12:
	s_lshl_b64 s[0:1], s[30:31], 2
	v_add_u32_e32 v10, s26, v7
	s_waitcnt lgkmcnt(0)
	s_add_u32 s4, s4, s0
	v_add_u32_e32 v4, s25, v5
	v_ashrrev_i32_e32 v5, 31, v10
	s_addc_u32 s5, s5, s1
	v_mul_lo_u32 v5, s28, v5
	v_mul_lo_u32 v8, s29, v10
	v_mad_u64_u32 v[6:7], s[0:1], s28, v10, 0
	v_add3_u32 v7, v7, v5, v8
	v_cmp_neq_f32_e64 s[0:1], s33, 0
	v_cmp_gt_i32_e64 s[2:3], s24, v10
	v_lshl_add_u64 v[8:9], v[6:7], 2, s[4:5]
	v_cmp_le_i32_e32 vcc, v4, v10
	v_cndmask_b32_e64 v6, 0, 1, s[0:1]
	s_and_b64 s[8:9], s[2:3], vcc
	v_ashrrev_i32_e32 v5, 31, v4
	v_cmp_ne_u32_e64 s[0:1], 1, v6
	s_and_saveexec_b64 s[6:7], s[8:9]
	s_cbranch_execz .LBB437_16
; %bb.13:
	v_mul_f32_e32 v2, s34, v2
	s_and_b64 vcc, exec, s[0:1]
	v_lshl_add_u64 v[6:7], v[4:5], 2, v[8:9]
	s_cbranch_vccnz .LBB437_15
; %bb.14:
	flat_load_dword v11, v[6:7]
	s_waitcnt vmcnt(0) lgkmcnt(0)
	v_fmac_f32_e32 v2, s33, v11
.LBB437_15:
	flat_store_dword v[6:7], v2
.LBB437_16:
	s_or_b64 exec, exec, s[6:7]
	v_add_u32_e32 v6, 16, v4
	v_cmp_le_i32_e32 vcc, v6, v10
	s_and_b64 s[6:7], s[2:3], vcc
	v_ashrrev_i32_e32 v7, 31, v6
	s_and_saveexec_b64 s[2:3], s[6:7]
	s_cbranch_execz .LBB437_20
; %bb.17:
	v_mul_f32_e32 v11, s34, v3
	s_and_b64 vcc, exec, s[0:1]
	v_lshl_add_u64 v[2:3], v[6:7], 2, v[8:9]
	s_cbranch_vccnz .LBB437_19
; %bb.18:
	flat_load_dword v8, v[2:3]
	s_waitcnt vmcnt(0) lgkmcnt(0)
	v_fmac_f32_e32 v11, s33, v8
.LBB437_19:
	flat_store_dword v[2:3], v11
.LBB437_20:
	s_or_b64 exec, exec, s[2:3]
	v_add_u32_e32 v8, 16, v10
	v_ashrrev_i32_e32 v2, 31, v8
	v_mul_lo_u32 v9, s28, v2
	v_mul_lo_u32 v10, s29, v8
	v_mad_u64_u32 v[2:3], s[6:7], s28, v8, 0
	v_cmp_gt_i32_e64 s[2:3], s24, v8
	v_add3_u32 v3, v3, v9, v10
	v_cmp_le_i32_e32 vcc, v4, v8
	v_lshl_add_u64 v[2:3], v[2:3], 2, s[4:5]
	s_and_b64 s[6:7], s[2:3], vcc
	s_and_saveexec_b64 s[4:5], s[6:7]
	s_cbranch_execz .LBB437_24
; %bb.21:
	v_mul_f32_e32 v0, s34, v0
	s_and_b64 vcc, exec, s[0:1]
	v_lshl_add_u64 v[4:5], v[4:5], 2, v[2:3]
	s_cbranch_vccnz .LBB437_23
; %bb.22:
	flat_load_dword v9, v[4:5]
	s_waitcnt vmcnt(0) lgkmcnt(0)
	v_fmac_f32_e32 v0, s33, v9
.LBB437_23:
	flat_store_dword v[4:5], v0
.LBB437_24:
	s_or_b64 exec, exec, s[4:5]
	v_cmp_le_i32_e32 vcc, v6, v8
	s_and_b64 s[2:3], s[2:3], vcc
	s_and_saveexec_b64 s[4:5], s[2:3]
	s_cbranch_execz .LBB437_28
; %bb.25:
	v_mul_f32_e32 v4, s34, v1
	s_and_b64 vcc, exec, s[0:1]
	v_lshl_add_u64 v[0:1], v[6:7], 2, v[2:3]
	s_cbranch_vccnz .LBB437_27
; %bb.26:
	flat_load_dword v2, v[0:1]
	s_waitcnt vmcnt(0) lgkmcnt(0)
	v_fmac_f32_e32 v4, s33, v2
.LBB437_27:
	flat_store_dword v[0:1], v4
.LBB437_28:
	s_endpgm
	.section	.rodata,"a",@progbits
	.p2align	6, 0x0
	.amdhsa_kernel _ZL29rocblas_internal_gemmt_kernelIlLi16ELi32ELi8ELc84ELc67ELc85ELb0ELb0EfPKfPKS1_PKPfEviT_T9_T10_S7_lS9_S7_lS8_T11_S7_li
		.amdhsa_group_segment_fixed_size 2048
		.amdhsa_private_segment_fixed_size 0
		.amdhsa_kernarg_size 108
		.amdhsa_user_sgpr_count 2
		.amdhsa_user_sgpr_dispatch_ptr 0
		.amdhsa_user_sgpr_queue_ptr 0
		.amdhsa_user_sgpr_kernarg_segment_ptr 1
		.amdhsa_user_sgpr_dispatch_id 0
		.amdhsa_user_sgpr_kernarg_preload_length 0
		.amdhsa_user_sgpr_kernarg_preload_offset 0
		.amdhsa_user_sgpr_private_segment_size 0
		.amdhsa_uses_dynamic_stack 0
		.amdhsa_enable_private_segment 0
		.amdhsa_system_sgpr_workgroup_id_x 1
		.amdhsa_system_sgpr_workgroup_id_y 1
		.amdhsa_system_sgpr_workgroup_id_z 1
		.amdhsa_system_sgpr_workgroup_info 0
		.amdhsa_system_vgpr_workitem_id 1
		.amdhsa_next_free_vgpr 50
		.amdhsa_next_free_sgpr 35
		.amdhsa_accum_offset 52
		.amdhsa_reserve_vcc 1
		.amdhsa_float_round_mode_32 0
		.amdhsa_float_round_mode_16_64 0
		.amdhsa_float_denorm_mode_32 3
		.amdhsa_float_denorm_mode_16_64 3
		.amdhsa_dx10_clamp 1
		.amdhsa_ieee_mode 1
		.amdhsa_fp16_overflow 0
		.amdhsa_tg_split 0
		.amdhsa_exception_fp_ieee_invalid_op 0
		.amdhsa_exception_fp_denorm_src 0
		.amdhsa_exception_fp_ieee_div_zero 0
		.amdhsa_exception_fp_ieee_overflow 0
		.amdhsa_exception_fp_ieee_underflow 0
		.amdhsa_exception_fp_ieee_inexact 0
		.amdhsa_exception_int_div_zero 0
	.end_amdhsa_kernel
	.section	.text._ZL29rocblas_internal_gemmt_kernelIlLi16ELi32ELi8ELc84ELc67ELc85ELb0ELb0EfPKfPKS1_PKPfEviT_T9_T10_S7_lS9_S7_lS8_T11_S7_li,"axG",@progbits,_ZL29rocblas_internal_gemmt_kernelIlLi16ELi32ELi8ELc84ELc67ELc85ELb0ELb0EfPKfPKS1_PKPfEviT_T9_T10_S7_lS9_S7_lS8_T11_S7_li,comdat
.Lfunc_end437:
	.size	_ZL29rocblas_internal_gemmt_kernelIlLi16ELi32ELi8ELc84ELc67ELc85ELb0ELb0EfPKfPKS1_PKPfEviT_T9_T10_S7_lS9_S7_lS8_T11_S7_li, .Lfunc_end437-_ZL29rocblas_internal_gemmt_kernelIlLi16ELi32ELi8ELc84ELc67ELc85ELb0ELb0EfPKfPKS1_PKPfEviT_T9_T10_S7_lS9_S7_lS8_T11_S7_li
                                        ; -- End function
	.set _ZL29rocblas_internal_gemmt_kernelIlLi16ELi32ELi8ELc84ELc67ELc85ELb0ELb0EfPKfPKS1_PKPfEviT_T9_T10_S7_lS9_S7_lS8_T11_S7_li.num_vgpr, 50
	.set _ZL29rocblas_internal_gemmt_kernelIlLi16ELi32ELi8ELc84ELc67ELc85ELb0ELb0EfPKfPKS1_PKPfEviT_T9_T10_S7_lS9_S7_lS8_T11_S7_li.num_agpr, 0
	.set _ZL29rocblas_internal_gemmt_kernelIlLi16ELi32ELi8ELc84ELc67ELc85ELb0ELb0EfPKfPKS1_PKPfEviT_T9_T10_S7_lS9_S7_lS8_T11_S7_li.numbered_sgpr, 35
	.set _ZL29rocblas_internal_gemmt_kernelIlLi16ELi32ELi8ELc84ELc67ELc85ELb0ELb0EfPKfPKS1_PKPfEviT_T9_T10_S7_lS9_S7_lS8_T11_S7_li.num_named_barrier, 0
	.set _ZL29rocblas_internal_gemmt_kernelIlLi16ELi32ELi8ELc84ELc67ELc85ELb0ELb0EfPKfPKS1_PKPfEviT_T9_T10_S7_lS9_S7_lS8_T11_S7_li.private_seg_size, 0
	.set _ZL29rocblas_internal_gemmt_kernelIlLi16ELi32ELi8ELc84ELc67ELc85ELb0ELb0EfPKfPKS1_PKPfEviT_T9_T10_S7_lS9_S7_lS8_T11_S7_li.uses_vcc, 1
	.set _ZL29rocblas_internal_gemmt_kernelIlLi16ELi32ELi8ELc84ELc67ELc85ELb0ELb0EfPKfPKS1_PKPfEviT_T9_T10_S7_lS9_S7_lS8_T11_S7_li.uses_flat_scratch, 0
	.set _ZL29rocblas_internal_gemmt_kernelIlLi16ELi32ELi8ELc84ELc67ELc85ELb0ELb0EfPKfPKS1_PKPfEviT_T9_T10_S7_lS9_S7_lS8_T11_S7_li.has_dyn_sized_stack, 0
	.set _ZL29rocblas_internal_gemmt_kernelIlLi16ELi32ELi8ELc84ELc67ELc85ELb0ELb0EfPKfPKS1_PKPfEviT_T9_T10_S7_lS9_S7_lS8_T11_S7_li.has_recursion, 0
	.set _ZL29rocblas_internal_gemmt_kernelIlLi16ELi32ELi8ELc84ELc67ELc85ELb0ELb0EfPKfPKS1_PKPfEviT_T9_T10_S7_lS9_S7_lS8_T11_S7_li.has_indirect_call, 0
	.section	.AMDGPU.csdata,"",@progbits
; Kernel info:
; codeLenInByte = 1304
; TotalNumSgprs: 41
; NumVgprs: 50
; NumAgprs: 0
; TotalNumVgprs: 50
; ScratchSize: 0
; MemoryBound: 0
; FloatMode: 240
; IeeeMode: 1
; LDSByteSize: 2048 bytes/workgroup (compile time only)
; SGPRBlocks: 5
; VGPRBlocks: 6
; NumSGPRsForWavesPerEU: 41
; NumVGPRsForWavesPerEU: 50
; AccumOffset: 52
; Occupancy: 8
; WaveLimiterHint : 1
; COMPUTE_PGM_RSRC2:SCRATCH_EN: 0
; COMPUTE_PGM_RSRC2:USER_SGPR: 2
; COMPUTE_PGM_RSRC2:TRAP_HANDLER: 0
; COMPUTE_PGM_RSRC2:TGID_X_EN: 1
; COMPUTE_PGM_RSRC2:TGID_Y_EN: 1
; COMPUTE_PGM_RSRC2:TGID_Z_EN: 1
; COMPUTE_PGM_RSRC2:TIDIG_COMP_CNT: 1
; COMPUTE_PGM_RSRC3_GFX90A:ACCUM_OFFSET: 12
; COMPUTE_PGM_RSRC3_GFX90A:TG_SPLIT: 0
	.section	.text._ZL29rocblas_internal_gemmt_kernelIlLi16ELi32ELi8ELc67ELc78ELc85ELb0ELb0EfPKfPKS1_PKPfEviT_T9_T10_S7_lS9_S7_lS8_T11_S7_li,"axG",@progbits,_ZL29rocblas_internal_gemmt_kernelIlLi16ELi32ELi8ELc67ELc78ELc85ELb0ELb0EfPKfPKS1_PKPfEviT_T9_T10_S7_lS9_S7_lS8_T11_S7_li,comdat
	.globl	_ZL29rocblas_internal_gemmt_kernelIlLi16ELi32ELi8ELc67ELc78ELc85ELb0ELb0EfPKfPKS1_PKPfEviT_T9_T10_S7_lS9_S7_lS8_T11_S7_li ; -- Begin function _ZL29rocblas_internal_gemmt_kernelIlLi16ELi32ELi8ELc67ELc78ELc85ELb0ELb0EfPKfPKS1_PKPfEviT_T9_T10_S7_lS9_S7_lS8_T11_S7_li
	.p2align	8
	.type	_ZL29rocblas_internal_gemmt_kernelIlLi16ELi32ELi8ELc67ELc78ELc85ELb0ELb0EfPKfPKS1_PKPfEviT_T9_T10_S7_lS9_S7_lS8_T11_S7_li,@function
_ZL29rocblas_internal_gemmt_kernelIlLi16ELi32ELi8ELc67ELc78ELc85ELb0ELb0EfPKfPKS1_PKPfEviT_T9_T10_S7_lS9_S7_lS8_T11_S7_li: ; @_ZL29rocblas_internal_gemmt_kernelIlLi16ELi32ELi8ELc67ELc78ELc85ELb0ELb0EfPKfPKS1_PKPfEviT_T9_T10_S7_lS9_S7_lS8_T11_S7_li
; %bb.0:
	s_load_dwordx8 s[24:31], s[0:1], 0x48
	s_load_dwordx16 s[8:23], s[0:1], 0x8
	s_waitcnt lgkmcnt(0)
	s_load_dword s33, s[24:25], 0x0
	s_load_dword s34, s[10:11], 0x0
	s_waitcnt lgkmcnt(0)
	v_cmp_neq_f32_e64 s[6:7], s33, 1.0
	s_and_b64 vcc, exec, s[6:7]
	s_cbranch_vccnz .LBB438_2
; %bb.1:
	s_cmp_lg_u64 s[8:9], 0
	s_cselect_b64 s[6:7], -1, 0
	v_cmp_neq_f32_e64 s[10:11], s34, 0
	s_and_b64 s[6:7], s[6:7], s[10:11]
.LBB438_2:
	s_andn2_b64 vcc, exec, s[6:7]
	s_cbranch_vccnz .LBB438_28
; %bb.3:
	s_mov_b32 s5, 0
	s_load_dword s24, s[0:1], 0x0
	s_lshl_b64 s[0:1], s[4:5], 3
	s_add_u32 s4, s26, s0
	s_addc_u32 s5, s27, s1
	s_load_dwordx2 s[4:5], s[4:5], 0x0
	s_lshl_b32 s25, s2, 5
	s_lshl_b32 s26, s3, 5
	v_cmp_eq_f32_e64 s[2:3], s34, 0
	v_cmp_lt_i64_e64 s[6:7], s[8:9], 1
	v_mov_b32_e32 v3, 0
	s_or_b64 s[2:3], s[2:3], s[6:7]
	v_and_b32_e32 v5, 0x3ff, v0
	v_bfe_u32 v7, v0, 10, 10
	s_and_b64 vcc, exec, s[2:3]
	v_mov_b32_e32 v2, v3
	v_mov_b32_e32 v1, v3
	;; [unrolled: 1-line block ×3, first 2 shown]
	s_cbranch_vccnz .LBB438_12
; %bb.4:
	s_add_u32 s2, s18, s0
	s_addc_u32 s3, s19, s1
	s_load_dwordx2 s[2:3], s[2:3], 0x0
	s_lshl_b64 s[6:7], s[22:23], 2
	v_lshl_add_u32 v0, v7, 4, v5
	v_lshrrev_b32_e32 v6, 5, v0
	v_lshrrev_b32_e32 v2, 3, v0
	s_waitcnt lgkmcnt(0)
	s_add_u32 s6, s2, s6
	s_addc_u32 s7, s3, s7
	s_add_u32 s0, s12, s0
	s_addc_u32 s1, s13, s1
	s_load_dwordx2 s[0:1], s[0:1], 0x0
	v_and_b32_e32 v0, 31, v0
	s_lshl_b64 s[2:3], s[16:17], 2
	v_or_b32_e32 v1, s25, v0
	v_lshlrev_b32_e32 v0, 2, v0
	s_waitcnt lgkmcnt(0)
	s_add_u32 s2, s0, s2
	s_addc_u32 s3, s1, s3
	v_cmp_gt_i32_e64 s[0:1], s24, v1
	v_lshl_or_b32 v14, v6, 7, v0
	s_ashr_i32 s12, s25, 31
	v_mul_lo_u32 v8, s15, v1
	v_mad_u64_u32 v[0:1], s[10:11], s14, v1, 0
	s_mul_i32 s10, s14, s12
	v_and_b32_e32 v4, 7, v5
	v_add3_u32 v1, v1, s10, v8
	v_lshl_add_u64 v[8:9], v[0:1], 2, s[2:3]
	v_lshlrev_b32_e32 v0, 2, v4
	v_add_u32_e32 v3, s26, v2
	v_lshl_or_b32 v0, v2, 5, v0
	v_add_u32_e32 v15, 0x400, v0
	v_ashrrev_i32_e32 v0, 31, v3
	v_mul_lo_u32 v2, s20, v0
	v_mul_lo_u32 v10, s21, v3
	v_mad_u64_u32 v[0:1], s[10:11], s20, v3, 0
	v_add3_u32 v1, v1, v2, v10
	v_lshl_add_u64 v[10:11], v[0:1], 2, s[6:7]
	v_mov_b32_e32 v0, 0x400
	v_mov_b32_e32 v13, 0
	v_cmp_gt_i32_e64 s[2:3], s24, v3
	v_lshlrev_b32_e32 v16, 2, v5
	v_lshl_add_u32 v17, v7, 5, v0
	s_mov_b64 s[6:7], 0
	v_mov_b32_e32 v0, v13
	v_mov_b32_e32 v1, v13
	;; [unrolled: 1-line block ×4, first 2 shown]
	s_branch .LBB438_6
.LBB438_5:                              ;   in Loop: Header=BB438_6 Depth=1
	s_or_b64 exec, exec, s[10:11]
	s_waitcnt vmcnt(0) lgkmcnt(0)
	ds_write_b32 v15, v18
	s_waitcnt lgkmcnt(0)
	s_barrier
	ds_read_b128 v[18:21], v17
	ds_read_b128 v[22:25], v17 offset:16
	ds_read2_b32 v[34:35], v16 offset1:16
	ds_read2_b32 v[36:37], v16 offset0:32 offset1:48
	ds_read2_b32 v[38:39], v16 offset0:64 offset1:80
	;; [unrolled: 1-line block ×4, first 2 shown]
	ds_read_b128 v[26:29], v17 offset:512
	ds_read_b128 v[30:33], v17 offset:528
	ds_read2_b32 v[44:45], v16 offset0:160 offset1:176
	ds_read2_b32 v[46:47], v16 offset0:192 offset1:208
	;; [unrolled: 1-line block ×3, first 2 shown]
	s_waitcnt lgkmcnt(9)
	v_pk_fma_f32 v[2:3], v[34:35], v[18:19], v[2:3] op_sel_hi:[1,0,1]
	v_mov_b32_e32 v12, v21
	s_waitcnt lgkmcnt(8)
	v_pk_fma_f32 v[2:3], v[36:37], v[18:19], v[2:3] op_sel:[0,1,0]
	s_waitcnt lgkmcnt(4)
	v_pk_fma_f32 v[0:1], v[34:35], v[26:27], v[0:1] op_sel_hi:[1,0,1]
	v_pk_fma_f32 v[2:3], v[38:39], v[20:21], v[2:3] op_sel_hi:[1,0,1]
	v_pk_fma_f32 v[0:1], v[36:37], v[26:27], v[0:1] op_sel:[0,1,0]
	v_pk_fma_f32 v[2:3], v[40:41], v[12:13], v[2:3] op_sel_hi:[1,0,1]
	v_mov_b32_e32 v12, v25
	v_pk_fma_f32 v[2:3], v[42:43], v[22:23], v[2:3] op_sel_hi:[1,0,1]
	v_pk_fma_f32 v[0:1], v[38:39], v[28:29], v[0:1] op_sel_hi:[1,0,1]
	s_waitcnt lgkmcnt(2)
	v_pk_fma_f32 v[2:3], v[44:45], v[22:23], v[2:3] op_sel:[0,1,0]
	s_add_u32 s6, s6, 8
	s_waitcnt lgkmcnt(1)
	v_pk_fma_f32 v[2:3], v[46:47], v[24:25], v[2:3] op_sel_hi:[1,0,1]
	s_addc_u32 s7, s7, 0
	s_waitcnt lgkmcnt(0)
	v_pk_fma_f32 v[2:3], v[48:49], v[12:13], v[2:3] op_sel_hi:[1,0,1]
	v_mov_b32_e32 v12, v29
	v_pk_fma_f32 v[0:1], v[40:41], v[12:13], v[0:1] op_sel_hi:[1,0,1]
	v_mov_b64_e32 v[18:19], s[6:7]
	v_pk_fma_f32 v[0:1], v[42:43], v[30:31], v[0:1] op_sel_hi:[1,0,1]
	v_mov_b32_e32 v12, v33
	v_pk_fma_f32 v[0:1], v[44:45], v[30:31], v[0:1] op_sel:[0,1,0]
	v_cmp_gt_i64_e32 vcc, s[8:9], v[18:19]
	v_pk_fma_f32 v[0:1], v[46:47], v[32:33], v[0:1] op_sel_hi:[1,0,1]
	s_nop 0
	v_pk_fma_f32 v[0:1], v[48:49], v[12:13], v[0:1] op_sel_hi:[1,0,1]
	s_barrier
	s_cbranch_vccz .LBB438_12
.LBB438_6:                              ; =>This Inner Loop Header: Depth=1
	v_mov_b32_e32 v18, 0
	s_and_saveexec_b64 s[10:11], s[0:1]
	s_cbranch_execz .LBB438_10
; %bb.7:                                ;   in Loop: Header=BB438_6 Depth=1
	v_add_u32_e32 v12, s6, v6
	v_cmp_gt_u64_e32 vcc, s[8:9], v[12:13]
	v_mov_b32_e32 v18, 0
	s_and_saveexec_b64 s[12:13], vcc
	s_cbranch_execz .LBB438_9
; %bb.8:                                ;   in Loop: Header=BB438_6 Depth=1
	v_lshl_add_u64 v[18:19], v[12:13], 2, v[8:9]
	flat_load_dword v18, v[18:19]
.LBB438_9:                              ;   in Loop: Header=BB438_6 Depth=1
	s_or_b64 exec, exec, s[12:13]
.LBB438_10:                             ;   in Loop: Header=BB438_6 Depth=1
	s_or_b64 exec, exec, s[10:11]
	v_add_u32_e32 v12, s6, v4
	v_cmp_gt_u64_e32 vcc, s[8:9], v[12:13]
	s_waitcnt vmcnt(0) lgkmcnt(0)
	ds_write_b32 v14, v18
	s_and_b64 s[12:13], vcc, s[2:3]
	v_mov_b32_e32 v18, 0
	s_and_saveexec_b64 s[10:11], s[12:13]
	s_cbranch_execz .LBB438_5
; %bb.11:                               ;   in Loop: Header=BB438_6 Depth=1
	v_lshl_add_u64 v[18:19], v[12:13], 2, v[10:11]
	flat_load_dword v18, v[18:19]
	s_branch .LBB438_5
.LBB438_12:
	s_lshl_b64 s[0:1], s[30:31], 2
	v_add_u32_e32 v10, s26, v7
	s_waitcnt lgkmcnt(0)
	s_add_u32 s4, s4, s0
	v_add_u32_e32 v4, s25, v5
	v_ashrrev_i32_e32 v5, 31, v10
	s_addc_u32 s5, s5, s1
	v_mul_lo_u32 v5, s28, v5
	v_mul_lo_u32 v8, s29, v10
	v_mad_u64_u32 v[6:7], s[0:1], s28, v10, 0
	v_add3_u32 v7, v7, v5, v8
	v_cmp_neq_f32_e64 s[0:1], s33, 0
	v_cmp_gt_i32_e64 s[2:3], s24, v10
	v_lshl_add_u64 v[8:9], v[6:7], 2, s[4:5]
	v_cmp_le_i32_e32 vcc, v4, v10
	v_cndmask_b32_e64 v6, 0, 1, s[0:1]
	s_and_b64 s[8:9], s[2:3], vcc
	v_ashrrev_i32_e32 v5, 31, v4
	v_cmp_ne_u32_e64 s[0:1], 1, v6
	s_and_saveexec_b64 s[6:7], s[8:9]
	s_cbranch_execz .LBB438_16
; %bb.13:
	v_mul_f32_e32 v2, s34, v2
	s_and_b64 vcc, exec, s[0:1]
	v_lshl_add_u64 v[6:7], v[4:5], 2, v[8:9]
	s_cbranch_vccnz .LBB438_15
; %bb.14:
	flat_load_dword v11, v[6:7]
	s_waitcnt vmcnt(0) lgkmcnt(0)
	v_fmac_f32_e32 v2, s33, v11
.LBB438_15:
	flat_store_dword v[6:7], v2
.LBB438_16:
	s_or_b64 exec, exec, s[6:7]
	v_add_u32_e32 v6, 16, v4
	v_cmp_le_i32_e32 vcc, v6, v10
	s_and_b64 s[6:7], s[2:3], vcc
	v_ashrrev_i32_e32 v7, 31, v6
	s_and_saveexec_b64 s[2:3], s[6:7]
	s_cbranch_execz .LBB438_20
; %bb.17:
	v_mul_f32_e32 v11, s34, v3
	s_and_b64 vcc, exec, s[0:1]
	v_lshl_add_u64 v[2:3], v[6:7], 2, v[8:9]
	s_cbranch_vccnz .LBB438_19
; %bb.18:
	flat_load_dword v8, v[2:3]
	s_waitcnt vmcnt(0) lgkmcnt(0)
	v_fmac_f32_e32 v11, s33, v8
.LBB438_19:
	flat_store_dword v[2:3], v11
.LBB438_20:
	s_or_b64 exec, exec, s[2:3]
	v_add_u32_e32 v8, 16, v10
	v_ashrrev_i32_e32 v2, 31, v8
	v_mul_lo_u32 v9, s28, v2
	v_mul_lo_u32 v10, s29, v8
	v_mad_u64_u32 v[2:3], s[6:7], s28, v8, 0
	v_cmp_gt_i32_e64 s[2:3], s24, v8
	v_add3_u32 v3, v3, v9, v10
	v_cmp_le_i32_e32 vcc, v4, v8
	v_lshl_add_u64 v[2:3], v[2:3], 2, s[4:5]
	s_and_b64 s[6:7], s[2:3], vcc
	s_and_saveexec_b64 s[4:5], s[6:7]
	s_cbranch_execz .LBB438_24
; %bb.21:
	v_mul_f32_e32 v0, s34, v0
	s_and_b64 vcc, exec, s[0:1]
	v_lshl_add_u64 v[4:5], v[4:5], 2, v[2:3]
	s_cbranch_vccnz .LBB438_23
; %bb.22:
	flat_load_dword v9, v[4:5]
	s_waitcnt vmcnt(0) lgkmcnt(0)
	v_fmac_f32_e32 v0, s33, v9
.LBB438_23:
	flat_store_dword v[4:5], v0
.LBB438_24:
	s_or_b64 exec, exec, s[4:5]
	v_cmp_le_i32_e32 vcc, v6, v8
	s_and_b64 s[2:3], s[2:3], vcc
	s_and_saveexec_b64 s[4:5], s[2:3]
	s_cbranch_execz .LBB438_28
; %bb.25:
	v_mul_f32_e32 v4, s34, v1
	s_and_b64 vcc, exec, s[0:1]
	v_lshl_add_u64 v[0:1], v[6:7], 2, v[2:3]
	s_cbranch_vccnz .LBB438_27
; %bb.26:
	flat_load_dword v2, v[0:1]
	s_waitcnt vmcnt(0) lgkmcnt(0)
	v_fmac_f32_e32 v4, s33, v2
.LBB438_27:
	flat_store_dword v[0:1], v4
.LBB438_28:
	s_endpgm
	.section	.rodata,"a",@progbits
	.p2align	6, 0x0
	.amdhsa_kernel _ZL29rocblas_internal_gemmt_kernelIlLi16ELi32ELi8ELc67ELc78ELc85ELb0ELb0EfPKfPKS1_PKPfEviT_T9_T10_S7_lS9_S7_lS8_T11_S7_li
		.amdhsa_group_segment_fixed_size 2048
		.amdhsa_private_segment_fixed_size 0
		.amdhsa_kernarg_size 108
		.amdhsa_user_sgpr_count 2
		.amdhsa_user_sgpr_dispatch_ptr 0
		.amdhsa_user_sgpr_queue_ptr 0
		.amdhsa_user_sgpr_kernarg_segment_ptr 1
		.amdhsa_user_sgpr_dispatch_id 0
		.amdhsa_user_sgpr_kernarg_preload_length 0
		.amdhsa_user_sgpr_kernarg_preload_offset 0
		.amdhsa_user_sgpr_private_segment_size 0
		.amdhsa_uses_dynamic_stack 0
		.amdhsa_enable_private_segment 0
		.amdhsa_system_sgpr_workgroup_id_x 1
		.amdhsa_system_sgpr_workgroup_id_y 1
		.amdhsa_system_sgpr_workgroup_id_z 1
		.amdhsa_system_sgpr_workgroup_info 0
		.amdhsa_system_vgpr_workitem_id 1
		.amdhsa_next_free_vgpr 50
		.amdhsa_next_free_sgpr 35
		.amdhsa_accum_offset 52
		.amdhsa_reserve_vcc 1
		.amdhsa_float_round_mode_32 0
		.amdhsa_float_round_mode_16_64 0
		.amdhsa_float_denorm_mode_32 3
		.amdhsa_float_denorm_mode_16_64 3
		.amdhsa_dx10_clamp 1
		.amdhsa_ieee_mode 1
		.amdhsa_fp16_overflow 0
		.amdhsa_tg_split 0
		.amdhsa_exception_fp_ieee_invalid_op 0
		.amdhsa_exception_fp_denorm_src 0
		.amdhsa_exception_fp_ieee_div_zero 0
		.amdhsa_exception_fp_ieee_overflow 0
		.amdhsa_exception_fp_ieee_underflow 0
		.amdhsa_exception_fp_ieee_inexact 0
		.amdhsa_exception_int_div_zero 0
	.end_amdhsa_kernel
	.section	.text._ZL29rocblas_internal_gemmt_kernelIlLi16ELi32ELi8ELc67ELc78ELc85ELb0ELb0EfPKfPKS1_PKPfEviT_T9_T10_S7_lS9_S7_lS8_T11_S7_li,"axG",@progbits,_ZL29rocblas_internal_gemmt_kernelIlLi16ELi32ELi8ELc67ELc78ELc85ELb0ELb0EfPKfPKS1_PKPfEviT_T9_T10_S7_lS9_S7_lS8_T11_S7_li,comdat
.Lfunc_end438:
	.size	_ZL29rocblas_internal_gemmt_kernelIlLi16ELi32ELi8ELc67ELc78ELc85ELb0ELb0EfPKfPKS1_PKPfEviT_T9_T10_S7_lS9_S7_lS8_T11_S7_li, .Lfunc_end438-_ZL29rocblas_internal_gemmt_kernelIlLi16ELi32ELi8ELc67ELc78ELc85ELb0ELb0EfPKfPKS1_PKPfEviT_T9_T10_S7_lS9_S7_lS8_T11_S7_li
                                        ; -- End function
	.set _ZL29rocblas_internal_gemmt_kernelIlLi16ELi32ELi8ELc67ELc78ELc85ELb0ELb0EfPKfPKS1_PKPfEviT_T9_T10_S7_lS9_S7_lS8_T11_S7_li.num_vgpr, 50
	.set _ZL29rocblas_internal_gemmt_kernelIlLi16ELi32ELi8ELc67ELc78ELc85ELb0ELb0EfPKfPKS1_PKPfEviT_T9_T10_S7_lS9_S7_lS8_T11_S7_li.num_agpr, 0
	.set _ZL29rocblas_internal_gemmt_kernelIlLi16ELi32ELi8ELc67ELc78ELc85ELb0ELb0EfPKfPKS1_PKPfEviT_T9_T10_S7_lS9_S7_lS8_T11_S7_li.numbered_sgpr, 35
	.set _ZL29rocblas_internal_gemmt_kernelIlLi16ELi32ELi8ELc67ELc78ELc85ELb0ELb0EfPKfPKS1_PKPfEviT_T9_T10_S7_lS9_S7_lS8_T11_S7_li.num_named_barrier, 0
	.set _ZL29rocblas_internal_gemmt_kernelIlLi16ELi32ELi8ELc67ELc78ELc85ELb0ELb0EfPKfPKS1_PKPfEviT_T9_T10_S7_lS9_S7_lS8_T11_S7_li.private_seg_size, 0
	.set _ZL29rocblas_internal_gemmt_kernelIlLi16ELi32ELi8ELc67ELc78ELc85ELb0ELb0EfPKfPKS1_PKPfEviT_T9_T10_S7_lS9_S7_lS8_T11_S7_li.uses_vcc, 1
	.set _ZL29rocblas_internal_gemmt_kernelIlLi16ELi32ELi8ELc67ELc78ELc85ELb0ELb0EfPKfPKS1_PKPfEviT_T9_T10_S7_lS9_S7_lS8_T11_S7_li.uses_flat_scratch, 0
	.set _ZL29rocblas_internal_gemmt_kernelIlLi16ELi32ELi8ELc67ELc78ELc85ELb0ELb0EfPKfPKS1_PKPfEviT_T9_T10_S7_lS9_S7_lS8_T11_S7_li.has_dyn_sized_stack, 0
	.set _ZL29rocblas_internal_gemmt_kernelIlLi16ELi32ELi8ELc67ELc78ELc85ELb0ELb0EfPKfPKS1_PKPfEviT_T9_T10_S7_lS9_S7_lS8_T11_S7_li.has_recursion, 0
	.set _ZL29rocblas_internal_gemmt_kernelIlLi16ELi32ELi8ELc67ELc78ELc85ELb0ELb0EfPKfPKS1_PKPfEviT_T9_T10_S7_lS9_S7_lS8_T11_S7_li.has_indirect_call, 0
	.section	.AMDGPU.csdata,"",@progbits
; Kernel info:
; codeLenInByte = 1312
; TotalNumSgprs: 41
; NumVgprs: 50
; NumAgprs: 0
; TotalNumVgprs: 50
; ScratchSize: 0
; MemoryBound: 0
; FloatMode: 240
; IeeeMode: 1
; LDSByteSize: 2048 bytes/workgroup (compile time only)
; SGPRBlocks: 5
; VGPRBlocks: 6
; NumSGPRsForWavesPerEU: 41
; NumVGPRsForWavesPerEU: 50
; AccumOffset: 52
; Occupancy: 8
; WaveLimiterHint : 1
; COMPUTE_PGM_RSRC2:SCRATCH_EN: 0
; COMPUTE_PGM_RSRC2:USER_SGPR: 2
; COMPUTE_PGM_RSRC2:TRAP_HANDLER: 0
; COMPUTE_PGM_RSRC2:TGID_X_EN: 1
; COMPUTE_PGM_RSRC2:TGID_Y_EN: 1
; COMPUTE_PGM_RSRC2:TGID_Z_EN: 1
; COMPUTE_PGM_RSRC2:TIDIG_COMP_CNT: 1
; COMPUTE_PGM_RSRC3_GFX90A:ACCUM_OFFSET: 12
; COMPUTE_PGM_RSRC3_GFX90A:TG_SPLIT: 0
	.section	.text._ZL29rocblas_internal_gemmt_kernelIlLi16ELi32ELi8ELc67ELc84ELc85ELb0ELb0EfPKfPKS1_PKPfEviT_T9_T10_S7_lS9_S7_lS8_T11_S7_li,"axG",@progbits,_ZL29rocblas_internal_gemmt_kernelIlLi16ELi32ELi8ELc67ELc84ELc85ELb0ELb0EfPKfPKS1_PKPfEviT_T9_T10_S7_lS9_S7_lS8_T11_S7_li,comdat
	.globl	_ZL29rocblas_internal_gemmt_kernelIlLi16ELi32ELi8ELc67ELc84ELc85ELb0ELb0EfPKfPKS1_PKPfEviT_T9_T10_S7_lS9_S7_lS8_T11_S7_li ; -- Begin function _ZL29rocblas_internal_gemmt_kernelIlLi16ELi32ELi8ELc67ELc84ELc85ELb0ELb0EfPKfPKS1_PKPfEviT_T9_T10_S7_lS9_S7_lS8_T11_S7_li
	.p2align	8
	.type	_ZL29rocblas_internal_gemmt_kernelIlLi16ELi32ELi8ELc67ELc84ELc85ELb0ELb0EfPKfPKS1_PKPfEviT_T9_T10_S7_lS9_S7_lS8_T11_S7_li,@function
_ZL29rocblas_internal_gemmt_kernelIlLi16ELi32ELi8ELc67ELc84ELc85ELb0ELb0EfPKfPKS1_PKPfEviT_T9_T10_S7_lS9_S7_lS8_T11_S7_li: ; @_ZL29rocblas_internal_gemmt_kernelIlLi16ELi32ELi8ELc67ELc84ELc85ELb0ELb0EfPKfPKS1_PKPfEviT_T9_T10_S7_lS9_S7_lS8_T11_S7_li
; %bb.0:
	s_load_dwordx8 s[24:31], s[0:1], 0x48
	s_load_dwordx16 s[8:23], s[0:1], 0x8
	s_waitcnt lgkmcnt(0)
	s_load_dword s33, s[24:25], 0x0
	s_load_dword s34, s[10:11], 0x0
	s_waitcnt lgkmcnt(0)
	v_cmp_neq_f32_e64 s[6:7], s33, 1.0
	s_and_b64 vcc, exec, s[6:7]
	s_cbranch_vccnz .LBB439_2
; %bb.1:
	s_cmp_lg_u64 s[8:9], 0
	s_cselect_b64 s[6:7], -1, 0
	v_cmp_neq_f32_e64 s[10:11], s34, 0
	s_and_b64 s[6:7], s[6:7], s[10:11]
.LBB439_2:
	s_andn2_b64 vcc, exec, s[6:7]
	s_cbranch_vccnz .LBB439_28
; %bb.3:
	s_mov_b32 s5, 0
	s_load_dword s24, s[0:1], 0x0
	s_lshl_b64 s[0:1], s[4:5], 3
	s_add_u32 s4, s26, s0
	s_addc_u32 s5, s27, s1
	s_load_dwordx2 s[4:5], s[4:5], 0x0
	s_lshl_b32 s25, s2, 5
	s_lshl_b32 s26, s3, 5
	v_cmp_eq_f32_e64 s[2:3], s34, 0
	v_cmp_lt_i64_e64 s[6:7], s[8:9], 1
	v_mov_b32_e32 v3, 0
	s_or_b64 s[2:3], s[2:3], s[6:7]
	v_and_b32_e32 v5, 0x3ff, v0
	v_bfe_u32 v7, v0, 10, 10
	s_and_b64 vcc, exec, s[2:3]
	v_mov_b32_e32 v2, v3
	v_mov_b32_e32 v1, v3
	;; [unrolled: 1-line block ×3, first 2 shown]
	s_cbranch_vccnz .LBB439_12
; %bb.4:
	s_add_u32 s2, s18, s0
	s_addc_u32 s3, s19, s1
	s_load_dwordx2 s[2:3], s[2:3], 0x0
	s_lshl_b64 s[6:7], s[22:23], 2
	v_lshl_add_u32 v1, v7, 4, v5
	v_lshrrev_b32_e32 v6, 5, v1
	v_lshrrev_b32_e32 v10, 3, v1
	s_waitcnt lgkmcnt(0)
	s_add_u32 s6, s2, s6
	s_addc_u32 s7, s3, s7
	s_add_u32 s0, s12, s0
	s_addc_u32 s1, s13, s1
	s_load_dwordx2 s[0:1], s[0:1], 0x0
	v_and_b32_e32 v1, 31, v1
	s_lshl_b64 s[2:3], s[16:17], 2
	v_or_b32_e32 v2, s25, v1
	v_lshlrev_b32_e32 v1, 2, v1
	s_waitcnt lgkmcnt(0)
	s_add_u32 s2, s0, s2
	s_addc_u32 s3, s1, s3
	v_cmp_gt_i32_e64 s[0:1], s24, v2
	v_lshl_or_b32 v14, v6, 7, v1
	s_ashr_i32 s12, s25, 31
	v_mul_lo_u32 v1, s15, v2
	v_mad_u64_u32 v[2:3], s[10:11], s14, v2, 0
	v_and_b32_e32 v4, 7, v5
	s_mul_i32 s10, s14, s12
	v_add3_u32 v3, v3, s10, v1
	v_lshlrev_b32_e32 v1, 2, v4
	v_add_u32_e32 v0, s26, v10
	v_lshl_or_b32 v1, v10, 5, v1
	v_add_u32_e32 v15, 0x400, v1
	v_ashrrev_i32_e32 v1, 31, v0
	v_lshl_add_u64 v[8:9], v[2:3], 2, s[2:3]
	v_cmp_gt_i32_e64 s[2:3], s24, v0
	v_lshl_add_u64 v[10:11], v[0:1], 2, s[6:7]
	v_mov_b32_e32 v0, 0x400
	v_mov_b32_e32 v13, 0
	v_lshlrev_b32_e32 v16, 2, v5
	v_lshl_add_u32 v17, v7, 5, v0
	s_mov_b64 s[6:7], 0
	v_mov_b32_e32 v0, v13
	v_mov_b32_e32 v1, v13
	;; [unrolled: 1-line block ×4, first 2 shown]
	s_branch .LBB439_6
.LBB439_5:                              ;   in Loop: Header=BB439_6 Depth=1
	s_or_b64 exec, exec, s[10:11]
	s_waitcnt vmcnt(0) lgkmcnt(0)
	ds_write_b32 v15, v18
	s_waitcnt lgkmcnt(0)
	s_barrier
	ds_read_b128 v[18:21], v17
	ds_read_b128 v[22:25], v17 offset:16
	ds_read2_b32 v[34:35], v16 offset1:16
	ds_read2_b32 v[36:37], v16 offset0:32 offset1:48
	ds_read2_b32 v[38:39], v16 offset0:64 offset1:80
	;; [unrolled: 1-line block ×4, first 2 shown]
	ds_read_b128 v[26:29], v17 offset:512
	ds_read_b128 v[30:33], v17 offset:528
	ds_read2_b32 v[44:45], v16 offset0:160 offset1:176
	ds_read2_b32 v[46:47], v16 offset0:192 offset1:208
	;; [unrolled: 1-line block ×3, first 2 shown]
	s_waitcnt lgkmcnt(9)
	v_pk_fma_f32 v[2:3], v[34:35], v[18:19], v[2:3] op_sel_hi:[1,0,1]
	v_mov_b32_e32 v12, v21
	s_waitcnt lgkmcnt(8)
	v_pk_fma_f32 v[2:3], v[36:37], v[18:19], v[2:3] op_sel:[0,1,0]
	s_waitcnt lgkmcnt(4)
	v_pk_fma_f32 v[0:1], v[34:35], v[26:27], v[0:1] op_sel_hi:[1,0,1]
	v_pk_fma_f32 v[2:3], v[38:39], v[20:21], v[2:3] op_sel_hi:[1,0,1]
	v_pk_fma_f32 v[0:1], v[36:37], v[26:27], v[0:1] op_sel:[0,1,0]
	v_pk_fma_f32 v[2:3], v[40:41], v[12:13], v[2:3] op_sel_hi:[1,0,1]
	v_mov_b32_e32 v12, v25
	v_pk_fma_f32 v[2:3], v[42:43], v[22:23], v[2:3] op_sel_hi:[1,0,1]
	v_pk_fma_f32 v[0:1], v[38:39], v[28:29], v[0:1] op_sel_hi:[1,0,1]
	s_waitcnt lgkmcnt(2)
	v_pk_fma_f32 v[2:3], v[44:45], v[22:23], v[2:3] op_sel:[0,1,0]
	s_add_u32 s6, s6, 8
	s_waitcnt lgkmcnt(1)
	v_pk_fma_f32 v[2:3], v[46:47], v[24:25], v[2:3] op_sel_hi:[1,0,1]
	s_addc_u32 s7, s7, 0
	s_waitcnt lgkmcnt(0)
	v_pk_fma_f32 v[2:3], v[48:49], v[12:13], v[2:3] op_sel_hi:[1,0,1]
	v_mov_b32_e32 v12, v29
	v_pk_fma_f32 v[0:1], v[40:41], v[12:13], v[0:1] op_sel_hi:[1,0,1]
	v_mov_b64_e32 v[18:19], s[6:7]
	v_pk_fma_f32 v[0:1], v[42:43], v[30:31], v[0:1] op_sel_hi:[1,0,1]
	v_mov_b32_e32 v12, v33
	v_pk_fma_f32 v[0:1], v[44:45], v[30:31], v[0:1] op_sel:[0,1,0]
	v_cmp_gt_i64_e32 vcc, s[8:9], v[18:19]
	v_pk_fma_f32 v[0:1], v[46:47], v[32:33], v[0:1] op_sel_hi:[1,0,1]
	s_nop 0
	v_pk_fma_f32 v[0:1], v[48:49], v[12:13], v[0:1] op_sel_hi:[1,0,1]
	s_barrier
	s_cbranch_vccz .LBB439_12
.LBB439_6:                              ; =>This Inner Loop Header: Depth=1
	v_mov_b32_e32 v18, 0
	s_and_saveexec_b64 s[10:11], s[0:1]
	s_cbranch_execz .LBB439_10
; %bb.7:                                ;   in Loop: Header=BB439_6 Depth=1
	v_add_u32_e32 v12, s6, v6
	v_cmp_gt_u64_e32 vcc, s[8:9], v[12:13]
	v_mov_b32_e32 v18, 0
	s_and_saveexec_b64 s[12:13], vcc
	s_cbranch_execz .LBB439_9
; %bb.8:                                ;   in Loop: Header=BB439_6 Depth=1
	v_lshl_add_u64 v[18:19], v[12:13], 2, v[8:9]
	flat_load_dword v18, v[18:19]
.LBB439_9:                              ;   in Loop: Header=BB439_6 Depth=1
	s_or_b64 exec, exec, s[12:13]
.LBB439_10:                             ;   in Loop: Header=BB439_6 Depth=1
	s_or_b64 exec, exec, s[10:11]
	v_add_u32_e32 v12, s6, v4
	v_cmp_gt_u64_e32 vcc, s[8:9], v[12:13]
	s_waitcnt vmcnt(0) lgkmcnt(0)
	ds_write_b32 v14, v18
	s_and_b64 s[12:13], vcc, s[2:3]
	v_mov_b32_e32 v18, 0
	s_and_saveexec_b64 s[10:11], s[12:13]
	s_cbranch_execz .LBB439_5
; %bb.11:                               ;   in Loop: Header=BB439_6 Depth=1
	v_mad_u64_u32 v[18:19], s[12:13], s20, v12, 0
	v_mov_b32_e32 v20, v19
	v_mad_u64_u32 v[20:21], s[12:13], s21, v12, v[20:21]
	v_mov_b32_e32 v19, v20
	v_lshl_add_u64 v[18:19], v[18:19], 2, v[10:11]
	flat_load_dword v18, v[18:19]
	s_branch .LBB439_5
.LBB439_12:
	s_lshl_b64 s[0:1], s[30:31], 2
	v_add_u32_e32 v10, s26, v7
	s_waitcnt lgkmcnt(0)
	s_add_u32 s4, s4, s0
	v_add_u32_e32 v4, s25, v5
	v_ashrrev_i32_e32 v5, 31, v10
	s_addc_u32 s5, s5, s1
	v_mul_lo_u32 v5, s28, v5
	v_mul_lo_u32 v8, s29, v10
	v_mad_u64_u32 v[6:7], s[0:1], s28, v10, 0
	v_add3_u32 v7, v7, v5, v8
	v_cmp_neq_f32_e64 s[0:1], s33, 0
	v_cmp_gt_i32_e64 s[2:3], s24, v10
	v_lshl_add_u64 v[8:9], v[6:7], 2, s[4:5]
	v_cmp_le_i32_e32 vcc, v4, v10
	v_cndmask_b32_e64 v6, 0, 1, s[0:1]
	s_and_b64 s[8:9], s[2:3], vcc
	v_ashrrev_i32_e32 v5, 31, v4
	v_cmp_ne_u32_e64 s[0:1], 1, v6
	s_and_saveexec_b64 s[6:7], s[8:9]
	s_cbranch_execz .LBB439_16
; %bb.13:
	v_mul_f32_e32 v2, s34, v2
	s_and_b64 vcc, exec, s[0:1]
	v_lshl_add_u64 v[6:7], v[4:5], 2, v[8:9]
	s_cbranch_vccnz .LBB439_15
; %bb.14:
	flat_load_dword v11, v[6:7]
	s_waitcnt vmcnt(0) lgkmcnt(0)
	v_fmac_f32_e32 v2, s33, v11
.LBB439_15:
	flat_store_dword v[6:7], v2
.LBB439_16:
	s_or_b64 exec, exec, s[6:7]
	v_add_u32_e32 v6, 16, v4
	v_cmp_le_i32_e32 vcc, v6, v10
	s_and_b64 s[6:7], s[2:3], vcc
	v_ashrrev_i32_e32 v7, 31, v6
	s_and_saveexec_b64 s[2:3], s[6:7]
	s_cbranch_execz .LBB439_20
; %bb.17:
	v_mul_f32_e32 v11, s34, v3
	s_and_b64 vcc, exec, s[0:1]
	v_lshl_add_u64 v[2:3], v[6:7], 2, v[8:9]
	s_cbranch_vccnz .LBB439_19
; %bb.18:
	flat_load_dword v8, v[2:3]
	s_waitcnt vmcnt(0) lgkmcnt(0)
	v_fmac_f32_e32 v11, s33, v8
.LBB439_19:
	flat_store_dword v[2:3], v11
.LBB439_20:
	s_or_b64 exec, exec, s[2:3]
	v_add_u32_e32 v8, 16, v10
	v_ashrrev_i32_e32 v2, 31, v8
	v_mul_lo_u32 v9, s28, v2
	v_mul_lo_u32 v10, s29, v8
	v_mad_u64_u32 v[2:3], s[6:7], s28, v8, 0
	v_cmp_gt_i32_e64 s[2:3], s24, v8
	v_add3_u32 v3, v3, v9, v10
	v_cmp_le_i32_e32 vcc, v4, v8
	v_lshl_add_u64 v[2:3], v[2:3], 2, s[4:5]
	s_and_b64 s[6:7], s[2:3], vcc
	s_and_saveexec_b64 s[4:5], s[6:7]
	s_cbranch_execz .LBB439_24
; %bb.21:
	v_mul_f32_e32 v0, s34, v0
	s_and_b64 vcc, exec, s[0:1]
	v_lshl_add_u64 v[4:5], v[4:5], 2, v[2:3]
	s_cbranch_vccnz .LBB439_23
; %bb.22:
	flat_load_dword v9, v[4:5]
	s_waitcnt vmcnt(0) lgkmcnt(0)
	v_fmac_f32_e32 v0, s33, v9
.LBB439_23:
	flat_store_dword v[4:5], v0
.LBB439_24:
	s_or_b64 exec, exec, s[4:5]
	v_cmp_le_i32_e32 vcc, v6, v8
	s_and_b64 s[2:3], s[2:3], vcc
	s_and_saveexec_b64 s[4:5], s[2:3]
	s_cbranch_execz .LBB439_28
; %bb.25:
	v_mul_f32_e32 v4, s34, v1
	s_and_b64 vcc, exec, s[0:1]
	v_lshl_add_u64 v[0:1], v[6:7], 2, v[2:3]
	s_cbranch_vccnz .LBB439_27
; %bb.26:
	flat_load_dword v2, v[0:1]
	s_waitcnt vmcnt(0) lgkmcnt(0)
	v_fmac_f32_e32 v4, s33, v2
.LBB439_27:
	flat_store_dword v[0:1], v4
.LBB439_28:
	s_endpgm
	.section	.rodata,"a",@progbits
	.p2align	6, 0x0
	.amdhsa_kernel _ZL29rocblas_internal_gemmt_kernelIlLi16ELi32ELi8ELc67ELc84ELc85ELb0ELb0EfPKfPKS1_PKPfEviT_T9_T10_S7_lS9_S7_lS8_T11_S7_li
		.amdhsa_group_segment_fixed_size 2048
		.amdhsa_private_segment_fixed_size 0
		.amdhsa_kernarg_size 108
		.amdhsa_user_sgpr_count 2
		.amdhsa_user_sgpr_dispatch_ptr 0
		.amdhsa_user_sgpr_queue_ptr 0
		.amdhsa_user_sgpr_kernarg_segment_ptr 1
		.amdhsa_user_sgpr_dispatch_id 0
		.amdhsa_user_sgpr_kernarg_preload_length 0
		.amdhsa_user_sgpr_kernarg_preload_offset 0
		.amdhsa_user_sgpr_private_segment_size 0
		.amdhsa_uses_dynamic_stack 0
		.amdhsa_enable_private_segment 0
		.amdhsa_system_sgpr_workgroup_id_x 1
		.amdhsa_system_sgpr_workgroup_id_y 1
		.amdhsa_system_sgpr_workgroup_id_z 1
		.amdhsa_system_sgpr_workgroup_info 0
		.amdhsa_system_vgpr_workitem_id 1
		.amdhsa_next_free_vgpr 50
		.amdhsa_next_free_sgpr 35
		.amdhsa_accum_offset 52
		.amdhsa_reserve_vcc 1
		.amdhsa_float_round_mode_32 0
		.amdhsa_float_round_mode_16_64 0
		.amdhsa_float_denorm_mode_32 3
		.amdhsa_float_denorm_mode_16_64 3
		.amdhsa_dx10_clamp 1
		.amdhsa_ieee_mode 1
		.amdhsa_fp16_overflow 0
		.amdhsa_tg_split 0
		.amdhsa_exception_fp_ieee_invalid_op 0
		.amdhsa_exception_fp_denorm_src 0
		.amdhsa_exception_fp_ieee_div_zero 0
		.amdhsa_exception_fp_ieee_overflow 0
		.amdhsa_exception_fp_ieee_underflow 0
		.amdhsa_exception_fp_ieee_inexact 0
		.amdhsa_exception_int_div_zero 0
	.end_amdhsa_kernel
	.section	.text._ZL29rocblas_internal_gemmt_kernelIlLi16ELi32ELi8ELc67ELc84ELc85ELb0ELb0EfPKfPKS1_PKPfEviT_T9_T10_S7_lS9_S7_lS8_T11_S7_li,"axG",@progbits,_ZL29rocblas_internal_gemmt_kernelIlLi16ELi32ELi8ELc67ELc84ELc85ELb0ELb0EfPKfPKS1_PKPfEviT_T9_T10_S7_lS9_S7_lS8_T11_S7_li,comdat
.Lfunc_end439:
	.size	_ZL29rocblas_internal_gemmt_kernelIlLi16ELi32ELi8ELc67ELc84ELc85ELb0ELb0EfPKfPKS1_PKPfEviT_T9_T10_S7_lS9_S7_lS8_T11_S7_li, .Lfunc_end439-_ZL29rocblas_internal_gemmt_kernelIlLi16ELi32ELi8ELc67ELc84ELc85ELb0ELb0EfPKfPKS1_PKPfEviT_T9_T10_S7_lS9_S7_lS8_T11_S7_li
                                        ; -- End function
	.set _ZL29rocblas_internal_gemmt_kernelIlLi16ELi32ELi8ELc67ELc84ELc85ELb0ELb0EfPKfPKS1_PKPfEviT_T9_T10_S7_lS9_S7_lS8_T11_S7_li.num_vgpr, 50
	.set _ZL29rocblas_internal_gemmt_kernelIlLi16ELi32ELi8ELc67ELc84ELc85ELb0ELb0EfPKfPKS1_PKPfEviT_T9_T10_S7_lS9_S7_lS8_T11_S7_li.num_agpr, 0
	.set _ZL29rocblas_internal_gemmt_kernelIlLi16ELi32ELi8ELc67ELc84ELc85ELb0ELb0EfPKfPKS1_PKPfEviT_T9_T10_S7_lS9_S7_lS8_T11_S7_li.numbered_sgpr, 35
	.set _ZL29rocblas_internal_gemmt_kernelIlLi16ELi32ELi8ELc67ELc84ELc85ELb0ELb0EfPKfPKS1_PKPfEviT_T9_T10_S7_lS9_S7_lS8_T11_S7_li.num_named_barrier, 0
	.set _ZL29rocblas_internal_gemmt_kernelIlLi16ELi32ELi8ELc67ELc84ELc85ELb0ELb0EfPKfPKS1_PKPfEviT_T9_T10_S7_lS9_S7_lS8_T11_S7_li.private_seg_size, 0
	.set _ZL29rocblas_internal_gemmt_kernelIlLi16ELi32ELi8ELc67ELc84ELc85ELb0ELb0EfPKfPKS1_PKPfEviT_T9_T10_S7_lS9_S7_lS8_T11_S7_li.uses_vcc, 1
	.set _ZL29rocblas_internal_gemmt_kernelIlLi16ELi32ELi8ELc67ELc84ELc85ELb0ELb0EfPKfPKS1_PKPfEviT_T9_T10_S7_lS9_S7_lS8_T11_S7_li.uses_flat_scratch, 0
	.set _ZL29rocblas_internal_gemmt_kernelIlLi16ELi32ELi8ELc67ELc84ELc85ELb0ELb0EfPKfPKS1_PKPfEviT_T9_T10_S7_lS9_S7_lS8_T11_S7_li.has_dyn_sized_stack, 0
	.set _ZL29rocblas_internal_gemmt_kernelIlLi16ELi32ELi8ELc67ELc84ELc85ELb0ELb0EfPKfPKS1_PKPfEviT_T9_T10_S7_lS9_S7_lS8_T11_S7_li.has_recursion, 0
	.set _ZL29rocblas_internal_gemmt_kernelIlLi16ELi32ELi8ELc67ELc84ELc85ELb0ELb0EfPKfPKS1_PKPfEviT_T9_T10_S7_lS9_S7_lS8_T11_S7_li.has_indirect_call, 0
	.section	.AMDGPU.csdata,"",@progbits
; Kernel info:
; codeLenInByte = 1304
; TotalNumSgprs: 41
; NumVgprs: 50
; NumAgprs: 0
; TotalNumVgprs: 50
; ScratchSize: 0
; MemoryBound: 0
; FloatMode: 240
; IeeeMode: 1
; LDSByteSize: 2048 bytes/workgroup (compile time only)
; SGPRBlocks: 5
; VGPRBlocks: 6
; NumSGPRsForWavesPerEU: 41
; NumVGPRsForWavesPerEU: 50
; AccumOffset: 52
; Occupancy: 8
; WaveLimiterHint : 1
; COMPUTE_PGM_RSRC2:SCRATCH_EN: 0
; COMPUTE_PGM_RSRC2:USER_SGPR: 2
; COMPUTE_PGM_RSRC2:TRAP_HANDLER: 0
; COMPUTE_PGM_RSRC2:TGID_X_EN: 1
; COMPUTE_PGM_RSRC2:TGID_Y_EN: 1
; COMPUTE_PGM_RSRC2:TGID_Z_EN: 1
; COMPUTE_PGM_RSRC2:TIDIG_COMP_CNT: 1
; COMPUTE_PGM_RSRC3_GFX90A:ACCUM_OFFSET: 12
; COMPUTE_PGM_RSRC3_GFX90A:TG_SPLIT: 0
	.section	.text._ZL29rocblas_internal_gemmt_kernelIlLi16ELi32ELi8ELc67ELc67ELc85ELb0ELb0EfPKfPKS1_PKPfEviT_T9_T10_S7_lS9_S7_lS8_T11_S7_li,"axG",@progbits,_ZL29rocblas_internal_gemmt_kernelIlLi16ELi32ELi8ELc67ELc67ELc85ELb0ELb0EfPKfPKS1_PKPfEviT_T9_T10_S7_lS9_S7_lS8_T11_S7_li,comdat
	.globl	_ZL29rocblas_internal_gemmt_kernelIlLi16ELi32ELi8ELc67ELc67ELc85ELb0ELb0EfPKfPKS1_PKPfEviT_T9_T10_S7_lS9_S7_lS8_T11_S7_li ; -- Begin function _ZL29rocblas_internal_gemmt_kernelIlLi16ELi32ELi8ELc67ELc67ELc85ELb0ELb0EfPKfPKS1_PKPfEviT_T9_T10_S7_lS9_S7_lS8_T11_S7_li
	.p2align	8
	.type	_ZL29rocblas_internal_gemmt_kernelIlLi16ELi32ELi8ELc67ELc67ELc85ELb0ELb0EfPKfPKS1_PKPfEviT_T9_T10_S7_lS9_S7_lS8_T11_S7_li,@function
_ZL29rocblas_internal_gemmt_kernelIlLi16ELi32ELi8ELc67ELc67ELc85ELb0ELb0EfPKfPKS1_PKPfEviT_T9_T10_S7_lS9_S7_lS8_T11_S7_li: ; @_ZL29rocblas_internal_gemmt_kernelIlLi16ELi32ELi8ELc67ELc67ELc85ELb0ELb0EfPKfPKS1_PKPfEviT_T9_T10_S7_lS9_S7_lS8_T11_S7_li
; %bb.0:
	s_load_dwordx8 s[24:31], s[0:1], 0x48
	s_load_dwordx16 s[8:23], s[0:1], 0x8
	s_waitcnt lgkmcnt(0)
	s_load_dword s33, s[24:25], 0x0
	s_load_dword s34, s[10:11], 0x0
	s_waitcnt lgkmcnt(0)
	v_cmp_neq_f32_e64 s[6:7], s33, 1.0
	s_and_b64 vcc, exec, s[6:7]
	s_cbranch_vccnz .LBB440_2
; %bb.1:
	s_cmp_lg_u64 s[8:9], 0
	s_cselect_b64 s[6:7], -1, 0
	v_cmp_neq_f32_e64 s[10:11], s34, 0
	s_and_b64 s[6:7], s[6:7], s[10:11]
.LBB440_2:
	s_andn2_b64 vcc, exec, s[6:7]
	s_cbranch_vccnz .LBB440_28
; %bb.3:
	s_mov_b32 s5, 0
	s_load_dword s24, s[0:1], 0x0
	s_lshl_b64 s[0:1], s[4:5], 3
	s_add_u32 s4, s26, s0
	s_addc_u32 s5, s27, s1
	s_load_dwordx2 s[4:5], s[4:5], 0x0
	s_lshl_b32 s25, s2, 5
	s_lshl_b32 s26, s3, 5
	v_cmp_eq_f32_e64 s[2:3], s34, 0
	v_cmp_lt_i64_e64 s[6:7], s[8:9], 1
	v_mov_b32_e32 v3, 0
	s_or_b64 s[2:3], s[2:3], s[6:7]
	v_and_b32_e32 v5, 0x3ff, v0
	v_bfe_u32 v7, v0, 10, 10
	s_and_b64 vcc, exec, s[2:3]
	v_mov_b32_e32 v2, v3
	v_mov_b32_e32 v1, v3
	;; [unrolled: 1-line block ×3, first 2 shown]
	s_cbranch_vccnz .LBB440_12
; %bb.4:
	s_add_u32 s2, s18, s0
	s_addc_u32 s3, s19, s1
	s_load_dwordx2 s[2:3], s[2:3], 0x0
	s_lshl_b64 s[6:7], s[22:23], 2
	v_lshl_add_u32 v1, v7, 4, v5
	v_lshrrev_b32_e32 v6, 5, v1
	v_lshrrev_b32_e32 v10, 3, v1
	s_waitcnt lgkmcnt(0)
	s_add_u32 s6, s2, s6
	s_addc_u32 s7, s3, s7
	s_add_u32 s0, s12, s0
	s_addc_u32 s1, s13, s1
	s_load_dwordx2 s[0:1], s[0:1], 0x0
	v_and_b32_e32 v1, 31, v1
	s_lshl_b64 s[2:3], s[16:17], 2
	v_or_b32_e32 v2, s25, v1
	v_lshlrev_b32_e32 v1, 2, v1
	s_waitcnt lgkmcnt(0)
	s_add_u32 s2, s0, s2
	s_addc_u32 s3, s1, s3
	v_cmp_gt_i32_e64 s[0:1], s24, v2
	v_lshl_or_b32 v14, v6, 7, v1
	s_ashr_i32 s12, s25, 31
	v_mul_lo_u32 v1, s15, v2
	v_mad_u64_u32 v[2:3], s[10:11], s14, v2, 0
	v_and_b32_e32 v4, 7, v5
	s_mul_i32 s10, s14, s12
	v_add3_u32 v3, v3, s10, v1
	v_lshlrev_b32_e32 v1, 2, v4
	v_add_u32_e32 v0, s26, v10
	v_lshl_or_b32 v1, v10, 5, v1
	v_add_u32_e32 v15, 0x400, v1
	v_ashrrev_i32_e32 v1, 31, v0
	v_lshl_add_u64 v[8:9], v[2:3], 2, s[2:3]
	v_cmp_gt_i32_e64 s[2:3], s24, v0
	v_lshl_add_u64 v[10:11], v[0:1], 2, s[6:7]
	v_mov_b32_e32 v0, 0x400
	v_mov_b32_e32 v13, 0
	v_lshlrev_b32_e32 v16, 2, v5
	v_lshl_add_u32 v17, v7, 5, v0
	s_mov_b64 s[6:7], 0
	v_mov_b32_e32 v0, v13
	v_mov_b32_e32 v1, v13
	;; [unrolled: 1-line block ×4, first 2 shown]
	s_branch .LBB440_6
.LBB440_5:                              ;   in Loop: Header=BB440_6 Depth=1
	s_or_b64 exec, exec, s[10:11]
	s_waitcnt vmcnt(0) lgkmcnt(0)
	ds_write_b32 v15, v18
	s_waitcnt lgkmcnt(0)
	s_barrier
	ds_read_b128 v[18:21], v17
	ds_read_b128 v[22:25], v17 offset:16
	ds_read2_b32 v[34:35], v16 offset1:16
	ds_read2_b32 v[36:37], v16 offset0:32 offset1:48
	ds_read2_b32 v[38:39], v16 offset0:64 offset1:80
	ds_read2_b32 v[40:41], v16 offset0:96 offset1:112
	ds_read2_b32 v[42:43], v16 offset0:128 offset1:144
	ds_read_b128 v[26:29], v17 offset:512
	ds_read_b128 v[30:33], v17 offset:528
	ds_read2_b32 v[44:45], v16 offset0:160 offset1:176
	ds_read2_b32 v[46:47], v16 offset0:192 offset1:208
	;; [unrolled: 1-line block ×3, first 2 shown]
	s_waitcnt lgkmcnt(9)
	v_pk_fma_f32 v[2:3], v[34:35], v[18:19], v[2:3] op_sel_hi:[1,0,1]
	v_mov_b32_e32 v12, v21
	s_waitcnt lgkmcnt(8)
	v_pk_fma_f32 v[2:3], v[36:37], v[18:19], v[2:3] op_sel:[0,1,0]
	s_waitcnt lgkmcnt(4)
	v_pk_fma_f32 v[0:1], v[34:35], v[26:27], v[0:1] op_sel_hi:[1,0,1]
	v_pk_fma_f32 v[2:3], v[38:39], v[20:21], v[2:3] op_sel_hi:[1,0,1]
	v_pk_fma_f32 v[0:1], v[36:37], v[26:27], v[0:1] op_sel:[0,1,0]
	v_pk_fma_f32 v[2:3], v[40:41], v[12:13], v[2:3] op_sel_hi:[1,0,1]
	v_mov_b32_e32 v12, v25
	v_pk_fma_f32 v[2:3], v[42:43], v[22:23], v[2:3] op_sel_hi:[1,0,1]
	v_pk_fma_f32 v[0:1], v[38:39], v[28:29], v[0:1] op_sel_hi:[1,0,1]
	s_waitcnt lgkmcnt(2)
	v_pk_fma_f32 v[2:3], v[44:45], v[22:23], v[2:3] op_sel:[0,1,0]
	s_add_u32 s6, s6, 8
	s_waitcnt lgkmcnt(1)
	v_pk_fma_f32 v[2:3], v[46:47], v[24:25], v[2:3] op_sel_hi:[1,0,1]
	s_addc_u32 s7, s7, 0
	s_waitcnt lgkmcnt(0)
	v_pk_fma_f32 v[2:3], v[48:49], v[12:13], v[2:3] op_sel_hi:[1,0,1]
	v_mov_b32_e32 v12, v29
	v_pk_fma_f32 v[0:1], v[40:41], v[12:13], v[0:1] op_sel_hi:[1,0,1]
	v_mov_b64_e32 v[18:19], s[6:7]
	v_pk_fma_f32 v[0:1], v[42:43], v[30:31], v[0:1] op_sel_hi:[1,0,1]
	v_mov_b32_e32 v12, v33
	v_pk_fma_f32 v[0:1], v[44:45], v[30:31], v[0:1] op_sel:[0,1,0]
	v_cmp_gt_i64_e32 vcc, s[8:9], v[18:19]
	v_pk_fma_f32 v[0:1], v[46:47], v[32:33], v[0:1] op_sel_hi:[1,0,1]
	s_nop 0
	v_pk_fma_f32 v[0:1], v[48:49], v[12:13], v[0:1] op_sel_hi:[1,0,1]
	s_barrier
	s_cbranch_vccz .LBB440_12
.LBB440_6:                              ; =>This Inner Loop Header: Depth=1
	v_mov_b32_e32 v18, 0
	s_and_saveexec_b64 s[10:11], s[0:1]
	s_cbranch_execz .LBB440_10
; %bb.7:                                ;   in Loop: Header=BB440_6 Depth=1
	v_add_u32_e32 v12, s6, v6
	v_cmp_gt_u64_e32 vcc, s[8:9], v[12:13]
	v_mov_b32_e32 v18, 0
	s_and_saveexec_b64 s[12:13], vcc
	s_cbranch_execz .LBB440_9
; %bb.8:                                ;   in Loop: Header=BB440_6 Depth=1
	v_lshl_add_u64 v[18:19], v[12:13], 2, v[8:9]
	flat_load_dword v18, v[18:19]
.LBB440_9:                              ;   in Loop: Header=BB440_6 Depth=1
	s_or_b64 exec, exec, s[12:13]
.LBB440_10:                             ;   in Loop: Header=BB440_6 Depth=1
	s_or_b64 exec, exec, s[10:11]
	v_add_u32_e32 v12, s6, v4
	v_cmp_gt_u64_e32 vcc, s[8:9], v[12:13]
	s_waitcnt vmcnt(0) lgkmcnt(0)
	ds_write_b32 v14, v18
	s_and_b64 s[12:13], vcc, s[2:3]
	v_mov_b32_e32 v18, 0
	s_and_saveexec_b64 s[10:11], s[12:13]
	s_cbranch_execz .LBB440_5
; %bb.11:                               ;   in Loop: Header=BB440_6 Depth=1
	v_mad_u64_u32 v[18:19], s[12:13], s20, v12, 0
	v_mov_b32_e32 v20, v19
	v_mad_u64_u32 v[20:21], s[12:13], s21, v12, v[20:21]
	v_mov_b32_e32 v19, v20
	v_lshl_add_u64 v[18:19], v[18:19], 2, v[10:11]
	flat_load_dword v18, v[18:19]
	s_branch .LBB440_5
.LBB440_12:
	s_lshl_b64 s[0:1], s[30:31], 2
	v_add_u32_e32 v10, s26, v7
	s_waitcnt lgkmcnt(0)
	s_add_u32 s4, s4, s0
	v_add_u32_e32 v4, s25, v5
	v_ashrrev_i32_e32 v5, 31, v10
	s_addc_u32 s5, s5, s1
	v_mul_lo_u32 v5, s28, v5
	v_mul_lo_u32 v8, s29, v10
	v_mad_u64_u32 v[6:7], s[0:1], s28, v10, 0
	v_add3_u32 v7, v7, v5, v8
	v_cmp_neq_f32_e64 s[0:1], s33, 0
	v_cmp_gt_i32_e64 s[2:3], s24, v10
	v_lshl_add_u64 v[8:9], v[6:7], 2, s[4:5]
	v_cmp_le_i32_e32 vcc, v4, v10
	v_cndmask_b32_e64 v6, 0, 1, s[0:1]
	s_and_b64 s[8:9], s[2:3], vcc
	v_ashrrev_i32_e32 v5, 31, v4
	v_cmp_ne_u32_e64 s[0:1], 1, v6
	s_and_saveexec_b64 s[6:7], s[8:9]
	s_cbranch_execz .LBB440_16
; %bb.13:
	v_mul_f32_e32 v2, s34, v2
	s_and_b64 vcc, exec, s[0:1]
	v_lshl_add_u64 v[6:7], v[4:5], 2, v[8:9]
	s_cbranch_vccnz .LBB440_15
; %bb.14:
	flat_load_dword v11, v[6:7]
	s_waitcnt vmcnt(0) lgkmcnt(0)
	v_fmac_f32_e32 v2, s33, v11
.LBB440_15:
	flat_store_dword v[6:7], v2
.LBB440_16:
	s_or_b64 exec, exec, s[6:7]
	v_add_u32_e32 v6, 16, v4
	v_cmp_le_i32_e32 vcc, v6, v10
	s_and_b64 s[6:7], s[2:3], vcc
	v_ashrrev_i32_e32 v7, 31, v6
	s_and_saveexec_b64 s[2:3], s[6:7]
	s_cbranch_execz .LBB440_20
; %bb.17:
	v_mul_f32_e32 v11, s34, v3
	s_and_b64 vcc, exec, s[0:1]
	v_lshl_add_u64 v[2:3], v[6:7], 2, v[8:9]
	s_cbranch_vccnz .LBB440_19
; %bb.18:
	flat_load_dword v8, v[2:3]
	s_waitcnt vmcnt(0) lgkmcnt(0)
	v_fmac_f32_e32 v11, s33, v8
.LBB440_19:
	flat_store_dword v[2:3], v11
.LBB440_20:
	s_or_b64 exec, exec, s[2:3]
	v_add_u32_e32 v8, 16, v10
	v_ashrrev_i32_e32 v2, 31, v8
	v_mul_lo_u32 v9, s28, v2
	v_mul_lo_u32 v10, s29, v8
	v_mad_u64_u32 v[2:3], s[6:7], s28, v8, 0
	v_cmp_gt_i32_e64 s[2:3], s24, v8
	v_add3_u32 v3, v3, v9, v10
	v_cmp_le_i32_e32 vcc, v4, v8
	v_lshl_add_u64 v[2:3], v[2:3], 2, s[4:5]
	s_and_b64 s[6:7], s[2:3], vcc
	s_and_saveexec_b64 s[4:5], s[6:7]
	s_cbranch_execz .LBB440_24
; %bb.21:
	v_mul_f32_e32 v0, s34, v0
	s_and_b64 vcc, exec, s[0:1]
	v_lshl_add_u64 v[4:5], v[4:5], 2, v[2:3]
	s_cbranch_vccnz .LBB440_23
; %bb.22:
	flat_load_dword v9, v[4:5]
	s_waitcnt vmcnt(0) lgkmcnt(0)
	v_fmac_f32_e32 v0, s33, v9
.LBB440_23:
	flat_store_dword v[4:5], v0
.LBB440_24:
	s_or_b64 exec, exec, s[4:5]
	v_cmp_le_i32_e32 vcc, v6, v8
	s_and_b64 s[2:3], s[2:3], vcc
	s_and_saveexec_b64 s[4:5], s[2:3]
	s_cbranch_execz .LBB440_28
; %bb.25:
	v_mul_f32_e32 v4, s34, v1
	s_and_b64 vcc, exec, s[0:1]
	v_lshl_add_u64 v[0:1], v[6:7], 2, v[2:3]
	s_cbranch_vccnz .LBB440_27
; %bb.26:
	flat_load_dword v2, v[0:1]
	s_waitcnt vmcnt(0) lgkmcnt(0)
	v_fmac_f32_e32 v4, s33, v2
.LBB440_27:
	flat_store_dword v[0:1], v4
.LBB440_28:
	s_endpgm
	.section	.rodata,"a",@progbits
	.p2align	6, 0x0
	.amdhsa_kernel _ZL29rocblas_internal_gemmt_kernelIlLi16ELi32ELi8ELc67ELc67ELc85ELb0ELb0EfPKfPKS1_PKPfEviT_T9_T10_S7_lS9_S7_lS8_T11_S7_li
		.amdhsa_group_segment_fixed_size 2048
		.amdhsa_private_segment_fixed_size 0
		.amdhsa_kernarg_size 108
		.amdhsa_user_sgpr_count 2
		.amdhsa_user_sgpr_dispatch_ptr 0
		.amdhsa_user_sgpr_queue_ptr 0
		.amdhsa_user_sgpr_kernarg_segment_ptr 1
		.amdhsa_user_sgpr_dispatch_id 0
		.amdhsa_user_sgpr_kernarg_preload_length 0
		.amdhsa_user_sgpr_kernarg_preload_offset 0
		.amdhsa_user_sgpr_private_segment_size 0
		.amdhsa_uses_dynamic_stack 0
		.amdhsa_enable_private_segment 0
		.amdhsa_system_sgpr_workgroup_id_x 1
		.amdhsa_system_sgpr_workgroup_id_y 1
		.amdhsa_system_sgpr_workgroup_id_z 1
		.amdhsa_system_sgpr_workgroup_info 0
		.amdhsa_system_vgpr_workitem_id 1
		.amdhsa_next_free_vgpr 50
		.amdhsa_next_free_sgpr 35
		.amdhsa_accum_offset 52
		.amdhsa_reserve_vcc 1
		.amdhsa_float_round_mode_32 0
		.amdhsa_float_round_mode_16_64 0
		.amdhsa_float_denorm_mode_32 3
		.amdhsa_float_denorm_mode_16_64 3
		.amdhsa_dx10_clamp 1
		.amdhsa_ieee_mode 1
		.amdhsa_fp16_overflow 0
		.amdhsa_tg_split 0
		.amdhsa_exception_fp_ieee_invalid_op 0
		.amdhsa_exception_fp_denorm_src 0
		.amdhsa_exception_fp_ieee_div_zero 0
		.amdhsa_exception_fp_ieee_overflow 0
		.amdhsa_exception_fp_ieee_underflow 0
		.amdhsa_exception_fp_ieee_inexact 0
		.amdhsa_exception_int_div_zero 0
	.end_amdhsa_kernel
	.section	.text._ZL29rocblas_internal_gemmt_kernelIlLi16ELi32ELi8ELc67ELc67ELc85ELb0ELb0EfPKfPKS1_PKPfEviT_T9_T10_S7_lS9_S7_lS8_T11_S7_li,"axG",@progbits,_ZL29rocblas_internal_gemmt_kernelIlLi16ELi32ELi8ELc67ELc67ELc85ELb0ELb0EfPKfPKS1_PKPfEviT_T9_T10_S7_lS9_S7_lS8_T11_S7_li,comdat
.Lfunc_end440:
	.size	_ZL29rocblas_internal_gemmt_kernelIlLi16ELi32ELi8ELc67ELc67ELc85ELb0ELb0EfPKfPKS1_PKPfEviT_T9_T10_S7_lS9_S7_lS8_T11_S7_li, .Lfunc_end440-_ZL29rocblas_internal_gemmt_kernelIlLi16ELi32ELi8ELc67ELc67ELc85ELb0ELb0EfPKfPKS1_PKPfEviT_T9_T10_S7_lS9_S7_lS8_T11_S7_li
                                        ; -- End function
	.set _ZL29rocblas_internal_gemmt_kernelIlLi16ELi32ELi8ELc67ELc67ELc85ELb0ELb0EfPKfPKS1_PKPfEviT_T9_T10_S7_lS9_S7_lS8_T11_S7_li.num_vgpr, 50
	.set _ZL29rocblas_internal_gemmt_kernelIlLi16ELi32ELi8ELc67ELc67ELc85ELb0ELb0EfPKfPKS1_PKPfEviT_T9_T10_S7_lS9_S7_lS8_T11_S7_li.num_agpr, 0
	.set _ZL29rocblas_internal_gemmt_kernelIlLi16ELi32ELi8ELc67ELc67ELc85ELb0ELb0EfPKfPKS1_PKPfEviT_T9_T10_S7_lS9_S7_lS8_T11_S7_li.numbered_sgpr, 35
	.set _ZL29rocblas_internal_gemmt_kernelIlLi16ELi32ELi8ELc67ELc67ELc85ELb0ELb0EfPKfPKS1_PKPfEviT_T9_T10_S7_lS9_S7_lS8_T11_S7_li.num_named_barrier, 0
	.set _ZL29rocblas_internal_gemmt_kernelIlLi16ELi32ELi8ELc67ELc67ELc85ELb0ELb0EfPKfPKS1_PKPfEviT_T9_T10_S7_lS9_S7_lS8_T11_S7_li.private_seg_size, 0
	.set _ZL29rocblas_internal_gemmt_kernelIlLi16ELi32ELi8ELc67ELc67ELc85ELb0ELb0EfPKfPKS1_PKPfEviT_T9_T10_S7_lS9_S7_lS8_T11_S7_li.uses_vcc, 1
	.set _ZL29rocblas_internal_gemmt_kernelIlLi16ELi32ELi8ELc67ELc67ELc85ELb0ELb0EfPKfPKS1_PKPfEviT_T9_T10_S7_lS9_S7_lS8_T11_S7_li.uses_flat_scratch, 0
	.set _ZL29rocblas_internal_gemmt_kernelIlLi16ELi32ELi8ELc67ELc67ELc85ELb0ELb0EfPKfPKS1_PKPfEviT_T9_T10_S7_lS9_S7_lS8_T11_S7_li.has_dyn_sized_stack, 0
	.set _ZL29rocblas_internal_gemmt_kernelIlLi16ELi32ELi8ELc67ELc67ELc85ELb0ELb0EfPKfPKS1_PKPfEviT_T9_T10_S7_lS9_S7_lS8_T11_S7_li.has_recursion, 0
	.set _ZL29rocblas_internal_gemmt_kernelIlLi16ELi32ELi8ELc67ELc67ELc85ELb0ELb0EfPKfPKS1_PKPfEviT_T9_T10_S7_lS9_S7_lS8_T11_S7_li.has_indirect_call, 0
	.section	.AMDGPU.csdata,"",@progbits
; Kernel info:
; codeLenInByte = 1304
; TotalNumSgprs: 41
; NumVgprs: 50
; NumAgprs: 0
; TotalNumVgprs: 50
; ScratchSize: 0
; MemoryBound: 0
; FloatMode: 240
; IeeeMode: 1
; LDSByteSize: 2048 bytes/workgroup (compile time only)
; SGPRBlocks: 5
; VGPRBlocks: 6
; NumSGPRsForWavesPerEU: 41
; NumVGPRsForWavesPerEU: 50
; AccumOffset: 52
; Occupancy: 8
; WaveLimiterHint : 1
; COMPUTE_PGM_RSRC2:SCRATCH_EN: 0
; COMPUTE_PGM_RSRC2:USER_SGPR: 2
; COMPUTE_PGM_RSRC2:TRAP_HANDLER: 0
; COMPUTE_PGM_RSRC2:TGID_X_EN: 1
; COMPUTE_PGM_RSRC2:TGID_Y_EN: 1
; COMPUTE_PGM_RSRC2:TGID_Z_EN: 1
; COMPUTE_PGM_RSRC2:TIDIG_COMP_CNT: 1
; COMPUTE_PGM_RSRC3_GFX90A:ACCUM_OFFSET: 12
; COMPUTE_PGM_RSRC3_GFX90A:TG_SPLIT: 0
	.section	.text._ZL29rocblas_internal_gemmt_kernelIlLi16ELi32ELi8ELc78ELc78ELc76ELb0ELb0EfPKfPKS1_PKPfEviT_T9_T10_S7_lS9_S7_lS8_T11_S7_li,"axG",@progbits,_ZL29rocblas_internal_gemmt_kernelIlLi16ELi32ELi8ELc78ELc78ELc76ELb0ELb0EfPKfPKS1_PKPfEviT_T9_T10_S7_lS9_S7_lS8_T11_S7_li,comdat
	.globl	_ZL29rocblas_internal_gemmt_kernelIlLi16ELi32ELi8ELc78ELc78ELc76ELb0ELb0EfPKfPKS1_PKPfEviT_T9_T10_S7_lS9_S7_lS8_T11_S7_li ; -- Begin function _ZL29rocblas_internal_gemmt_kernelIlLi16ELi32ELi8ELc78ELc78ELc76ELb0ELb0EfPKfPKS1_PKPfEviT_T9_T10_S7_lS9_S7_lS8_T11_S7_li
	.p2align	8
	.type	_ZL29rocblas_internal_gemmt_kernelIlLi16ELi32ELi8ELc78ELc78ELc76ELb0ELb0EfPKfPKS1_PKPfEviT_T9_T10_S7_lS9_S7_lS8_T11_S7_li,@function
_ZL29rocblas_internal_gemmt_kernelIlLi16ELi32ELi8ELc78ELc78ELc76ELb0ELb0EfPKfPKS1_PKPfEviT_T9_T10_S7_lS9_S7_lS8_T11_S7_li: ; @_ZL29rocblas_internal_gemmt_kernelIlLi16ELi32ELi8ELc78ELc78ELc76ELb0ELb0EfPKfPKS1_PKPfEviT_T9_T10_S7_lS9_S7_lS8_T11_S7_li
; %bb.0:
	s_load_dwordx8 s[24:31], s[0:1], 0x48
	s_load_dwordx16 s[8:23], s[0:1], 0x8
	s_waitcnt lgkmcnt(0)
	s_load_dword s33, s[24:25], 0x0
	s_load_dword s34, s[10:11], 0x0
	s_waitcnt lgkmcnt(0)
	v_cmp_neq_f32_e64 s[6:7], s33, 1.0
	s_and_b64 vcc, exec, s[6:7]
	s_cbranch_vccnz .LBB441_2
; %bb.1:
	s_cmp_lg_u64 s[8:9], 0
	s_cselect_b64 s[6:7], -1, 0
	v_cmp_neq_f32_e64 s[10:11], s34, 0
	s_and_b64 s[6:7], s[6:7], s[10:11]
.LBB441_2:
	s_andn2_b64 vcc, exec, s[6:7]
	s_cbranch_vccnz .LBB441_28
; %bb.3:
	s_mov_b32 s5, 0
	s_load_dword s24, s[0:1], 0x0
	s_lshl_b64 s[0:1], s[4:5], 3
	s_add_u32 s4, s26, s0
	s_addc_u32 s5, s27, s1
	s_load_dwordx2 s[4:5], s[4:5], 0x0
	s_lshl_b32 s25, s2, 5
	s_lshl_b32 s26, s3, 5
	v_cmp_eq_f32_e64 s[2:3], s34, 0
	v_cmp_lt_i64_e64 s[6:7], s[8:9], 1
	v_mov_b32_e32 v3, 0
	s_or_b64 s[2:3], s[2:3], s[6:7]
	v_and_b32_e32 v5, 0x3ff, v0
	v_bfe_u32 v7, v0, 10, 10
	s_and_b64 vcc, exec, s[2:3]
	v_mov_b32_e32 v2, v3
	v_mov_b32_e32 v1, v3
	v_mov_b32_e32 v0, v3
	s_cbranch_vccnz .LBB441_12
; %bb.4:
	s_add_u32 s2, s18, s0
	s_addc_u32 s3, s19, s1
	s_load_dwordx2 s[2:3], s[2:3], 0x0
	s_lshl_b64 s[6:7], s[22:23], 2
	v_lshl_add_u32 v0, v7, 4, v5
	v_and_b32_e32 v1, 31, v0
	v_lshrrev_b32_e32 v6, 5, v0
	s_waitcnt lgkmcnt(0)
	s_add_u32 s6, s2, s6
	s_addc_u32 s7, s3, s7
	s_add_u32 s0, s12, s0
	s_addc_u32 s1, s13, s1
	s_load_dwordx2 s[0:1], s[0:1], 0x0
	s_lshl_b64 s[2:3], s[16:17], 2
	v_lshrrev_b32_e32 v2, 3, v0
	v_or_b32_e32 v0, s25, v1
	v_lshlrev_b32_e32 v1, 2, v1
	s_waitcnt lgkmcnt(0)
	s_add_u32 s2, s0, s2
	v_and_b32_e32 v4, 7, v5
	s_addc_u32 s3, s1, s3
	v_lshl_or_b32 v14, v6, 7, v1
	v_ashrrev_i32_e32 v1, 31, v0
	v_cmp_gt_i32_e64 s[0:1], s24, v0
	v_lshl_add_u64 v[8:9], v[0:1], 2, s[2:3]
	v_lshlrev_b32_e32 v0, 2, v4
	v_add_u32_e32 v3, s26, v2
	v_lshl_or_b32 v0, v2, 5, v0
	v_add_u32_e32 v15, 0x400, v0
	v_ashrrev_i32_e32 v0, 31, v3
	v_mul_lo_u32 v2, s20, v0
	v_mul_lo_u32 v10, s21, v3
	v_mad_u64_u32 v[0:1], s[10:11], s20, v3, 0
	v_add3_u32 v1, v1, v2, v10
	v_lshl_add_u64 v[10:11], v[0:1], 2, s[6:7]
	v_mov_b32_e32 v0, 0x400
	v_mov_b32_e32 v13, 0
	v_cmp_gt_i32_e64 s[2:3], s24, v3
	v_lshlrev_b32_e32 v16, 2, v5
	v_lshl_add_u32 v17, v7, 5, v0
	s_mov_b64 s[6:7], 0
	v_mov_b32_e32 v0, v13
	v_mov_b32_e32 v1, v13
	;; [unrolled: 1-line block ×4, first 2 shown]
	s_branch .LBB441_6
.LBB441_5:                              ;   in Loop: Header=BB441_6 Depth=1
	s_or_b64 exec, exec, s[10:11]
	s_waitcnt vmcnt(0) lgkmcnt(0)
	ds_write_b32 v15, v18
	s_waitcnt lgkmcnt(0)
	s_barrier
	ds_read_b128 v[18:21], v17
	ds_read_b128 v[22:25], v17 offset:16
	ds_read2_b32 v[34:35], v16 offset1:16
	ds_read2_b32 v[36:37], v16 offset0:32 offset1:48
	ds_read2_b32 v[38:39], v16 offset0:64 offset1:80
	;; [unrolled: 1-line block ×4, first 2 shown]
	ds_read_b128 v[26:29], v17 offset:512
	ds_read_b128 v[30:33], v17 offset:528
	ds_read2_b32 v[44:45], v16 offset0:160 offset1:176
	ds_read2_b32 v[46:47], v16 offset0:192 offset1:208
	;; [unrolled: 1-line block ×3, first 2 shown]
	s_waitcnt lgkmcnt(9)
	v_pk_fma_f32 v[2:3], v[34:35], v[18:19], v[2:3] op_sel_hi:[1,0,1]
	v_mov_b32_e32 v12, v21
	s_waitcnt lgkmcnt(8)
	v_pk_fma_f32 v[2:3], v[36:37], v[18:19], v[2:3] op_sel:[0,1,0]
	s_waitcnt lgkmcnt(4)
	v_pk_fma_f32 v[0:1], v[34:35], v[26:27], v[0:1] op_sel_hi:[1,0,1]
	v_pk_fma_f32 v[2:3], v[38:39], v[20:21], v[2:3] op_sel_hi:[1,0,1]
	v_pk_fma_f32 v[0:1], v[36:37], v[26:27], v[0:1] op_sel:[0,1,0]
	v_pk_fma_f32 v[2:3], v[40:41], v[12:13], v[2:3] op_sel_hi:[1,0,1]
	v_mov_b32_e32 v12, v25
	v_pk_fma_f32 v[2:3], v[42:43], v[22:23], v[2:3] op_sel_hi:[1,0,1]
	v_pk_fma_f32 v[0:1], v[38:39], v[28:29], v[0:1] op_sel_hi:[1,0,1]
	s_waitcnt lgkmcnt(2)
	v_pk_fma_f32 v[2:3], v[44:45], v[22:23], v[2:3] op_sel:[0,1,0]
	s_add_u32 s6, s6, 8
	s_waitcnt lgkmcnt(1)
	v_pk_fma_f32 v[2:3], v[46:47], v[24:25], v[2:3] op_sel_hi:[1,0,1]
	s_addc_u32 s7, s7, 0
	s_waitcnt lgkmcnt(0)
	v_pk_fma_f32 v[2:3], v[48:49], v[12:13], v[2:3] op_sel_hi:[1,0,1]
	v_mov_b32_e32 v12, v29
	v_pk_fma_f32 v[0:1], v[40:41], v[12:13], v[0:1] op_sel_hi:[1,0,1]
	v_mov_b64_e32 v[18:19], s[6:7]
	v_pk_fma_f32 v[0:1], v[42:43], v[30:31], v[0:1] op_sel_hi:[1,0,1]
	v_mov_b32_e32 v12, v33
	v_pk_fma_f32 v[0:1], v[44:45], v[30:31], v[0:1] op_sel:[0,1,0]
	v_cmp_gt_i64_e32 vcc, s[8:9], v[18:19]
	v_pk_fma_f32 v[0:1], v[46:47], v[32:33], v[0:1] op_sel_hi:[1,0,1]
	s_nop 0
	v_pk_fma_f32 v[0:1], v[48:49], v[12:13], v[0:1] op_sel_hi:[1,0,1]
	s_barrier
	s_cbranch_vccz .LBB441_12
.LBB441_6:                              ; =>This Inner Loop Header: Depth=1
	v_mov_b32_e32 v18, 0
	s_and_saveexec_b64 s[10:11], s[0:1]
	s_cbranch_execz .LBB441_10
; %bb.7:                                ;   in Loop: Header=BB441_6 Depth=1
	v_add_u32_e32 v12, s6, v6
	v_cmp_gt_u64_e32 vcc, s[8:9], v[12:13]
	v_mov_b32_e32 v18, 0
	s_and_saveexec_b64 s[12:13], vcc
	s_cbranch_execz .LBB441_9
; %bb.8:                                ;   in Loop: Header=BB441_6 Depth=1
	v_mad_u64_u32 v[18:19], s[16:17], s14, v12, 0
	v_mov_b32_e32 v20, v19
	v_mad_u64_u32 v[20:21], s[16:17], s15, v12, v[20:21]
	v_mov_b32_e32 v19, v20
	v_lshl_add_u64 v[18:19], v[18:19], 2, v[8:9]
	flat_load_dword v18, v[18:19]
.LBB441_9:                              ;   in Loop: Header=BB441_6 Depth=1
	s_or_b64 exec, exec, s[12:13]
.LBB441_10:                             ;   in Loop: Header=BB441_6 Depth=1
	s_or_b64 exec, exec, s[10:11]
	v_add_u32_e32 v12, s6, v4
	v_cmp_gt_u64_e32 vcc, s[8:9], v[12:13]
	s_waitcnt vmcnt(0) lgkmcnt(0)
	ds_write_b32 v14, v18
	s_and_b64 s[12:13], vcc, s[2:3]
	v_mov_b32_e32 v18, 0
	s_and_saveexec_b64 s[10:11], s[12:13]
	s_cbranch_execz .LBB441_5
; %bb.11:                               ;   in Loop: Header=BB441_6 Depth=1
	v_lshl_add_u64 v[18:19], v[12:13], 2, v[10:11]
	flat_load_dword v18, v[18:19]
	s_branch .LBB441_5
.LBB441_12:
	s_lshl_b64 s[0:1], s[30:31], 2
	v_add_u32_e32 v10, s26, v7
	s_waitcnt lgkmcnt(0)
	s_add_u32 s6, s4, s0
	v_add_u32_e32 v4, s25, v5
	v_ashrrev_i32_e32 v5, 31, v10
	s_addc_u32 s7, s5, s1
	v_mul_lo_u32 v5, s28, v5
	v_mul_lo_u32 v8, s29, v10
	v_mad_u64_u32 v[6:7], s[0:1], s28, v10, 0
	v_add3_u32 v7, v7, v5, v8
	v_cmp_neq_f32_e64 s[0:1], s33, 0
	v_lshl_add_u64 v[8:9], v[6:7], 2, s[6:7]
	v_cmp_le_i32_e32 vcc, v10, v4
	v_cmp_gt_i32_e64 s[2:3], s24, v4
	v_cndmask_b32_e64 v6, 0, 1, s[0:1]
	s_and_b64 s[8:9], vcc, s[2:3]
	v_ashrrev_i32_e32 v5, 31, v4
	v_cmp_ne_u32_e64 s[0:1], 1, v6
	s_and_saveexec_b64 s[4:5], s[8:9]
	s_cbranch_execz .LBB441_16
; %bb.13:
	v_mul_f32_e32 v2, s34, v2
	s_and_b64 vcc, exec, s[0:1]
	v_lshl_add_u64 v[6:7], v[4:5], 2, v[8:9]
	s_cbranch_vccnz .LBB441_15
; %bb.14:
	flat_load_dword v11, v[6:7]
	s_waitcnt vmcnt(0) lgkmcnt(0)
	v_fmac_f32_e32 v2, s33, v11
.LBB441_15:
	flat_store_dword v[6:7], v2
.LBB441_16:
	s_or_b64 exec, exec, s[4:5]
	v_add_u32_e32 v6, 16, v4
	v_cmp_le_i32_e32 vcc, v10, v6
	v_cmp_gt_i32_e64 s[4:5], s24, v6
	s_and_b64 s[10:11], vcc, s[4:5]
	v_ashrrev_i32_e32 v7, 31, v6
	s_and_saveexec_b64 s[8:9], s[10:11]
	s_cbranch_execz .LBB441_20
; %bb.17:
	v_mul_f32_e32 v11, s34, v3
	s_and_b64 vcc, exec, s[0:1]
	v_lshl_add_u64 v[2:3], v[6:7], 2, v[8:9]
	s_cbranch_vccnz .LBB441_19
; %bb.18:
	flat_load_dword v8, v[2:3]
	s_waitcnt vmcnt(0) lgkmcnt(0)
	v_fmac_f32_e32 v11, s33, v8
.LBB441_19:
	flat_store_dword v[2:3], v11
.LBB441_20:
	s_or_b64 exec, exec, s[8:9]
	v_add_u32_e32 v8, 16, v10
	v_ashrrev_i32_e32 v2, 31, v8
	v_mul_lo_u32 v9, s28, v2
	v_mul_lo_u32 v10, s29, v8
	v_mad_u64_u32 v[2:3], s[8:9], s28, v8, 0
	v_add3_u32 v3, v3, v9, v10
	v_cmp_le_i32_e32 vcc, v8, v4
	v_lshl_add_u64 v[2:3], v[2:3], 2, s[6:7]
	s_and_b64 s[6:7], vcc, s[2:3]
	s_and_saveexec_b64 s[2:3], s[6:7]
	s_cbranch_execz .LBB441_24
; %bb.21:
	v_mul_f32_e32 v0, s34, v0
	s_and_b64 vcc, exec, s[0:1]
	v_lshl_add_u64 v[4:5], v[4:5], 2, v[2:3]
	s_cbranch_vccnz .LBB441_23
; %bb.22:
	flat_load_dword v9, v[4:5]
	s_waitcnt vmcnt(0) lgkmcnt(0)
	v_fmac_f32_e32 v0, s33, v9
.LBB441_23:
	flat_store_dword v[4:5], v0
.LBB441_24:
	s_or_b64 exec, exec, s[2:3]
	v_cmp_le_i32_e32 vcc, v8, v6
	s_and_b64 s[2:3], vcc, s[4:5]
	s_and_saveexec_b64 s[4:5], s[2:3]
	s_cbranch_execz .LBB441_28
; %bb.25:
	v_mul_f32_e32 v4, s34, v1
	s_and_b64 vcc, exec, s[0:1]
	v_lshl_add_u64 v[0:1], v[6:7], 2, v[2:3]
	s_cbranch_vccnz .LBB441_27
; %bb.26:
	flat_load_dword v2, v[0:1]
	s_waitcnt vmcnt(0) lgkmcnt(0)
	v_fmac_f32_e32 v4, s33, v2
.LBB441_27:
	flat_store_dword v[0:1], v4
.LBB441_28:
	s_endpgm
	.section	.rodata,"a",@progbits
	.p2align	6, 0x0
	.amdhsa_kernel _ZL29rocblas_internal_gemmt_kernelIlLi16ELi32ELi8ELc78ELc78ELc76ELb0ELb0EfPKfPKS1_PKPfEviT_T9_T10_S7_lS9_S7_lS8_T11_S7_li
		.amdhsa_group_segment_fixed_size 2048
		.amdhsa_private_segment_fixed_size 0
		.amdhsa_kernarg_size 108
		.amdhsa_user_sgpr_count 2
		.amdhsa_user_sgpr_dispatch_ptr 0
		.amdhsa_user_sgpr_queue_ptr 0
		.amdhsa_user_sgpr_kernarg_segment_ptr 1
		.amdhsa_user_sgpr_dispatch_id 0
		.amdhsa_user_sgpr_kernarg_preload_length 0
		.amdhsa_user_sgpr_kernarg_preload_offset 0
		.amdhsa_user_sgpr_private_segment_size 0
		.amdhsa_uses_dynamic_stack 0
		.amdhsa_enable_private_segment 0
		.amdhsa_system_sgpr_workgroup_id_x 1
		.amdhsa_system_sgpr_workgroup_id_y 1
		.amdhsa_system_sgpr_workgroup_id_z 1
		.amdhsa_system_sgpr_workgroup_info 0
		.amdhsa_system_vgpr_workitem_id 1
		.amdhsa_next_free_vgpr 50
		.amdhsa_next_free_sgpr 35
		.amdhsa_accum_offset 52
		.amdhsa_reserve_vcc 1
		.amdhsa_float_round_mode_32 0
		.amdhsa_float_round_mode_16_64 0
		.amdhsa_float_denorm_mode_32 3
		.amdhsa_float_denorm_mode_16_64 3
		.amdhsa_dx10_clamp 1
		.amdhsa_ieee_mode 1
		.amdhsa_fp16_overflow 0
		.amdhsa_tg_split 0
		.amdhsa_exception_fp_ieee_invalid_op 0
		.amdhsa_exception_fp_denorm_src 0
		.amdhsa_exception_fp_ieee_div_zero 0
		.amdhsa_exception_fp_ieee_overflow 0
		.amdhsa_exception_fp_ieee_underflow 0
		.amdhsa_exception_fp_ieee_inexact 0
		.amdhsa_exception_int_div_zero 0
	.end_amdhsa_kernel
	.section	.text._ZL29rocblas_internal_gemmt_kernelIlLi16ELi32ELi8ELc78ELc78ELc76ELb0ELb0EfPKfPKS1_PKPfEviT_T9_T10_S7_lS9_S7_lS8_T11_S7_li,"axG",@progbits,_ZL29rocblas_internal_gemmt_kernelIlLi16ELi32ELi8ELc78ELc78ELc76ELb0ELb0EfPKfPKS1_PKPfEviT_T9_T10_S7_lS9_S7_lS8_T11_S7_li,comdat
.Lfunc_end441:
	.size	_ZL29rocblas_internal_gemmt_kernelIlLi16ELi32ELi8ELc78ELc78ELc76ELb0ELb0EfPKfPKS1_PKPfEviT_T9_T10_S7_lS9_S7_lS8_T11_S7_li, .Lfunc_end441-_ZL29rocblas_internal_gemmt_kernelIlLi16ELi32ELi8ELc78ELc78ELc76ELb0ELb0EfPKfPKS1_PKPfEviT_T9_T10_S7_lS9_S7_lS8_T11_S7_li
                                        ; -- End function
	.set _ZL29rocblas_internal_gemmt_kernelIlLi16ELi32ELi8ELc78ELc78ELc76ELb0ELb0EfPKfPKS1_PKPfEviT_T9_T10_S7_lS9_S7_lS8_T11_S7_li.num_vgpr, 50
	.set _ZL29rocblas_internal_gemmt_kernelIlLi16ELi32ELi8ELc78ELc78ELc76ELb0ELb0EfPKfPKS1_PKPfEviT_T9_T10_S7_lS9_S7_lS8_T11_S7_li.num_agpr, 0
	.set _ZL29rocblas_internal_gemmt_kernelIlLi16ELi32ELi8ELc78ELc78ELc76ELb0ELb0EfPKfPKS1_PKPfEviT_T9_T10_S7_lS9_S7_lS8_T11_S7_li.numbered_sgpr, 35
	.set _ZL29rocblas_internal_gemmt_kernelIlLi16ELi32ELi8ELc78ELc78ELc76ELb0ELb0EfPKfPKS1_PKPfEviT_T9_T10_S7_lS9_S7_lS8_T11_S7_li.num_named_barrier, 0
	.set _ZL29rocblas_internal_gemmt_kernelIlLi16ELi32ELi8ELc78ELc78ELc76ELb0ELb0EfPKfPKS1_PKPfEviT_T9_T10_S7_lS9_S7_lS8_T11_S7_li.private_seg_size, 0
	.set _ZL29rocblas_internal_gemmt_kernelIlLi16ELi32ELi8ELc78ELc78ELc76ELb0ELb0EfPKfPKS1_PKPfEviT_T9_T10_S7_lS9_S7_lS8_T11_S7_li.uses_vcc, 1
	.set _ZL29rocblas_internal_gemmt_kernelIlLi16ELi32ELi8ELc78ELc78ELc76ELb0ELb0EfPKfPKS1_PKPfEviT_T9_T10_S7_lS9_S7_lS8_T11_S7_li.uses_flat_scratch, 0
	.set _ZL29rocblas_internal_gemmt_kernelIlLi16ELi32ELi8ELc78ELc78ELc76ELb0ELb0EfPKfPKS1_PKPfEviT_T9_T10_S7_lS9_S7_lS8_T11_S7_li.has_dyn_sized_stack, 0
	.set _ZL29rocblas_internal_gemmt_kernelIlLi16ELi32ELi8ELc78ELc78ELc76ELb0ELb0EfPKfPKS1_PKPfEviT_T9_T10_S7_lS9_S7_lS8_T11_S7_li.has_recursion, 0
	.set _ZL29rocblas_internal_gemmt_kernelIlLi16ELi32ELi8ELc78ELc78ELc76ELb0ELb0EfPKfPKS1_PKPfEviT_T9_T10_S7_lS9_S7_lS8_T11_S7_li.has_indirect_call, 0
	.section	.AMDGPU.csdata,"",@progbits
; Kernel info:
; codeLenInByte = 1308
; TotalNumSgprs: 41
; NumVgprs: 50
; NumAgprs: 0
; TotalNumVgprs: 50
; ScratchSize: 0
; MemoryBound: 0
; FloatMode: 240
; IeeeMode: 1
; LDSByteSize: 2048 bytes/workgroup (compile time only)
; SGPRBlocks: 5
; VGPRBlocks: 6
; NumSGPRsForWavesPerEU: 41
; NumVGPRsForWavesPerEU: 50
; AccumOffset: 52
; Occupancy: 8
; WaveLimiterHint : 1
; COMPUTE_PGM_RSRC2:SCRATCH_EN: 0
; COMPUTE_PGM_RSRC2:USER_SGPR: 2
; COMPUTE_PGM_RSRC2:TRAP_HANDLER: 0
; COMPUTE_PGM_RSRC2:TGID_X_EN: 1
; COMPUTE_PGM_RSRC2:TGID_Y_EN: 1
; COMPUTE_PGM_RSRC2:TGID_Z_EN: 1
; COMPUTE_PGM_RSRC2:TIDIG_COMP_CNT: 1
; COMPUTE_PGM_RSRC3_GFX90A:ACCUM_OFFSET: 12
; COMPUTE_PGM_RSRC3_GFX90A:TG_SPLIT: 0
	.section	.text._ZL29rocblas_internal_gemmt_kernelIlLi16ELi32ELi8ELc78ELc84ELc76ELb0ELb0EfPKfPKS1_PKPfEviT_T9_T10_S7_lS9_S7_lS8_T11_S7_li,"axG",@progbits,_ZL29rocblas_internal_gemmt_kernelIlLi16ELi32ELi8ELc78ELc84ELc76ELb0ELb0EfPKfPKS1_PKPfEviT_T9_T10_S7_lS9_S7_lS8_T11_S7_li,comdat
	.globl	_ZL29rocblas_internal_gemmt_kernelIlLi16ELi32ELi8ELc78ELc84ELc76ELb0ELb0EfPKfPKS1_PKPfEviT_T9_T10_S7_lS9_S7_lS8_T11_S7_li ; -- Begin function _ZL29rocblas_internal_gemmt_kernelIlLi16ELi32ELi8ELc78ELc84ELc76ELb0ELb0EfPKfPKS1_PKPfEviT_T9_T10_S7_lS9_S7_lS8_T11_S7_li
	.p2align	8
	.type	_ZL29rocblas_internal_gemmt_kernelIlLi16ELi32ELi8ELc78ELc84ELc76ELb0ELb0EfPKfPKS1_PKPfEviT_T9_T10_S7_lS9_S7_lS8_T11_S7_li,@function
_ZL29rocblas_internal_gemmt_kernelIlLi16ELi32ELi8ELc78ELc84ELc76ELb0ELb0EfPKfPKS1_PKPfEviT_T9_T10_S7_lS9_S7_lS8_T11_S7_li: ; @_ZL29rocblas_internal_gemmt_kernelIlLi16ELi32ELi8ELc78ELc84ELc76ELb0ELb0EfPKfPKS1_PKPfEviT_T9_T10_S7_lS9_S7_lS8_T11_S7_li
; %bb.0:
	s_load_dwordx8 s[24:31], s[0:1], 0x48
	s_load_dwordx16 s[8:23], s[0:1], 0x8
	s_waitcnt lgkmcnt(0)
	s_load_dword s33, s[24:25], 0x0
	s_load_dword s34, s[10:11], 0x0
	s_waitcnt lgkmcnt(0)
	v_cmp_neq_f32_e64 s[6:7], s33, 1.0
	s_and_b64 vcc, exec, s[6:7]
	s_cbranch_vccnz .LBB442_2
; %bb.1:
	s_cmp_lg_u64 s[8:9], 0
	s_cselect_b64 s[6:7], -1, 0
	v_cmp_neq_f32_e64 s[10:11], s34, 0
	s_and_b64 s[6:7], s[6:7], s[10:11]
.LBB442_2:
	s_andn2_b64 vcc, exec, s[6:7]
	s_cbranch_vccnz .LBB442_28
; %bb.3:
	s_mov_b32 s5, 0
	s_load_dword s24, s[0:1], 0x0
	s_lshl_b64 s[0:1], s[4:5], 3
	s_add_u32 s4, s26, s0
	s_addc_u32 s5, s27, s1
	s_load_dwordx2 s[4:5], s[4:5], 0x0
	s_lshl_b32 s25, s2, 5
	s_lshl_b32 s26, s3, 5
	v_cmp_eq_f32_e64 s[2:3], s34, 0
	v_cmp_lt_i64_e64 s[6:7], s[8:9], 1
	v_mov_b32_e32 v3, 0
	s_or_b64 s[2:3], s[2:3], s[6:7]
	v_and_b32_e32 v5, 0x3ff, v0
	v_bfe_u32 v7, v0, 10, 10
	s_and_b64 vcc, exec, s[2:3]
	v_mov_b32_e32 v2, v3
	v_mov_b32_e32 v1, v3
	;; [unrolled: 1-line block ×3, first 2 shown]
	s_cbranch_vccnz .LBB442_12
; %bb.4:
	s_add_u32 s2, s18, s0
	s_addc_u32 s3, s19, s1
	s_load_dwordx2 s[2:3], s[2:3], 0x0
	s_lshl_b64 s[6:7], s[22:23], 2
	v_lshl_add_u32 v1, v7, 4, v5
	v_lshrrev_b32_e32 v6, 5, v1
	v_lshrrev_b32_e32 v10, 3, v1
	s_waitcnt lgkmcnt(0)
	s_add_u32 s6, s2, s6
	s_addc_u32 s7, s3, s7
	s_add_u32 s0, s12, s0
	s_addc_u32 s1, s13, s1
	s_load_dwordx2 s[0:1], s[0:1], 0x0
	v_and_b32_e32 v1, 31, v1
	v_and_b32_e32 v4, 7, v5
	v_or_b32_e32 v2, s25, v1
	v_lshlrev_b32_e32 v1, 2, v1
	s_lshl_b64 s[2:3], s[16:17], 2
	v_lshl_or_b32 v14, v6, 7, v1
	v_lshlrev_b32_e32 v1, 2, v4
	v_add_u32_e32 v0, s26, v10
	s_waitcnt lgkmcnt(0)
	s_add_u32 s2, s0, s2
	v_lshl_or_b32 v1, v10, 5, v1
	s_addc_u32 s3, s1, s3
	v_ashrrev_i32_e32 v3, 31, v2
	v_add_u32_e32 v15, 0x400, v1
	v_ashrrev_i32_e32 v1, 31, v0
	v_lshl_add_u64 v[8:9], v[2:3], 2, s[2:3]
	v_cmp_gt_i32_e64 s[2:3], s24, v0
	v_lshl_add_u64 v[10:11], v[0:1], 2, s[6:7]
	v_mov_b32_e32 v0, 0x400
	v_mov_b32_e32 v13, 0
	v_cmp_gt_i32_e64 s[0:1], s24, v2
	v_lshlrev_b32_e32 v16, 2, v5
	v_lshl_add_u32 v17, v7, 5, v0
	s_mov_b64 s[6:7], 0
	v_mov_b32_e32 v0, v13
	v_mov_b32_e32 v1, v13
	;; [unrolled: 1-line block ×4, first 2 shown]
	s_branch .LBB442_6
.LBB442_5:                              ;   in Loop: Header=BB442_6 Depth=1
	s_or_b64 exec, exec, s[10:11]
	s_waitcnt vmcnt(0) lgkmcnt(0)
	ds_write_b32 v15, v18
	s_waitcnt lgkmcnt(0)
	s_barrier
	ds_read_b128 v[18:21], v17
	ds_read_b128 v[22:25], v17 offset:16
	ds_read2_b32 v[34:35], v16 offset1:16
	ds_read2_b32 v[36:37], v16 offset0:32 offset1:48
	ds_read2_b32 v[38:39], v16 offset0:64 offset1:80
	;; [unrolled: 1-line block ×4, first 2 shown]
	ds_read_b128 v[26:29], v17 offset:512
	ds_read_b128 v[30:33], v17 offset:528
	ds_read2_b32 v[44:45], v16 offset0:160 offset1:176
	ds_read2_b32 v[46:47], v16 offset0:192 offset1:208
	;; [unrolled: 1-line block ×3, first 2 shown]
	s_waitcnt lgkmcnt(9)
	v_pk_fma_f32 v[2:3], v[34:35], v[18:19], v[2:3] op_sel_hi:[1,0,1]
	v_mov_b32_e32 v12, v21
	s_waitcnt lgkmcnt(8)
	v_pk_fma_f32 v[2:3], v[36:37], v[18:19], v[2:3] op_sel:[0,1,0]
	s_waitcnt lgkmcnt(4)
	v_pk_fma_f32 v[0:1], v[34:35], v[26:27], v[0:1] op_sel_hi:[1,0,1]
	v_pk_fma_f32 v[2:3], v[38:39], v[20:21], v[2:3] op_sel_hi:[1,0,1]
	v_pk_fma_f32 v[0:1], v[36:37], v[26:27], v[0:1] op_sel:[0,1,0]
	v_pk_fma_f32 v[2:3], v[40:41], v[12:13], v[2:3] op_sel_hi:[1,0,1]
	v_mov_b32_e32 v12, v25
	v_pk_fma_f32 v[2:3], v[42:43], v[22:23], v[2:3] op_sel_hi:[1,0,1]
	v_pk_fma_f32 v[0:1], v[38:39], v[28:29], v[0:1] op_sel_hi:[1,0,1]
	s_waitcnt lgkmcnt(2)
	v_pk_fma_f32 v[2:3], v[44:45], v[22:23], v[2:3] op_sel:[0,1,0]
	s_add_u32 s6, s6, 8
	s_waitcnt lgkmcnt(1)
	v_pk_fma_f32 v[2:3], v[46:47], v[24:25], v[2:3] op_sel_hi:[1,0,1]
	s_addc_u32 s7, s7, 0
	s_waitcnt lgkmcnt(0)
	v_pk_fma_f32 v[2:3], v[48:49], v[12:13], v[2:3] op_sel_hi:[1,0,1]
	v_mov_b32_e32 v12, v29
	v_pk_fma_f32 v[0:1], v[40:41], v[12:13], v[0:1] op_sel_hi:[1,0,1]
	v_mov_b64_e32 v[18:19], s[6:7]
	v_pk_fma_f32 v[0:1], v[42:43], v[30:31], v[0:1] op_sel_hi:[1,0,1]
	v_mov_b32_e32 v12, v33
	v_pk_fma_f32 v[0:1], v[44:45], v[30:31], v[0:1] op_sel:[0,1,0]
	v_cmp_gt_i64_e32 vcc, s[8:9], v[18:19]
	v_pk_fma_f32 v[0:1], v[46:47], v[32:33], v[0:1] op_sel_hi:[1,0,1]
	s_nop 0
	v_pk_fma_f32 v[0:1], v[48:49], v[12:13], v[0:1] op_sel_hi:[1,0,1]
	s_barrier
	s_cbranch_vccz .LBB442_12
.LBB442_6:                              ; =>This Inner Loop Header: Depth=1
	v_mov_b32_e32 v18, 0
	s_and_saveexec_b64 s[10:11], s[0:1]
	s_cbranch_execz .LBB442_10
; %bb.7:                                ;   in Loop: Header=BB442_6 Depth=1
	v_add_u32_e32 v12, s6, v6
	v_cmp_gt_u64_e32 vcc, s[8:9], v[12:13]
	v_mov_b32_e32 v18, 0
	s_and_saveexec_b64 s[12:13], vcc
	s_cbranch_execz .LBB442_9
; %bb.8:                                ;   in Loop: Header=BB442_6 Depth=1
	v_mad_u64_u32 v[18:19], s[16:17], s14, v12, 0
	v_mov_b32_e32 v20, v19
	v_mad_u64_u32 v[20:21], s[16:17], s15, v12, v[20:21]
	v_mov_b32_e32 v19, v20
	v_lshl_add_u64 v[18:19], v[18:19], 2, v[8:9]
	flat_load_dword v18, v[18:19]
.LBB442_9:                              ;   in Loop: Header=BB442_6 Depth=1
	s_or_b64 exec, exec, s[12:13]
.LBB442_10:                             ;   in Loop: Header=BB442_6 Depth=1
	s_or_b64 exec, exec, s[10:11]
	v_add_u32_e32 v12, s6, v4
	v_cmp_gt_u64_e32 vcc, s[8:9], v[12:13]
	s_waitcnt vmcnt(0) lgkmcnt(0)
	ds_write_b32 v14, v18
	s_and_b64 s[12:13], vcc, s[2:3]
	v_mov_b32_e32 v18, 0
	s_and_saveexec_b64 s[10:11], s[12:13]
	s_cbranch_execz .LBB442_5
; %bb.11:                               ;   in Loop: Header=BB442_6 Depth=1
	v_mad_u64_u32 v[18:19], s[12:13], s20, v12, 0
	v_mov_b32_e32 v20, v19
	v_mad_u64_u32 v[20:21], s[12:13], s21, v12, v[20:21]
	v_mov_b32_e32 v19, v20
	v_lshl_add_u64 v[18:19], v[18:19], 2, v[10:11]
	flat_load_dword v18, v[18:19]
	s_branch .LBB442_5
.LBB442_12:
	s_lshl_b64 s[0:1], s[30:31], 2
	v_add_u32_e32 v10, s26, v7
	s_waitcnt lgkmcnt(0)
	s_add_u32 s6, s4, s0
	v_add_u32_e32 v4, s25, v5
	v_ashrrev_i32_e32 v5, 31, v10
	s_addc_u32 s7, s5, s1
	v_mul_lo_u32 v5, s28, v5
	v_mul_lo_u32 v8, s29, v10
	v_mad_u64_u32 v[6:7], s[0:1], s28, v10, 0
	v_add3_u32 v7, v7, v5, v8
	v_cmp_neq_f32_e64 s[0:1], s33, 0
	v_lshl_add_u64 v[8:9], v[6:7], 2, s[6:7]
	v_cmp_le_i32_e32 vcc, v10, v4
	v_cmp_gt_i32_e64 s[2:3], s24, v4
	v_cndmask_b32_e64 v6, 0, 1, s[0:1]
	s_and_b64 s[8:9], vcc, s[2:3]
	v_ashrrev_i32_e32 v5, 31, v4
	v_cmp_ne_u32_e64 s[0:1], 1, v6
	s_and_saveexec_b64 s[4:5], s[8:9]
	s_cbranch_execz .LBB442_16
; %bb.13:
	v_mul_f32_e32 v2, s34, v2
	s_and_b64 vcc, exec, s[0:1]
	v_lshl_add_u64 v[6:7], v[4:5], 2, v[8:9]
	s_cbranch_vccnz .LBB442_15
; %bb.14:
	flat_load_dword v11, v[6:7]
	s_waitcnt vmcnt(0) lgkmcnt(0)
	v_fmac_f32_e32 v2, s33, v11
.LBB442_15:
	flat_store_dword v[6:7], v2
.LBB442_16:
	s_or_b64 exec, exec, s[4:5]
	v_add_u32_e32 v6, 16, v4
	v_cmp_le_i32_e32 vcc, v10, v6
	v_cmp_gt_i32_e64 s[4:5], s24, v6
	s_and_b64 s[10:11], vcc, s[4:5]
	v_ashrrev_i32_e32 v7, 31, v6
	s_and_saveexec_b64 s[8:9], s[10:11]
	s_cbranch_execz .LBB442_20
; %bb.17:
	v_mul_f32_e32 v11, s34, v3
	s_and_b64 vcc, exec, s[0:1]
	v_lshl_add_u64 v[2:3], v[6:7], 2, v[8:9]
	s_cbranch_vccnz .LBB442_19
; %bb.18:
	flat_load_dword v8, v[2:3]
	s_waitcnt vmcnt(0) lgkmcnt(0)
	v_fmac_f32_e32 v11, s33, v8
.LBB442_19:
	flat_store_dword v[2:3], v11
.LBB442_20:
	s_or_b64 exec, exec, s[8:9]
	v_add_u32_e32 v8, 16, v10
	v_ashrrev_i32_e32 v2, 31, v8
	v_mul_lo_u32 v9, s28, v2
	v_mul_lo_u32 v10, s29, v8
	v_mad_u64_u32 v[2:3], s[8:9], s28, v8, 0
	v_add3_u32 v3, v3, v9, v10
	v_cmp_le_i32_e32 vcc, v8, v4
	v_lshl_add_u64 v[2:3], v[2:3], 2, s[6:7]
	s_and_b64 s[6:7], vcc, s[2:3]
	s_and_saveexec_b64 s[2:3], s[6:7]
	s_cbranch_execz .LBB442_24
; %bb.21:
	v_mul_f32_e32 v0, s34, v0
	s_and_b64 vcc, exec, s[0:1]
	v_lshl_add_u64 v[4:5], v[4:5], 2, v[2:3]
	s_cbranch_vccnz .LBB442_23
; %bb.22:
	flat_load_dword v9, v[4:5]
	s_waitcnt vmcnt(0) lgkmcnt(0)
	v_fmac_f32_e32 v0, s33, v9
.LBB442_23:
	flat_store_dword v[4:5], v0
.LBB442_24:
	s_or_b64 exec, exec, s[2:3]
	v_cmp_le_i32_e32 vcc, v8, v6
	s_and_b64 s[2:3], vcc, s[4:5]
	s_and_saveexec_b64 s[4:5], s[2:3]
	s_cbranch_execz .LBB442_28
; %bb.25:
	v_mul_f32_e32 v4, s34, v1
	s_and_b64 vcc, exec, s[0:1]
	v_lshl_add_u64 v[0:1], v[6:7], 2, v[2:3]
	s_cbranch_vccnz .LBB442_27
; %bb.26:
	flat_load_dword v2, v[0:1]
	s_waitcnt vmcnt(0) lgkmcnt(0)
	v_fmac_f32_e32 v4, s33, v2
.LBB442_27:
	flat_store_dword v[0:1], v4
.LBB442_28:
	s_endpgm
	.section	.rodata,"a",@progbits
	.p2align	6, 0x0
	.amdhsa_kernel _ZL29rocblas_internal_gemmt_kernelIlLi16ELi32ELi8ELc78ELc84ELc76ELb0ELb0EfPKfPKS1_PKPfEviT_T9_T10_S7_lS9_S7_lS8_T11_S7_li
		.amdhsa_group_segment_fixed_size 2048
		.amdhsa_private_segment_fixed_size 0
		.amdhsa_kernarg_size 108
		.amdhsa_user_sgpr_count 2
		.amdhsa_user_sgpr_dispatch_ptr 0
		.amdhsa_user_sgpr_queue_ptr 0
		.amdhsa_user_sgpr_kernarg_segment_ptr 1
		.amdhsa_user_sgpr_dispatch_id 0
		.amdhsa_user_sgpr_kernarg_preload_length 0
		.amdhsa_user_sgpr_kernarg_preload_offset 0
		.amdhsa_user_sgpr_private_segment_size 0
		.amdhsa_uses_dynamic_stack 0
		.amdhsa_enable_private_segment 0
		.amdhsa_system_sgpr_workgroup_id_x 1
		.amdhsa_system_sgpr_workgroup_id_y 1
		.amdhsa_system_sgpr_workgroup_id_z 1
		.amdhsa_system_sgpr_workgroup_info 0
		.amdhsa_system_vgpr_workitem_id 1
		.amdhsa_next_free_vgpr 50
		.amdhsa_next_free_sgpr 35
		.amdhsa_accum_offset 52
		.amdhsa_reserve_vcc 1
		.amdhsa_float_round_mode_32 0
		.amdhsa_float_round_mode_16_64 0
		.amdhsa_float_denorm_mode_32 3
		.amdhsa_float_denorm_mode_16_64 3
		.amdhsa_dx10_clamp 1
		.amdhsa_ieee_mode 1
		.amdhsa_fp16_overflow 0
		.amdhsa_tg_split 0
		.amdhsa_exception_fp_ieee_invalid_op 0
		.amdhsa_exception_fp_denorm_src 0
		.amdhsa_exception_fp_ieee_div_zero 0
		.amdhsa_exception_fp_ieee_overflow 0
		.amdhsa_exception_fp_ieee_underflow 0
		.amdhsa_exception_fp_ieee_inexact 0
		.amdhsa_exception_int_div_zero 0
	.end_amdhsa_kernel
	.section	.text._ZL29rocblas_internal_gemmt_kernelIlLi16ELi32ELi8ELc78ELc84ELc76ELb0ELb0EfPKfPKS1_PKPfEviT_T9_T10_S7_lS9_S7_lS8_T11_S7_li,"axG",@progbits,_ZL29rocblas_internal_gemmt_kernelIlLi16ELi32ELi8ELc78ELc84ELc76ELb0ELb0EfPKfPKS1_PKPfEviT_T9_T10_S7_lS9_S7_lS8_T11_S7_li,comdat
.Lfunc_end442:
	.size	_ZL29rocblas_internal_gemmt_kernelIlLi16ELi32ELi8ELc78ELc84ELc76ELb0ELb0EfPKfPKS1_PKPfEviT_T9_T10_S7_lS9_S7_lS8_T11_S7_li, .Lfunc_end442-_ZL29rocblas_internal_gemmt_kernelIlLi16ELi32ELi8ELc78ELc84ELc76ELb0ELb0EfPKfPKS1_PKPfEviT_T9_T10_S7_lS9_S7_lS8_T11_S7_li
                                        ; -- End function
	.set _ZL29rocblas_internal_gemmt_kernelIlLi16ELi32ELi8ELc78ELc84ELc76ELb0ELb0EfPKfPKS1_PKPfEviT_T9_T10_S7_lS9_S7_lS8_T11_S7_li.num_vgpr, 50
	.set _ZL29rocblas_internal_gemmt_kernelIlLi16ELi32ELi8ELc78ELc84ELc76ELb0ELb0EfPKfPKS1_PKPfEviT_T9_T10_S7_lS9_S7_lS8_T11_S7_li.num_agpr, 0
	.set _ZL29rocblas_internal_gemmt_kernelIlLi16ELi32ELi8ELc78ELc84ELc76ELb0ELb0EfPKfPKS1_PKPfEviT_T9_T10_S7_lS9_S7_lS8_T11_S7_li.numbered_sgpr, 35
	.set _ZL29rocblas_internal_gemmt_kernelIlLi16ELi32ELi8ELc78ELc84ELc76ELb0ELb0EfPKfPKS1_PKPfEviT_T9_T10_S7_lS9_S7_lS8_T11_S7_li.num_named_barrier, 0
	.set _ZL29rocblas_internal_gemmt_kernelIlLi16ELi32ELi8ELc78ELc84ELc76ELb0ELb0EfPKfPKS1_PKPfEviT_T9_T10_S7_lS9_S7_lS8_T11_S7_li.private_seg_size, 0
	.set _ZL29rocblas_internal_gemmt_kernelIlLi16ELi32ELi8ELc78ELc84ELc76ELb0ELb0EfPKfPKS1_PKPfEviT_T9_T10_S7_lS9_S7_lS8_T11_S7_li.uses_vcc, 1
	.set _ZL29rocblas_internal_gemmt_kernelIlLi16ELi32ELi8ELc78ELc84ELc76ELb0ELb0EfPKfPKS1_PKPfEviT_T9_T10_S7_lS9_S7_lS8_T11_S7_li.uses_flat_scratch, 0
	.set _ZL29rocblas_internal_gemmt_kernelIlLi16ELi32ELi8ELc78ELc84ELc76ELb0ELb0EfPKfPKS1_PKPfEviT_T9_T10_S7_lS9_S7_lS8_T11_S7_li.has_dyn_sized_stack, 0
	.set _ZL29rocblas_internal_gemmt_kernelIlLi16ELi32ELi8ELc78ELc84ELc76ELb0ELb0EfPKfPKS1_PKPfEviT_T9_T10_S7_lS9_S7_lS8_T11_S7_li.has_recursion, 0
	.set _ZL29rocblas_internal_gemmt_kernelIlLi16ELi32ELi8ELc78ELc84ELc76ELb0ELb0EfPKfPKS1_PKPfEviT_T9_T10_S7_lS9_S7_lS8_T11_S7_li.has_indirect_call, 0
	.section	.AMDGPU.csdata,"",@progbits
; Kernel info:
; codeLenInByte = 1300
; TotalNumSgprs: 41
; NumVgprs: 50
; NumAgprs: 0
; TotalNumVgprs: 50
; ScratchSize: 0
; MemoryBound: 0
; FloatMode: 240
; IeeeMode: 1
; LDSByteSize: 2048 bytes/workgroup (compile time only)
; SGPRBlocks: 5
; VGPRBlocks: 6
; NumSGPRsForWavesPerEU: 41
; NumVGPRsForWavesPerEU: 50
; AccumOffset: 52
; Occupancy: 8
; WaveLimiterHint : 1
; COMPUTE_PGM_RSRC2:SCRATCH_EN: 0
; COMPUTE_PGM_RSRC2:USER_SGPR: 2
; COMPUTE_PGM_RSRC2:TRAP_HANDLER: 0
; COMPUTE_PGM_RSRC2:TGID_X_EN: 1
; COMPUTE_PGM_RSRC2:TGID_Y_EN: 1
; COMPUTE_PGM_RSRC2:TGID_Z_EN: 1
; COMPUTE_PGM_RSRC2:TIDIG_COMP_CNT: 1
; COMPUTE_PGM_RSRC3_GFX90A:ACCUM_OFFSET: 12
; COMPUTE_PGM_RSRC3_GFX90A:TG_SPLIT: 0
	.section	.text._ZL29rocblas_internal_gemmt_kernelIlLi16ELi32ELi8ELc78ELc67ELc76ELb0ELb0EfPKfPKS1_PKPfEviT_T9_T10_S7_lS9_S7_lS8_T11_S7_li,"axG",@progbits,_ZL29rocblas_internal_gemmt_kernelIlLi16ELi32ELi8ELc78ELc67ELc76ELb0ELb0EfPKfPKS1_PKPfEviT_T9_T10_S7_lS9_S7_lS8_T11_S7_li,comdat
	.globl	_ZL29rocblas_internal_gemmt_kernelIlLi16ELi32ELi8ELc78ELc67ELc76ELb0ELb0EfPKfPKS1_PKPfEviT_T9_T10_S7_lS9_S7_lS8_T11_S7_li ; -- Begin function _ZL29rocblas_internal_gemmt_kernelIlLi16ELi32ELi8ELc78ELc67ELc76ELb0ELb0EfPKfPKS1_PKPfEviT_T9_T10_S7_lS9_S7_lS8_T11_S7_li
	.p2align	8
	.type	_ZL29rocblas_internal_gemmt_kernelIlLi16ELi32ELi8ELc78ELc67ELc76ELb0ELb0EfPKfPKS1_PKPfEviT_T9_T10_S7_lS9_S7_lS8_T11_S7_li,@function
_ZL29rocblas_internal_gemmt_kernelIlLi16ELi32ELi8ELc78ELc67ELc76ELb0ELb0EfPKfPKS1_PKPfEviT_T9_T10_S7_lS9_S7_lS8_T11_S7_li: ; @_ZL29rocblas_internal_gemmt_kernelIlLi16ELi32ELi8ELc78ELc67ELc76ELb0ELb0EfPKfPKS1_PKPfEviT_T9_T10_S7_lS9_S7_lS8_T11_S7_li
; %bb.0:
	s_load_dwordx8 s[24:31], s[0:1], 0x48
	s_load_dwordx16 s[8:23], s[0:1], 0x8
	s_waitcnt lgkmcnt(0)
	s_load_dword s33, s[24:25], 0x0
	s_load_dword s34, s[10:11], 0x0
	s_waitcnt lgkmcnt(0)
	v_cmp_neq_f32_e64 s[6:7], s33, 1.0
	s_and_b64 vcc, exec, s[6:7]
	s_cbranch_vccnz .LBB443_2
; %bb.1:
	s_cmp_lg_u64 s[8:9], 0
	s_cselect_b64 s[6:7], -1, 0
	v_cmp_neq_f32_e64 s[10:11], s34, 0
	s_and_b64 s[6:7], s[6:7], s[10:11]
.LBB443_2:
	s_andn2_b64 vcc, exec, s[6:7]
	s_cbranch_vccnz .LBB443_28
; %bb.3:
	s_mov_b32 s5, 0
	s_load_dword s24, s[0:1], 0x0
	s_lshl_b64 s[0:1], s[4:5], 3
	s_add_u32 s4, s26, s0
	s_addc_u32 s5, s27, s1
	s_load_dwordx2 s[4:5], s[4:5], 0x0
	s_lshl_b32 s25, s2, 5
	s_lshl_b32 s26, s3, 5
	v_cmp_eq_f32_e64 s[2:3], s34, 0
	v_cmp_lt_i64_e64 s[6:7], s[8:9], 1
	v_mov_b32_e32 v3, 0
	s_or_b64 s[2:3], s[2:3], s[6:7]
	v_and_b32_e32 v5, 0x3ff, v0
	v_bfe_u32 v7, v0, 10, 10
	s_and_b64 vcc, exec, s[2:3]
	v_mov_b32_e32 v2, v3
	v_mov_b32_e32 v1, v3
	;; [unrolled: 1-line block ×3, first 2 shown]
	s_cbranch_vccnz .LBB443_12
; %bb.4:
	s_add_u32 s2, s18, s0
	s_addc_u32 s3, s19, s1
	s_load_dwordx2 s[2:3], s[2:3], 0x0
	s_lshl_b64 s[6:7], s[22:23], 2
	v_lshl_add_u32 v1, v7, 4, v5
	v_lshrrev_b32_e32 v6, 5, v1
	v_lshrrev_b32_e32 v10, 3, v1
	s_waitcnt lgkmcnt(0)
	s_add_u32 s6, s2, s6
	s_addc_u32 s7, s3, s7
	s_add_u32 s0, s12, s0
	s_addc_u32 s1, s13, s1
	s_load_dwordx2 s[0:1], s[0:1], 0x0
	v_and_b32_e32 v1, 31, v1
	v_and_b32_e32 v4, 7, v5
	v_or_b32_e32 v2, s25, v1
	v_lshlrev_b32_e32 v1, 2, v1
	s_lshl_b64 s[2:3], s[16:17], 2
	v_lshl_or_b32 v14, v6, 7, v1
	v_lshlrev_b32_e32 v1, 2, v4
	v_add_u32_e32 v0, s26, v10
	s_waitcnt lgkmcnt(0)
	s_add_u32 s2, s0, s2
	v_lshl_or_b32 v1, v10, 5, v1
	s_addc_u32 s3, s1, s3
	v_ashrrev_i32_e32 v3, 31, v2
	v_add_u32_e32 v15, 0x400, v1
	v_ashrrev_i32_e32 v1, 31, v0
	v_lshl_add_u64 v[8:9], v[2:3], 2, s[2:3]
	v_cmp_gt_i32_e64 s[2:3], s24, v0
	v_lshl_add_u64 v[10:11], v[0:1], 2, s[6:7]
	v_mov_b32_e32 v0, 0x400
	v_mov_b32_e32 v13, 0
	v_cmp_gt_i32_e64 s[0:1], s24, v2
	v_lshlrev_b32_e32 v16, 2, v5
	v_lshl_add_u32 v17, v7, 5, v0
	s_mov_b64 s[6:7], 0
	v_mov_b32_e32 v0, v13
	v_mov_b32_e32 v1, v13
	;; [unrolled: 1-line block ×4, first 2 shown]
	s_branch .LBB443_6
.LBB443_5:                              ;   in Loop: Header=BB443_6 Depth=1
	s_or_b64 exec, exec, s[10:11]
	s_waitcnt vmcnt(0) lgkmcnt(0)
	ds_write_b32 v15, v18
	s_waitcnt lgkmcnt(0)
	s_barrier
	ds_read_b128 v[18:21], v17
	ds_read_b128 v[22:25], v17 offset:16
	ds_read2_b32 v[34:35], v16 offset1:16
	ds_read2_b32 v[36:37], v16 offset0:32 offset1:48
	ds_read2_b32 v[38:39], v16 offset0:64 offset1:80
	;; [unrolled: 1-line block ×4, first 2 shown]
	ds_read_b128 v[26:29], v17 offset:512
	ds_read_b128 v[30:33], v17 offset:528
	ds_read2_b32 v[44:45], v16 offset0:160 offset1:176
	ds_read2_b32 v[46:47], v16 offset0:192 offset1:208
	;; [unrolled: 1-line block ×3, first 2 shown]
	s_waitcnt lgkmcnt(9)
	v_pk_fma_f32 v[2:3], v[34:35], v[18:19], v[2:3] op_sel_hi:[1,0,1]
	v_mov_b32_e32 v12, v21
	s_waitcnt lgkmcnt(8)
	v_pk_fma_f32 v[2:3], v[36:37], v[18:19], v[2:3] op_sel:[0,1,0]
	s_waitcnt lgkmcnt(4)
	v_pk_fma_f32 v[0:1], v[34:35], v[26:27], v[0:1] op_sel_hi:[1,0,1]
	v_pk_fma_f32 v[2:3], v[38:39], v[20:21], v[2:3] op_sel_hi:[1,0,1]
	v_pk_fma_f32 v[0:1], v[36:37], v[26:27], v[0:1] op_sel:[0,1,0]
	v_pk_fma_f32 v[2:3], v[40:41], v[12:13], v[2:3] op_sel_hi:[1,0,1]
	v_mov_b32_e32 v12, v25
	v_pk_fma_f32 v[2:3], v[42:43], v[22:23], v[2:3] op_sel_hi:[1,0,1]
	v_pk_fma_f32 v[0:1], v[38:39], v[28:29], v[0:1] op_sel_hi:[1,0,1]
	s_waitcnt lgkmcnt(2)
	v_pk_fma_f32 v[2:3], v[44:45], v[22:23], v[2:3] op_sel:[0,1,0]
	s_add_u32 s6, s6, 8
	s_waitcnt lgkmcnt(1)
	v_pk_fma_f32 v[2:3], v[46:47], v[24:25], v[2:3] op_sel_hi:[1,0,1]
	s_addc_u32 s7, s7, 0
	s_waitcnt lgkmcnt(0)
	v_pk_fma_f32 v[2:3], v[48:49], v[12:13], v[2:3] op_sel_hi:[1,0,1]
	v_mov_b32_e32 v12, v29
	v_pk_fma_f32 v[0:1], v[40:41], v[12:13], v[0:1] op_sel_hi:[1,0,1]
	v_mov_b64_e32 v[18:19], s[6:7]
	v_pk_fma_f32 v[0:1], v[42:43], v[30:31], v[0:1] op_sel_hi:[1,0,1]
	v_mov_b32_e32 v12, v33
	v_pk_fma_f32 v[0:1], v[44:45], v[30:31], v[0:1] op_sel:[0,1,0]
	v_cmp_gt_i64_e32 vcc, s[8:9], v[18:19]
	v_pk_fma_f32 v[0:1], v[46:47], v[32:33], v[0:1] op_sel_hi:[1,0,1]
	s_nop 0
	v_pk_fma_f32 v[0:1], v[48:49], v[12:13], v[0:1] op_sel_hi:[1,0,1]
	s_barrier
	s_cbranch_vccz .LBB443_12
.LBB443_6:                              ; =>This Inner Loop Header: Depth=1
	v_mov_b32_e32 v18, 0
	s_and_saveexec_b64 s[10:11], s[0:1]
	s_cbranch_execz .LBB443_10
; %bb.7:                                ;   in Loop: Header=BB443_6 Depth=1
	v_add_u32_e32 v12, s6, v6
	v_cmp_gt_u64_e32 vcc, s[8:9], v[12:13]
	v_mov_b32_e32 v18, 0
	s_and_saveexec_b64 s[12:13], vcc
	s_cbranch_execz .LBB443_9
; %bb.8:                                ;   in Loop: Header=BB443_6 Depth=1
	v_mad_u64_u32 v[18:19], s[16:17], s14, v12, 0
	v_mov_b32_e32 v20, v19
	v_mad_u64_u32 v[20:21], s[16:17], s15, v12, v[20:21]
	v_mov_b32_e32 v19, v20
	v_lshl_add_u64 v[18:19], v[18:19], 2, v[8:9]
	flat_load_dword v18, v[18:19]
.LBB443_9:                              ;   in Loop: Header=BB443_6 Depth=1
	s_or_b64 exec, exec, s[12:13]
.LBB443_10:                             ;   in Loop: Header=BB443_6 Depth=1
	s_or_b64 exec, exec, s[10:11]
	v_add_u32_e32 v12, s6, v4
	v_cmp_gt_u64_e32 vcc, s[8:9], v[12:13]
	s_waitcnt vmcnt(0) lgkmcnt(0)
	ds_write_b32 v14, v18
	s_and_b64 s[12:13], vcc, s[2:3]
	v_mov_b32_e32 v18, 0
	s_and_saveexec_b64 s[10:11], s[12:13]
	s_cbranch_execz .LBB443_5
; %bb.11:                               ;   in Loop: Header=BB443_6 Depth=1
	v_mad_u64_u32 v[18:19], s[12:13], s20, v12, 0
	v_mov_b32_e32 v20, v19
	v_mad_u64_u32 v[20:21], s[12:13], s21, v12, v[20:21]
	v_mov_b32_e32 v19, v20
	v_lshl_add_u64 v[18:19], v[18:19], 2, v[10:11]
	flat_load_dword v18, v[18:19]
	s_branch .LBB443_5
.LBB443_12:
	s_lshl_b64 s[0:1], s[30:31], 2
	v_add_u32_e32 v10, s26, v7
	s_waitcnt lgkmcnt(0)
	s_add_u32 s6, s4, s0
	v_add_u32_e32 v4, s25, v5
	v_ashrrev_i32_e32 v5, 31, v10
	s_addc_u32 s7, s5, s1
	v_mul_lo_u32 v5, s28, v5
	v_mul_lo_u32 v8, s29, v10
	v_mad_u64_u32 v[6:7], s[0:1], s28, v10, 0
	v_add3_u32 v7, v7, v5, v8
	v_cmp_neq_f32_e64 s[0:1], s33, 0
	v_lshl_add_u64 v[8:9], v[6:7], 2, s[6:7]
	v_cmp_le_i32_e32 vcc, v10, v4
	v_cmp_gt_i32_e64 s[2:3], s24, v4
	v_cndmask_b32_e64 v6, 0, 1, s[0:1]
	s_and_b64 s[8:9], vcc, s[2:3]
	v_ashrrev_i32_e32 v5, 31, v4
	v_cmp_ne_u32_e64 s[0:1], 1, v6
	s_and_saveexec_b64 s[4:5], s[8:9]
	s_cbranch_execz .LBB443_16
; %bb.13:
	v_mul_f32_e32 v2, s34, v2
	s_and_b64 vcc, exec, s[0:1]
	v_lshl_add_u64 v[6:7], v[4:5], 2, v[8:9]
	s_cbranch_vccnz .LBB443_15
; %bb.14:
	flat_load_dword v11, v[6:7]
	s_waitcnt vmcnt(0) lgkmcnt(0)
	v_fmac_f32_e32 v2, s33, v11
.LBB443_15:
	flat_store_dword v[6:7], v2
.LBB443_16:
	s_or_b64 exec, exec, s[4:5]
	v_add_u32_e32 v6, 16, v4
	v_cmp_le_i32_e32 vcc, v10, v6
	v_cmp_gt_i32_e64 s[4:5], s24, v6
	s_and_b64 s[10:11], vcc, s[4:5]
	v_ashrrev_i32_e32 v7, 31, v6
	s_and_saveexec_b64 s[8:9], s[10:11]
	s_cbranch_execz .LBB443_20
; %bb.17:
	v_mul_f32_e32 v11, s34, v3
	s_and_b64 vcc, exec, s[0:1]
	v_lshl_add_u64 v[2:3], v[6:7], 2, v[8:9]
	s_cbranch_vccnz .LBB443_19
; %bb.18:
	flat_load_dword v8, v[2:3]
	s_waitcnt vmcnt(0) lgkmcnt(0)
	v_fmac_f32_e32 v11, s33, v8
.LBB443_19:
	flat_store_dword v[2:3], v11
.LBB443_20:
	s_or_b64 exec, exec, s[8:9]
	v_add_u32_e32 v8, 16, v10
	v_ashrrev_i32_e32 v2, 31, v8
	v_mul_lo_u32 v9, s28, v2
	v_mul_lo_u32 v10, s29, v8
	v_mad_u64_u32 v[2:3], s[8:9], s28, v8, 0
	v_add3_u32 v3, v3, v9, v10
	v_cmp_le_i32_e32 vcc, v8, v4
	v_lshl_add_u64 v[2:3], v[2:3], 2, s[6:7]
	s_and_b64 s[6:7], vcc, s[2:3]
	s_and_saveexec_b64 s[2:3], s[6:7]
	s_cbranch_execz .LBB443_24
; %bb.21:
	v_mul_f32_e32 v0, s34, v0
	s_and_b64 vcc, exec, s[0:1]
	v_lshl_add_u64 v[4:5], v[4:5], 2, v[2:3]
	s_cbranch_vccnz .LBB443_23
; %bb.22:
	flat_load_dword v9, v[4:5]
	s_waitcnt vmcnt(0) lgkmcnt(0)
	v_fmac_f32_e32 v0, s33, v9
.LBB443_23:
	flat_store_dword v[4:5], v0
.LBB443_24:
	s_or_b64 exec, exec, s[2:3]
	v_cmp_le_i32_e32 vcc, v8, v6
	s_and_b64 s[2:3], vcc, s[4:5]
	s_and_saveexec_b64 s[4:5], s[2:3]
	s_cbranch_execz .LBB443_28
; %bb.25:
	v_mul_f32_e32 v4, s34, v1
	s_and_b64 vcc, exec, s[0:1]
	v_lshl_add_u64 v[0:1], v[6:7], 2, v[2:3]
	s_cbranch_vccnz .LBB443_27
; %bb.26:
	flat_load_dword v2, v[0:1]
	s_waitcnt vmcnt(0) lgkmcnt(0)
	v_fmac_f32_e32 v4, s33, v2
.LBB443_27:
	flat_store_dword v[0:1], v4
.LBB443_28:
	s_endpgm
	.section	.rodata,"a",@progbits
	.p2align	6, 0x0
	.amdhsa_kernel _ZL29rocblas_internal_gemmt_kernelIlLi16ELi32ELi8ELc78ELc67ELc76ELb0ELb0EfPKfPKS1_PKPfEviT_T9_T10_S7_lS9_S7_lS8_T11_S7_li
		.amdhsa_group_segment_fixed_size 2048
		.amdhsa_private_segment_fixed_size 0
		.amdhsa_kernarg_size 108
		.amdhsa_user_sgpr_count 2
		.amdhsa_user_sgpr_dispatch_ptr 0
		.amdhsa_user_sgpr_queue_ptr 0
		.amdhsa_user_sgpr_kernarg_segment_ptr 1
		.amdhsa_user_sgpr_dispatch_id 0
		.amdhsa_user_sgpr_kernarg_preload_length 0
		.amdhsa_user_sgpr_kernarg_preload_offset 0
		.amdhsa_user_sgpr_private_segment_size 0
		.amdhsa_uses_dynamic_stack 0
		.amdhsa_enable_private_segment 0
		.amdhsa_system_sgpr_workgroup_id_x 1
		.amdhsa_system_sgpr_workgroup_id_y 1
		.amdhsa_system_sgpr_workgroup_id_z 1
		.amdhsa_system_sgpr_workgroup_info 0
		.amdhsa_system_vgpr_workitem_id 1
		.amdhsa_next_free_vgpr 50
		.amdhsa_next_free_sgpr 35
		.amdhsa_accum_offset 52
		.amdhsa_reserve_vcc 1
		.amdhsa_float_round_mode_32 0
		.amdhsa_float_round_mode_16_64 0
		.amdhsa_float_denorm_mode_32 3
		.amdhsa_float_denorm_mode_16_64 3
		.amdhsa_dx10_clamp 1
		.amdhsa_ieee_mode 1
		.amdhsa_fp16_overflow 0
		.amdhsa_tg_split 0
		.amdhsa_exception_fp_ieee_invalid_op 0
		.amdhsa_exception_fp_denorm_src 0
		.amdhsa_exception_fp_ieee_div_zero 0
		.amdhsa_exception_fp_ieee_overflow 0
		.amdhsa_exception_fp_ieee_underflow 0
		.amdhsa_exception_fp_ieee_inexact 0
		.amdhsa_exception_int_div_zero 0
	.end_amdhsa_kernel
	.section	.text._ZL29rocblas_internal_gemmt_kernelIlLi16ELi32ELi8ELc78ELc67ELc76ELb0ELb0EfPKfPKS1_PKPfEviT_T9_T10_S7_lS9_S7_lS8_T11_S7_li,"axG",@progbits,_ZL29rocblas_internal_gemmt_kernelIlLi16ELi32ELi8ELc78ELc67ELc76ELb0ELb0EfPKfPKS1_PKPfEviT_T9_T10_S7_lS9_S7_lS8_T11_S7_li,comdat
.Lfunc_end443:
	.size	_ZL29rocblas_internal_gemmt_kernelIlLi16ELi32ELi8ELc78ELc67ELc76ELb0ELb0EfPKfPKS1_PKPfEviT_T9_T10_S7_lS9_S7_lS8_T11_S7_li, .Lfunc_end443-_ZL29rocblas_internal_gemmt_kernelIlLi16ELi32ELi8ELc78ELc67ELc76ELb0ELb0EfPKfPKS1_PKPfEviT_T9_T10_S7_lS9_S7_lS8_T11_S7_li
                                        ; -- End function
	.set _ZL29rocblas_internal_gemmt_kernelIlLi16ELi32ELi8ELc78ELc67ELc76ELb0ELb0EfPKfPKS1_PKPfEviT_T9_T10_S7_lS9_S7_lS8_T11_S7_li.num_vgpr, 50
	.set _ZL29rocblas_internal_gemmt_kernelIlLi16ELi32ELi8ELc78ELc67ELc76ELb0ELb0EfPKfPKS1_PKPfEviT_T9_T10_S7_lS9_S7_lS8_T11_S7_li.num_agpr, 0
	.set _ZL29rocblas_internal_gemmt_kernelIlLi16ELi32ELi8ELc78ELc67ELc76ELb0ELb0EfPKfPKS1_PKPfEviT_T9_T10_S7_lS9_S7_lS8_T11_S7_li.numbered_sgpr, 35
	.set _ZL29rocblas_internal_gemmt_kernelIlLi16ELi32ELi8ELc78ELc67ELc76ELb0ELb0EfPKfPKS1_PKPfEviT_T9_T10_S7_lS9_S7_lS8_T11_S7_li.num_named_barrier, 0
	.set _ZL29rocblas_internal_gemmt_kernelIlLi16ELi32ELi8ELc78ELc67ELc76ELb0ELb0EfPKfPKS1_PKPfEviT_T9_T10_S7_lS9_S7_lS8_T11_S7_li.private_seg_size, 0
	.set _ZL29rocblas_internal_gemmt_kernelIlLi16ELi32ELi8ELc78ELc67ELc76ELb0ELb0EfPKfPKS1_PKPfEviT_T9_T10_S7_lS9_S7_lS8_T11_S7_li.uses_vcc, 1
	.set _ZL29rocblas_internal_gemmt_kernelIlLi16ELi32ELi8ELc78ELc67ELc76ELb0ELb0EfPKfPKS1_PKPfEviT_T9_T10_S7_lS9_S7_lS8_T11_S7_li.uses_flat_scratch, 0
	.set _ZL29rocblas_internal_gemmt_kernelIlLi16ELi32ELi8ELc78ELc67ELc76ELb0ELb0EfPKfPKS1_PKPfEviT_T9_T10_S7_lS9_S7_lS8_T11_S7_li.has_dyn_sized_stack, 0
	.set _ZL29rocblas_internal_gemmt_kernelIlLi16ELi32ELi8ELc78ELc67ELc76ELb0ELb0EfPKfPKS1_PKPfEviT_T9_T10_S7_lS9_S7_lS8_T11_S7_li.has_recursion, 0
	.set _ZL29rocblas_internal_gemmt_kernelIlLi16ELi32ELi8ELc78ELc67ELc76ELb0ELb0EfPKfPKS1_PKPfEviT_T9_T10_S7_lS9_S7_lS8_T11_S7_li.has_indirect_call, 0
	.section	.AMDGPU.csdata,"",@progbits
; Kernel info:
; codeLenInByte = 1300
; TotalNumSgprs: 41
; NumVgprs: 50
; NumAgprs: 0
; TotalNumVgprs: 50
; ScratchSize: 0
; MemoryBound: 0
; FloatMode: 240
; IeeeMode: 1
; LDSByteSize: 2048 bytes/workgroup (compile time only)
; SGPRBlocks: 5
; VGPRBlocks: 6
; NumSGPRsForWavesPerEU: 41
; NumVGPRsForWavesPerEU: 50
; AccumOffset: 52
; Occupancy: 8
; WaveLimiterHint : 1
; COMPUTE_PGM_RSRC2:SCRATCH_EN: 0
; COMPUTE_PGM_RSRC2:USER_SGPR: 2
; COMPUTE_PGM_RSRC2:TRAP_HANDLER: 0
; COMPUTE_PGM_RSRC2:TGID_X_EN: 1
; COMPUTE_PGM_RSRC2:TGID_Y_EN: 1
; COMPUTE_PGM_RSRC2:TGID_Z_EN: 1
; COMPUTE_PGM_RSRC2:TIDIG_COMP_CNT: 1
; COMPUTE_PGM_RSRC3_GFX90A:ACCUM_OFFSET: 12
; COMPUTE_PGM_RSRC3_GFX90A:TG_SPLIT: 0
	.section	.text._ZL29rocblas_internal_gemmt_kernelIlLi16ELi32ELi8ELc84ELc78ELc76ELb0ELb0EfPKfPKS1_PKPfEviT_T9_T10_S7_lS9_S7_lS8_T11_S7_li,"axG",@progbits,_ZL29rocblas_internal_gemmt_kernelIlLi16ELi32ELi8ELc84ELc78ELc76ELb0ELb0EfPKfPKS1_PKPfEviT_T9_T10_S7_lS9_S7_lS8_T11_S7_li,comdat
	.globl	_ZL29rocblas_internal_gemmt_kernelIlLi16ELi32ELi8ELc84ELc78ELc76ELb0ELb0EfPKfPKS1_PKPfEviT_T9_T10_S7_lS9_S7_lS8_T11_S7_li ; -- Begin function _ZL29rocblas_internal_gemmt_kernelIlLi16ELi32ELi8ELc84ELc78ELc76ELb0ELb0EfPKfPKS1_PKPfEviT_T9_T10_S7_lS9_S7_lS8_T11_S7_li
	.p2align	8
	.type	_ZL29rocblas_internal_gemmt_kernelIlLi16ELi32ELi8ELc84ELc78ELc76ELb0ELb0EfPKfPKS1_PKPfEviT_T9_T10_S7_lS9_S7_lS8_T11_S7_li,@function
_ZL29rocblas_internal_gemmt_kernelIlLi16ELi32ELi8ELc84ELc78ELc76ELb0ELb0EfPKfPKS1_PKPfEviT_T9_T10_S7_lS9_S7_lS8_T11_S7_li: ; @_ZL29rocblas_internal_gemmt_kernelIlLi16ELi32ELi8ELc84ELc78ELc76ELb0ELb0EfPKfPKS1_PKPfEviT_T9_T10_S7_lS9_S7_lS8_T11_S7_li
; %bb.0:
	s_load_dwordx8 s[24:31], s[0:1], 0x48
	s_load_dwordx16 s[8:23], s[0:1], 0x8
	s_waitcnt lgkmcnt(0)
	s_load_dword s33, s[24:25], 0x0
	s_load_dword s34, s[10:11], 0x0
	s_waitcnt lgkmcnt(0)
	v_cmp_neq_f32_e64 s[6:7], s33, 1.0
	s_and_b64 vcc, exec, s[6:7]
	s_cbranch_vccnz .LBB444_2
; %bb.1:
	s_cmp_lg_u64 s[8:9], 0
	s_cselect_b64 s[6:7], -1, 0
	v_cmp_neq_f32_e64 s[10:11], s34, 0
	s_and_b64 s[6:7], s[6:7], s[10:11]
.LBB444_2:
	s_andn2_b64 vcc, exec, s[6:7]
	s_cbranch_vccnz .LBB444_28
; %bb.3:
	s_mov_b32 s5, 0
	s_load_dword s24, s[0:1], 0x0
	s_lshl_b64 s[0:1], s[4:5], 3
	s_add_u32 s4, s26, s0
	s_addc_u32 s5, s27, s1
	s_load_dwordx2 s[4:5], s[4:5], 0x0
	s_lshl_b32 s25, s2, 5
	s_lshl_b32 s26, s3, 5
	v_cmp_eq_f32_e64 s[2:3], s34, 0
	v_cmp_lt_i64_e64 s[6:7], s[8:9], 1
	v_mov_b32_e32 v3, 0
	s_or_b64 s[2:3], s[2:3], s[6:7]
	v_and_b32_e32 v5, 0x3ff, v0
	v_bfe_u32 v7, v0, 10, 10
	s_and_b64 vcc, exec, s[2:3]
	v_mov_b32_e32 v2, v3
	v_mov_b32_e32 v1, v3
	;; [unrolled: 1-line block ×3, first 2 shown]
	s_cbranch_vccnz .LBB444_12
; %bb.4:
	s_add_u32 s2, s18, s0
	s_addc_u32 s3, s19, s1
	s_load_dwordx2 s[2:3], s[2:3], 0x0
	s_lshl_b64 s[6:7], s[22:23], 2
	v_lshl_add_u32 v0, v7, 4, v5
	v_lshrrev_b32_e32 v6, 5, v0
	v_lshrrev_b32_e32 v2, 3, v0
	s_waitcnt lgkmcnt(0)
	s_add_u32 s6, s2, s6
	s_addc_u32 s7, s3, s7
	s_add_u32 s0, s12, s0
	s_addc_u32 s1, s13, s1
	s_load_dwordx2 s[0:1], s[0:1], 0x0
	v_and_b32_e32 v0, 31, v0
	s_lshl_b64 s[2:3], s[16:17], 2
	v_or_b32_e32 v1, s25, v0
	v_lshlrev_b32_e32 v0, 2, v0
	s_waitcnt lgkmcnt(0)
	s_add_u32 s2, s0, s2
	s_addc_u32 s3, s1, s3
	v_cmp_gt_i32_e64 s[0:1], s24, v1
	v_lshl_or_b32 v14, v6, 7, v0
	s_ashr_i32 s12, s25, 31
	v_mul_lo_u32 v8, s15, v1
	v_mad_u64_u32 v[0:1], s[10:11], s14, v1, 0
	s_mul_i32 s10, s14, s12
	v_and_b32_e32 v4, 7, v5
	v_add3_u32 v1, v1, s10, v8
	v_lshl_add_u64 v[8:9], v[0:1], 2, s[2:3]
	v_lshlrev_b32_e32 v0, 2, v4
	v_add_u32_e32 v3, s26, v2
	v_lshl_or_b32 v0, v2, 5, v0
	v_add_u32_e32 v15, 0x400, v0
	v_ashrrev_i32_e32 v0, 31, v3
	v_mul_lo_u32 v2, s20, v0
	v_mul_lo_u32 v10, s21, v3
	v_mad_u64_u32 v[0:1], s[10:11], s20, v3, 0
	v_add3_u32 v1, v1, v2, v10
	v_lshl_add_u64 v[10:11], v[0:1], 2, s[6:7]
	v_mov_b32_e32 v0, 0x400
	v_mov_b32_e32 v13, 0
	v_cmp_gt_i32_e64 s[2:3], s24, v3
	v_lshlrev_b32_e32 v16, 2, v5
	v_lshl_add_u32 v17, v7, 5, v0
	s_mov_b64 s[6:7], 0
	v_mov_b32_e32 v0, v13
	v_mov_b32_e32 v1, v13
	;; [unrolled: 1-line block ×4, first 2 shown]
	s_branch .LBB444_6
.LBB444_5:                              ;   in Loop: Header=BB444_6 Depth=1
	s_or_b64 exec, exec, s[10:11]
	s_waitcnt vmcnt(0) lgkmcnt(0)
	ds_write_b32 v15, v18
	s_waitcnt lgkmcnt(0)
	s_barrier
	ds_read_b128 v[18:21], v17
	ds_read_b128 v[22:25], v17 offset:16
	ds_read2_b32 v[34:35], v16 offset1:16
	ds_read2_b32 v[36:37], v16 offset0:32 offset1:48
	ds_read2_b32 v[38:39], v16 offset0:64 offset1:80
	ds_read2_b32 v[40:41], v16 offset0:96 offset1:112
	ds_read2_b32 v[42:43], v16 offset0:128 offset1:144
	ds_read_b128 v[26:29], v17 offset:512
	ds_read_b128 v[30:33], v17 offset:528
	ds_read2_b32 v[44:45], v16 offset0:160 offset1:176
	ds_read2_b32 v[46:47], v16 offset0:192 offset1:208
	;; [unrolled: 1-line block ×3, first 2 shown]
	s_waitcnt lgkmcnt(9)
	v_pk_fma_f32 v[2:3], v[34:35], v[18:19], v[2:3] op_sel_hi:[1,0,1]
	v_mov_b32_e32 v12, v21
	s_waitcnt lgkmcnt(8)
	v_pk_fma_f32 v[2:3], v[36:37], v[18:19], v[2:3] op_sel:[0,1,0]
	s_waitcnt lgkmcnt(4)
	v_pk_fma_f32 v[0:1], v[34:35], v[26:27], v[0:1] op_sel_hi:[1,0,1]
	v_pk_fma_f32 v[2:3], v[38:39], v[20:21], v[2:3] op_sel_hi:[1,0,1]
	v_pk_fma_f32 v[0:1], v[36:37], v[26:27], v[0:1] op_sel:[0,1,0]
	v_pk_fma_f32 v[2:3], v[40:41], v[12:13], v[2:3] op_sel_hi:[1,0,1]
	v_mov_b32_e32 v12, v25
	v_pk_fma_f32 v[2:3], v[42:43], v[22:23], v[2:3] op_sel_hi:[1,0,1]
	v_pk_fma_f32 v[0:1], v[38:39], v[28:29], v[0:1] op_sel_hi:[1,0,1]
	s_waitcnt lgkmcnt(2)
	v_pk_fma_f32 v[2:3], v[44:45], v[22:23], v[2:3] op_sel:[0,1,0]
	s_add_u32 s6, s6, 8
	s_waitcnt lgkmcnt(1)
	v_pk_fma_f32 v[2:3], v[46:47], v[24:25], v[2:3] op_sel_hi:[1,0,1]
	s_addc_u32 s7, s7, 0
	s_waitcnt lgkmcnt(0)
	v_pk_fma_f32 v[2:3], v[48:49], v[12:13], v[2:3] op_sel_hi:[1,0,1]
	v_mov_b32_e32 v12, v29
	v_pk_fma_f32 v[0:1], v[40:41], v[12:13], v[0:1] op_sel_hi:[1,0,1]
	v_mov_b64_e32 v[18:19], s[6:7]
	v_pk_fma_f32 v[0:1], v[42:43], v[30:31], v[0:1] op_sel_hi:[1,0,1]
	v_mov_b32_e32 v12, v33
	v_pk_fma_f32 v[0:1], v[44:45], v[30:31], v[0:1] op_sel:[0,1,0]
	v_cmp_gt_i64_e32 vcc, s[8:9], v[18:19]
	v_pk_fma_f32 v[0:1], v[46:47], v[32:33], v[0:1] op_sel_hi:[1,0,1]
	s_nop 0
	v_pk_fma_f32 v[0:1], v[48:49], v[12:13], v[0:1] op_sel_hi:[1,0,1]
	s_barrier
	s_cbranch_vccz .LBB444_12
.LBB444_6:                              ; =>This Inner Loop Header: Depth=1
	v_mov_b32_e32 v18, 0
	s_and_saveexec_b64 s[10:11], s[0:1]
	s_cbranch_execz .LBB444_10
; %bb.7:                                ;   in Loop: Header=BB444_6 Depth=1
	v_add_u32_e32 v12, s6, v6
	v_cmp_gt_u64_e32 vcc, s[8:9], v[12:13]
	v_mov_b32_e32 v18, 0
	s_and_saveexec_b64 s[12:13], vcc
	s_cbranch_execz .LBB444_9
; %bb.8:                                ;   in Loop: Header=BB444_6 Depth=1
	v_lshl_add_u64 v[18:19], v[12:13], 2, v[8:9]
	flat_load_dword v18, v[18:19]
.LBB444_9:                              ;   in Loop: Header=BB444_6 Depth=1
	s_or_b64 exec, exec, s[12:13]
.LBB444_10:                             ;   in Loop: Header=BB444_6 Depth=1
	s_or_b64 exec, exec, s[10:11]
	v_add_u32_e32 v12, s6, v4
	v_cmp_gt_u64_e32 vcc, s[8:9], v[12:13]
	s_waitcnt vmcnt(0) lgkmcnt(0)
	ds_write_b32 v14, v18
	s_and_b64 s[12:13], vcc, s[2:3]
	v_mov_b32_e32 v18, 0
	s_and_saveexec_b64 s[10:11], s[12:13]
	s_cbranch_execz .LBB444_5
; %bb.11:                               ;   in Loop: Header=BB444_6 Depth=1
	v_lshl_add_u64 v[18:19], v[12:13], 2, v[10:11]
	flat_load_dword v18, v[18:19]
	s_branch .LBB444_5
.LBB444_12:
	s_lshl_b64 s[0:1], s[30:31], 2
	v_add_u32_e32 v10, s26, v7
	s_waitcnt lgkmcnt(0)
	s_add_u32 s6, s4, s0
	v_add_u32_e32 v4, s25, v5
	v_ashrrev_i32_e32 v5, 31, v10
	s_addc_u32 s7, s5, s1
	v_mul_lo_u32 v5, s28, v5
	v_mul_lo_u32 v8, s29, v10
	v_mad_u64_u32 v[6:7], s[0:1], s28, v10, 0
	v_add3_u32 v7, v7, v5, v8
	v_cmp_neq_f32_e64 s[0:1], s33, 0
	v_lshl_add_u64 v[8:9], v[6:7], 2, s[6:7]
	v_cmp_le_i32_e32 vcc, v10, v4
	v_cmp_gt_i32_e64 s[2:3], s24, v4
	v_cndmask_b32_e64 v6, 0, 1, s[0:1]
	s_and_b64 s[8:9], vcc, s[2:3]
	v_ashrrev_i32_e32 v5, 31, v4
	v_cmp_ne_u32_e64 s[0:1], 1, v6
	s_and_saveexec_b64 s[4:5], s[8:9]
	s_cbranch_execz .LBB444_16
; %bb.13:
	v_mul_f32_e32 v2, s34, v2
	s_and_b64 vcc, exec, s[0:1]
	v_lshl_add_u64 v[6:7], v[4:5], 2, v[8:9]
	s_cbranch_vccnz .LBB444_15
; %bb.14:
	flat_load_dword v11, v[6:7]
	s_waitcnt vmcnt(0) lgkmcnt(0)
	v_fmac_f32_e32 v2, s33, v11
.LBB444_15:
	flat_store_dword v[6:7], v2
.LBB444_16:
	s_or_b64 exec, exec, s[4:5]
	v_add_u32_e32 v6, 16, v4
	v_cmp_le_i32_e32 vcc, v10, v6
	v_cmp_gt_i32_e64 s[4:5], s24, v6
	s_and_b64 s[10:11], vcc, s[4:5]
	v_ashrrev_i32_e32 v7, 31, v6
	s_and_saveexec_b64 s[8:9], s[10:11]
	s_cbranch_execz .LBB444_20
; %bb.17:
	v_mul_f32_e32 v11, s34, v3
	s_and_b64 vcc, exec, s[0:1]
	v_lshl_add_u64 v[2:3], v[6:7], 2, v[8:9]
	s_cbranch_vccnz .LBB444_19
; %bb.18:
	flat_load_dword v8, v[2:3]
	s_waitcnt vmcnt(0) lgkmcnt(0)
	v_fmac_f32_e32 v11, s33, v8
.LBB444_19:
	flat_store_dword v[2:3], v11
.LBB444_20:
	s_or_b64 exec, exec, s[8:9]
	v_add_u32_e32 v8, 16, v10
	v_ashrrev_i32_e32 v2, 31, v8
	v_mul_lo_u32 v9, s28, v2
	v_mul_lo_u32 v10, s29, v8
	v_mad_u64_u32 v[2:3], s[8:9], s28, v8, 0
	v_add3_u32 v3, v3, v9, v10
	v_cmp_le_i32_e32 vcc, v8, v4
	v_lshl_add_u64 v[2:3], v[2:3], 2, s[6:7]
	s_and_b64 s[6:7], vcc, s[2:3]
	s_and_saveexec_b64 s[2:3], s[6:7]
	s_cbranch_execz .LBB444_24
; %bb.21:
	v_mul_f32_e32 v0, s34, v0
	s_and_b64 vcc, exec, s[0:1]
	v_lshl_add_u64 v[4:5], v[4:5], 2, v[2:3]
	s_cbranch_vccnz .LBB444_23
; %bb.22:
	flat_load_dword v9, v[4:5]
	s_waitcnt vmcnt(0) lgkmcnt(0)
	v_fmac_f32_e32 v0, s33, v9
.LBB444_23:
	flat_store_dword v[4:5], v0
.LBB444_24:
	s_or_b64 exec, exec, s[2:3]
	v_cmp_le_i32_e32 vcc, v8, v6
	s_and_b64 s[2:3], vcc, s[4:5]
	s_and_saveexec_b64 s[4:5], s[2:3]
	s_cbranch_execz .LBB444_28
; %bb.25:
	v_mul_f32_e32 v4, s34, v1
	s_and_b64 vcc, exec, s[0:1]
	v_lshl_add_u64 v[0:1], v[6:7], 2, v[2:3]
	s_cbranch_vccnz .LBB444_27
; %bb.26:
	flat_load_dword v2, v[0:1]
	s_waitcnt vmcnt(0) lgkmcnt(0)
	v_fmac_f32_e32 v4, s33, v2
.LBB444_27:
	flat_store_dword v[0:1], v4
.LBB444_28:
	s_endpgm
	.section	.rodata,"a",@progbits
	.p2align	6, 0x0
	.amdhsa_kernel _ZL29rocblas_internal_gemmt_kernelIlLi16ELi32ELi8ELc84ELc78ELc76ELb0ELb0EfPKfPKS1_PKPfEviT_T9_T10_S7_lS9_S7_lS8_T11_S7_li
		.amdhsa_group_segment_fixed_size 2048
		.amdhsa_private_segment_fixed_size 0
		.amdhsa_kernarg_size 108
		.amdhsa_user_sgpr_count 2
		.amdhsa_user_sgpr_dispatch_ptr 0
		.amdhsa_user_sgpr_queue_ptr 0
		.amdhsa_user_sgpr_kernarg_segment_ptr 1
		.amdhsa_user_sgpr_dispatch_id 0
		.amdhsa_user_sgpr_kernarg_preload_length 0
		.amdhsa_user_sgpr_kernarg_preload_offset 0
		.amdhsa_user_sgpr_private_segment_size 0
		.amdhsa_uses_dynamic_stack 0
		.amdhsa_enable_private_segment 0
		.amdhsa_system_sgpr_workgroup_id_x 1
		.amdhsa_system_sgpr_workgroup_id_y 1
		.amdhsa_system_sgpr_workgroup_id_z 1
		.amdhsa_system_sgpr_workgroup_info 0
		.amdhsa_system_vgpr_workitem_id 1
		.amdhsa_next_free_vgpr 50
		.amdhsa_next_free_sgpr 35
		.amdhsa_accum_offset 52
		.amdhsa_reserve_vcc 1
		.amdhsa_float_round_mode_32 0
		.amdhsa_float_round_mode_16_64 0
		.amdhsa_float_denorm_mode_32 3
		.amdhsa_float_denorm_mode_16_64 3
		.amdhsa_dx10_clamp 1
		.amdhsa_ieee_mode 1
		.amdhsa_fp16_overflow 0
		.amdhsa_tg_split 0
		.amdhsa_exception_fp_ieee_invalid_op 0
		.amdhsa_exception_fp_denorm_src 0
		.amdhsa_exception_fp_ieee_div_zero 0
		.amdhsa_exception_fp_ieee_overflow 0
		.amdhsa_exception_fp_ieee_underflow 0
		.amdhsa_exception_fp_ieee_inexact 0
		.amdhsa_exception_int_div_zero 0
	.end_amdhsa_kernel
	.section	.text._ZL29rocblas_internal_gemmt_kernelIlLi16ELi32ELi8ELc84ELc78ELc76ELb0ELb0EfPKfPKS1_PKPfEviT_T9_T10_S7_lS9_S7_lS8_T11_S7_li,"axG",@progbits,_ZL29rocblas_internal_gemmt_kernelIlLi16ELi32ELi8ELc84ELc78ELc76ELb0ELb0EfPKfPKS1_PKPfEviT_T9_T10_S7_lS9_S7_lS8_T11_S7_li,comdat
.Lfunc_end444:
	.size	_ZL29rocblas_internal_gemmt_kernelIlLi16ELi32ELi8ELc84ELc78ELc76ELb0ELb0EfPKfPKS1_PKPfEviT_T9_T10_S7_lS9_S7_lS8_T11_S7_li, .Lfunc_end444-_ZL29rocblas_internal_gemmt_kernelIlLi16ELi32ELi8ELc84ELc78ELc76ELb0ELb0EfPKfPKS1_PKPfEviT_T9_T10_S7_lS9_S7_lS8_T11_S7_li
                                        ; -- End function
	.set _ZL29rocblas_internal_gemmt_kernelIlLi16ELi32ELi8ELc84ELc78ELc76ELb0ELb0EfPKfPKS1_PKPfEviT_T9_T10_S7_lS9_S7_lS8_T11_S7_li.num_vgpr, 50
	.set _ZL29rocblas_internal_gemmt_kernelIlLi16ELi32ELi8ELc84ELc78ELc76ELb0ELb0EfPKfPKS1_PKPfEviT_T9_T10_S7_lS9_S7_lS8_T11_S7_li.num_agpr, 0
	.set _ZL29rocblas_internal_gemmt_kernelIlLi16ELi32ELi8ELc84ELc78ELc76ELb0ELb0EfPKfPKS1_PKPfEviT_T9_T10_S7_lS9_S7_lS8_T11_S7_li.numbered_sgpr, 35
	.set _ZL29rocblas_internal_gemmt_kernelIlLi16ELi32ELi8ELc84ELc78ELc76ELb0ELb0EfPKfPKS1_PKPfEviT_T9_T10_S7_lS9_S7_lS8_T11_S7_li.num_named_barrier, 0
	.set _ZL29rocblas_internal_gemmt_kernelIlLi16ELi32ELi8ELc84ELc78ELc76ELb0ELb0EfPKfPKS1_PKPfEviT_T9_T10_S7_lS9_S7_lS8_T11_S7_li.private_seg_size, 0
	.set _ZL29rocblas_internal_gemmt_kernelIlLi16ELi32ELi8ELc84ELc78ELc76ELb0ELb0EfPKfPKS1_PKPfEviT_T9_T10_S7_lS9_S7_lS8_T11_S7_li.uses_vcc, 1
	.set _ZL29rocblas_internal_gemmt_kernelIlLi16ELi32ELi8ELc84ELc78ELc76ELb0ELb0EfPKfPKS1_PKPfEviT_T9_T10_S7_lS9_S7_lS8_T11_S7_li.uses_flat_scratch, 0
	.set _ZL29rocblas_internal_gemmt_kernelIlLi16ELi32ELi8ELc84ELc78ELc76ELb0ELb0EfPKfPKS1_PKPfEviT_T9_T10_S7_lS9_S7_lS8_T11_S7_li.has_dyn_sized_stack, 0
	.set _ZL29rocblas_internal_gemmt_kernelIlLi16ELi32ELi8ELc84ELc78ELc76ELb0ELb0EfPKfPKS1_PKPfEviT_T9_T10_S7_lS9_S7_lS8_T11_S7_li.has_recursion, 0
	.set _ZL29rocblas_internal_gemmt_kernelIlLi16ELi32ELi8ELc84ELc78ELc76ELb0ELb0EfPKfPKS1_PKPfEviT_T9_T10_S7_lS9_S7_lS8_T11_S7_li.has_indirect_call, 0
	.section	.AMDGPU.csdata,"",@progbits
; Kernel info:
; codeLenInByte = 1312
; TotalNumSgprs: 41
; NumVgprs: 50
; NumAgprs: 0
; TotalNumVgprs: 50
; ScratchSize: 0
; MemoryBound: 0
; FloatMode: 240
; IeeeMode: 1
; LDSByteSize: 2048 bytes/workgroup (compile time only)
; SGPRBlocks: 5
; VGPRBlocks: 6
; NumSGPRsForWavesPerEU: 41
; NumVGPRsForWavesPerEU: 50
; AccumOffset: 52
; Occupancy: 8
; WaveLimiterHint : 1
; COMPUTE_PGM_RSRC2:SCRATCH_EN: 0
; COMPUTE_PGM_RSRC2:USER_SGPR: 2
; COMPUTE_PGM_RSRC2:TRAP_HANDLER: 0
; COMPUTE_PGM_RSRC2:TGID_X_EN: 1
; COMPUTE_PGM_RSRC2:TGID_Y_EN: 1
; COMPUTE_PGM_RSRC2:TGID_Z_EN: 1
; COMPUTE_PGM_RSRC2:TIDIG_COMP_CNT: 1
; COMPUTE_PGM_RSRC3_GFX90A:ACCUM_OFFSET: 12
; COMPUTE_PGM_RSRC3_GFX90A:TG_SPLIT: 0
	.section	.text._ZL29rocblas_internal_gemmt_kernelIlLi16ELi32ELi8ELc84ELc84ELc76ELb0ELb0EfPKfPKS1_PKPfEviT_T9_T10_S7_lS9_S7_lS8_T11_S7_li,"axG",@progbits,_ZL29rocblas_internal_gemmt_kernelIlLi16ELi32ELi8ELc84ELc84ELc76ELb0ELb0EfPKfPKS1_PKPfEviT_T9_T10_S7_lS9_S7_lS8_T11_S7_li,comdat
	.globl	_ZL29rocblas_internal_gemmt_kernelIlLi16ELi32ELi8ELc84ELc84ELc76ELb0ELb0EfPKfPKS1_PKPfEviT_T9_T10_S7_lS9_S7_lS8_T11_S7_li ; -- Begin function _ZL29rocblas_internal_gemmt_kernelIlLi16ELi32ELi8ELc84ELc84ELc76ELb0ELb0EfPKfPKS1_PKPfEviT_T9_T10_S7_lS9_S7_lS8_T11_S7_li
	.p2align	8
	.type	_ZL29rocblas_internal_gemmt_kernelIlLi16ELi32ELi8ELc84ELc84ELc76ELb0ELb0EfPKfPKS1_PKPfEviT_T9_T10_S7_lS9_S7_lS8_T11_S7_li,@function
_ZL29rocblas_internal_gemmt_kernelIlLi16ELi32ELi8ELc84ELc84ELc76ELb0ELb0EfPKfPKS1_PKPfEviT_T9_T10_S7_lS9_S7_lS8_T11_S7_li: ; @_ZL29rocblas_internal_gemmt_kernelIlLi16ELi32ELi8ELc84ELc84ELc76ELb0ELb0EfPKfPKS1_PKPfEviT_T9_T10_S7_lS9_S7_lS8_T11_S7_li
; %bb.0:
	s_load_dwordx8 s[24:31], s[0:1], 0x48
	s_load_dwordx16 s[8:23], s[0:1], 0x8
	s_waitcnt lgkmcnt(0)
	s_load_dword s33, s[24:25], 0x0
	s_load_dword s34, s[10:11], 0x0
	s_waitcnt lgkmcnt(0)
	v_cmp_neq_f32_e64 s[6:7], s33, 1.0
	s_and_b64 vcc, exec, s[6:7]
	s_cbranch_vccnz .LBB445_2
; %bb.1:
	s_cmp_lg_u64 s[8:9], 0
	s_cselect_b64 s[6:7], -1, 0
	v_cmp_neq_f32_e64 s[10:11], s34, 0
	s_and_b64 s[6:7], s[6:7], s[10:11]
.LBB445_2:
	s_andn2_b64 vcc, exec, s[6:7]
	s_cbranch_vccnz .LBB445_28
; %bb.3:
	s_mov_b32 s5, 0
	s_load_dword s24, s[0:1], 0x0
	s_lshl_b64 s[0:1], s[4:5], 3
	s_add_u32 s4, s26, s0
	s_addc_u32 s5, s27, s1
	s_load_dwordx2 s[4:5], s[4:5], 0x0
	s_lshl_b32 s25, s2, 5
	s_lshl_b32 s26, s3, 5
	v_cmp_eq_f32_e64 s[2:3], s34, 0
	v_cmp_lt_i64_e64 s[6:7], s[8:9], 1
	v_mov_b32_e32 v3, 0
	s_or_b64 s[2:3], s[2:3], s[6:7]
	v_and_b32_e32 v5, 0x3ff, v0
	v_bfe_u32 v7, v0, 10, 10
	s_and_b64 vcc, exec, s[2:3]
	v_mov_b32_e32 v2, v3
	v_mov_b32_e32 v1, v3
	;; [unrolled: 1-line block ×3, first 2 shown]
	s_cbranch_vccnz .LBB445_12
; %bb.4:
	s_add_u32 s2, s18, s0
	s_addc_u32 s3, s19, s1
	s_load_dwordx2 s[2:3], s[2:3], 0x0
	s_lshl_b64 s[6:7], s[22:23], 2
	v_lshl_add_u32 v1, v7, 4, v5
	v_lshrrev_b32_e32 v6, 5, v1
	v_lshrrev_b32_e32 v10, 3, v1
	s_waitcnt lgkmcnt(0)
	s_add_u32 s6, s2, s6
	s_addc_u32 s7, s3, s7
	s_add_u32 s0, s12, s0
	s_addc_u32 s1, s13, s1
	s_load_dwordx2 s[0:1], s[0:1], 0x0
	v_and_b32_e32 v1, 31, v1
	s_lshl_b64 s[2:3], s[16:17], 2
	v_or_b32_e32 v2, s25, v1
	v_lshlrev_b32_e32 v1, 2, v1
	s_waitcnt lgkmcnt(0)
	s_add_u32 s2, s0, s2
	s_addc_u32 s3, s1, s3
	v_cmp_gt_i32_e64 s[0:1], s24, v2
	v_lshl_or_b32 v14, v6, 7, v1
	s_ashr_i32 s12, s25, 31
	v_mul_lo_u32 v1, s15, v2
	v_mad_u64_u32 v[2:3], s[10:11], s14, v2, 0
	v_and_b32_e32 v4, 7, v5
	s_mul_i32 s10, s14, s12
	v_add3_u32 v3, v3, s10, v1
	v_lshlrev_b32_e32 v1, 2, v4
	v_add_u32_e32 v0, s26, v10
	v_lshl_or_b32 v1, v10, 5, v1
	v_add_u32_e32 v15, 0x400, v1
	v_ashrrev_i32_e32 v1, 31, v0
	v_lshl_add_u64 v[8:9], v[2:3], 2, s[2:3]
	v_cmp_gt_i32_e64 s[2:3], s24, v0
	v_lshl_add_u64 v[10:11], v[0:1], 2, s[6:7]
	v_mov_b32_e32 v0, 0x400
	v_mov_b32_e32 v13, 0
	v_lshlrev_b32_e32 v16, 2, v5
	v_lshl_add_u32 v17, v7, 5, v0
	s_mov_b64 s[6:7], 0
	v_mov_b32_e32 v0, v13
	v_mov_b32_e32 v1, v13
	;; [unrolled: 1-line block ×4, first 2 shown]
	s_branch .LBB445_6
.LBB445_5:                              ;   in Loop: Header=BB445_6 Depth=1
	s_or_b64 exec, exec, s[10:11]
	s_waitcnt vmcnt(0) lgkmcnt(0)
	ds_write_b32 v15, v18
	s_waitcnt lgkmcnt(0)
	s_barrier
	ds_read_b128 v[18:21], v17
	ds_read_b128 v[22:25], v17 offset:16
	ds_read2_b32 v[34:35], v16 offset1:16
	ds_read2_b32 v[36:37], v16 offset0:32 offset1:48
	ds_read2_b32 v[38:39], v16 offset0:64 offset1:80
	;; [unrolled: 1-line block ×4, first 2 shown]
	ds_read_b128 v[26:29], v17 offset:512
	ds_read_b128 v[30:33], v17 offset:528
	ds_read2_b32 v[44:45], v16 offset0:160 offset1:176
	ds_read2_b32 v[46:47], v16 offset0:192 offset1:208
	ds_read2_b32 v[48:49], v16 offset0:224 offset1:240
	s_waitcnt lgkmcnt(9)
	v_pk_fma_f32 v[2:3], v[34:35], v[18:19], v[2:3] op_sel_hi:[1,0,1]
	v_mov_b32_e32 v12, v21
	s_waitcnt lgkmcnt(8)
	v_pk_fma_f32 v[2:3], v[36:37], v[18:19], v[2:3] op_sel:[0,1,0]
	s_waitcnt lgkmcnt(4)
	v_pk_fma_f32 v[0:1], v[34:35], v[26:27], v[0:1] op_sel_hi:[1,0,1]
	v_pk_fma_f32 v[2:3], v[38:39], v[20:21], v[2:3] op_sel_hi:[1,0,1]
	v_pk_fma_f32 v[0:1], v[36:37], v[26:27], v[0:1] op_sel:[0,1,0]
	v_pk_fma_f32 v[2:3], v[40:41], v[12:13], v[2:3] op_sel_hi:[1,0,1]
	v_mov_b32_e32 v12, v25
	v_pk_fma_f32 v[2:3], v[42:43], v[22:23], v[2:3] op_sel_hi:[1,0,1]
	v_pk_fma_f32 v[0:1], v[38:39], v[28:29], v[0:1] op_sel_hi:[1,0,1]
	s_waitcnt lgkmcnt(2)
	v_pk_fma_f32 v[2:3], v[44:45], v[22:23], v[2:3] op_sel:[0,1,0]
	s_add_u32 s6, s6, 8
	s_waitcnt lgkmcnt(1)
	v_pk_fma_f32 v[2:3], v[46:47], v[24:25], v[2:3] op_sel_hi:[1,0,1]
	s_addc_u32 s7, s7, 0
	s_waitcnt lgkmcnt(0)
	v_pk_fma_f32 v[2:3], v[48:49], v[12:13], v[2:3] op_sel_hi:[1,0,1]
	v_mov_b32_e32 v12, v29
	v_pk_fma_f32 v[0:1], v[40:41], v[12:13], v[0:1] op_sel_hi:[1,0,1]
	v_mov_b64_e32 v[18:19], s[6:7]
	v_pk_fma_f32 v[0:1], v[42:43], v[30:31], v[0:1] op_sel_hi:[1,0,1]
	v_mov_b32_e32 v12, v33
	v_pk_fma_f32 v[0:1], v[44:45], v[30:31], v[0:1] op_sel:[0,1,0]
	v_cmp_gt_i64_e32 vcc, s[8:9], v[18:19]
	v_pk_fma_f32 v[0:1], v[46:47], v[32:33], v[0:1] op_sel_hi:[1,0,1]
	s_nop 0
	v_pk_fma_f32 v[0:1], v[48:49], v[12:13], v[0:1] op_sel_hi:[1,0,1]
	s_barrier
	s_cbranch_vccz .LBB445_12
.LBB445_6:                              ; =>This Inner Loop Header: Depth=1
	v_mov_b32_e32 v18, 0
	s_and_saveexec_b64 s[10:11], s[0:1]
	s_cbranch_execz .LBB445_10
; %bb.7:                                ;   in Loop: Header=BB445_6 Depth=1
	v_add_u32_e32 v12, s6, v6
	v_cmp_gt_u64_e32 vcc, s[8:9], v[12:13]
	v_mov_b32_e32 v18, 0
	s_and_saveexec_b64 s[12:13], vcc
	s_cbranch_execz .LBB445_9
; %bb.8:                                ;   in Loop: Header=BB445_6 Depth=1
	v_lshl_add_u64 v[18:19], v[12:13], 2, v[8:9]
	flat_load_dword v18, v[18:19]
.LBB445_9:                              ;   in Loop: Header=BB445_6 Depth=1
	s_or_b64 exec, exec, s[12:13]
.LBB445_10:                             ;   in Loop: Header=BB445_6 Depth=1
	s_or_b64 exec, exec, s[10:11]
	v_add_u32_e32 v12, s6, v4
	v_cmp_gt_u64_e32 vcc, s[8:9], v[12:13]
	s_waitcnt vmcnt(0) lgkmcnt(0)
	ds_write_b32 v14, v18
	s_and_b64 s[12:13], vcc, s[2:3]
	v_mov_b32_e32 v18, 0
	s_and_saveexec_b64 s[10:11], s[12:13]
	s_cbranch_execz .LBB445_5
; %bb.11:                               ;   in Loop: Header=BB445_6 Depth=1
	v_mad_u64_u32 v[18:19], s[12:13], s20, v12, 0
	v_mov_b32_e32 v20, v19
	v_mad_u64_u32 v[20:21], s[12:13], s21, v12, v[20:21]
	v_mov_b32_e32 v19, v20
	v_lshl_add_u64 v[18:19], v[18:19], 2, v[10:11]
	flat_load_dword v18, v[18:19]
	s_branch .LBB445_5
.LBB445_12:
	s_lshl_b64 s[0:1], s[30:31], 2
	v_add_u32_e32 v10, s26, v7
	s_waitcnt lgkmcnt(0)
	s_add_u32 s6, s4, s0
	v_add_u32_e32 v4, s25, v5
	v_ashrrev_i32_e32 v5, 31, v10
	s_addc_u32 s7, s5, s1
	v_mul_lo_u32 v5, s28, v5
	v_mul_lo_u32 v8, s29, v10
	v_mad_u64_u32 v[6:7], s[0:1], s28, v10, 0
	v_add3_u32 v7, v7, v5, v8
	v_cmp_neq_f32_e64 s[0:1], s33, 0
	v_lshl_add_u64 v[8:9], v[6:7], 2, s[6:7]
	v_cmp_le_i32_e32 vcc, v10, v4
	v_cmp_gt_i32_e64 s[2:3], s24, v4
	v_cndmask_b32_e64 v6, 0, 1, s[0:1]
	s_and_b64 s[8:9], vcc, s[2:3]
	v_ashrrev_i32_e32 v5, 31, v4
	v_cmp_ne_u32_e64 s[0:1], 1, v6
	s_and_saveexec_b64 s[4:5], s[8:9]
	s_cbranch_execz .LBB445_16
; %bb.13:
	v_mul_f32_e32 v2, s34, v2
	s_and_b64 vcc, exec, s[0:1]
	v_lshl_add_u64 v[6:7], v[4:5], 2, v[8:9]
	s_cbranch_vccnz .LBB445_15
; %bb.14:
	flat_load_dword v11, v[6:7]
	s_waitcnt vmcnt(0) lgkmcnt(0)
	v_fmac_f32_e32 v2, s33, v11
.LBB445_15:
	flat_store_dword v[6:7], v2
.LBB445_16:
	s_or_b64 exec, exec, s[4:5]
	v_add_u32_e32 v6, 16, v4
	v_cmp_le_i32_e32 vcc, v10, v6
	v_cmp_gt_i32_e64 s[4:5], s24, v6
	s_and_b64 s[10:11], vcc, s[4:5]
	v_ashrrev_i32_e32 v7, 31, v6
	s_and_saveexec_b64 s[8:9], s[10:11]
	s_cbranch_execz .LBB445_20
; %bb.17:
	v_mul_f32_e32 v11, s34, v3
	s_and_b64 vcc, exec, s[0:1]
	v_lshl_add_u64 v[2:3], v[6:7], 2, v[8:9]
	s_cbranch_vccnz .LBB445_19
; %bb.18:
	flat_load_dword v8, v[2:3]
	s_waitcnt vmcnt(0) lgkmcnt(0)
	v_fmac_f32_e32 v11, s33, v8
.LBB445_19:
	flat_store_dword v[2:3], v11
.LBB445_20:
	s_or_b64 exec, exec, s[8:9]
	v_add_u32_e32 v8, 16, v10
	v_ashrrev_i32_e32 v2, 31, v8
	v_mul_lo_u32 v9, s28, v2
	v_mul_lo_u32 v10, s29, v8
	v_mad_u64_u32 v[2:3], s[8:9], s28, v8, 0
	v_add3_u32 v3, v3, v9, v10
	v_cmp_le_i32_e32 vcc, v8, v4
	v_lshl_add_u64 v[2:3], v[2:3], 2, s[6:7]
	s_and_b64 s[6:7], vcc, s[2:3]
	s_and_saveexec_b64 s[2:3], s[6:7]
	s_cbranch_execz .LBB445_24
; %bb.21:
	v_mul_f32_e32 v0, s34, v0
	s_and_b64 vcc, exec, s[0:1]
	v_lshl_add_u64 v[4:5], v[4:5], 2, v[2:3]
	s_cbranch_vccnz .LBB445_23
; %bb.22:
	flat_load_dword v9, v[4:5]
	s_waitcnt vmcnt(0) lgkmcnt(0)
	v_fmac_f32_e32 v0, s33, v9
.LBB445_23:
	flat_store_dword v[4:5], v0
.LBB445_24:
	s_or_b64 exec, exec, s[2:3]
	v_cmp_le_i32_e32 vcc, v8, v6
	s_and_b64 s[2:3], vcc, s[4:5]
	s_and_saveexec_b64 s[4:5], s[2:3]
	s_cbranch_execz .LBB445_28
; %bb.25:
	v_mul_f32_e32 v4, s34, v1
	s_and_b64 vcc, exec, s[0:1]
	v_lshl_add_u64 v[0:1], v[6:7], 2, v[2:3]
	s_cbranch_vccnz .LBB445_27
; %bb.26:
	flat_load_dword v2, v[0:1]
	s_waitcnt vmcnt(0) lgkmcnt(0)
	v_fmac_f32_e32 v4, s33, v2
.LBB445_27:
	flat_store_dword v[0:1], v4
.LBB445_28:
	s_endpgm
	.section	.rodata,"a",@progbits
	.p2align	6, 0x0
	.amdhsa_kernel _ZL29rocblas_internal_gemmt_kernelIlLi16ELi32ELi8ELc84ELc84ELc76ELb0ELb0EfPKfPKS1_PKPfEviT_T9_T10_S7_lS9_S7_lS8_T11_S7_li
		.amdhsa_group_segment_fixed_size 2048
		.amdhsa_private_segment_fixed_size 0
		.amdhsa_kernarg_size 108
		.amdhsa_user_sgpr_count 2
		.amdhsa_user_sgpr_dispatch_ptr 0
		.amdhsa_user_sgpr_queue_ptr 0
		.amdhsa_user_sgpr_kernarg_segment_ptr 1
		.amdhsa_user_sgpr_dispatch_id 0
		.amdhsa_user_sgpr_kernarg_preload_length 0
		.amdhsa_user_sgpr_kernarg_preload_offset 0
		.amdhsa_user_sgpr_private_segment_size 0
		.amdhsa_uses_dynamic_stack 0
		.amdhsa_enable_private_segment 0
		.amdhsa_system_sgpr_workgroup_id_x 1
		.amdhsa_system_sgpr_workgroup_id_y 1
		.amdhsa_system_sgpr_workgroup_id_z 1
		.amdhsa_system_sgpr_workgroup_info 0
		.amdhsa_system_vgpr_workitem_id 1
		.amdhsa_next_free_vgpr 50
		.amdhsa_next_free_sgpr 35
		.amdhsa_accum_offset 52
		.amdhsa_reserve_vcc 1
		.amdhsa_float_round_mode_32 0
		.amdhsa_float_round_mode_16_64 0
		.amdhsa_float_denorm_mode_32 3
		.amdhsa_float_denorm_mode_16_64 3
		.amdhsa_dx10_clamp 1
		.amdhsa_ieee_mode 1
		.amdhsa_fp16_overflow 0
		.amdhsa_tg_split 0
		.amdhsa_exception_fp_ieee_invalid_op 0
		.amdhsa_exception_fp_denorm_src 0
		.amdhsa_exception_fp_ieee_div_zero 0
		.amdhsa_exception_fp_ieee_overflow 0
		.amdhsa_exception_fp_ieee_underflow 0
		.amdhsa_exception_fp_ieee_inexact 0
		.amdhsa_exception_int_div_zero 0
	.end_amdhsa_kernel
	.section	.text._ZL29rocblas_internal_gemmt_kernelIlLi16ELi32ELi8ELc84ELc84ELc76ELb0ELb0EfPKfPKS1_PKPfEviT_T9_T10_S7_lS9_S7_lS8_T11_S7_li,"axG",@progbits,_ZL29rocblas_internal_gemmt_kernelIlLi16ELi32ELi8ELc84ELc84ELc76ELb0ELb0EfPKfPKS1_PKPfEviT_T9_T10_S7_lS9_S7_lS8_T11_S7_li,comdat
.Lfunc_end445:
	.size	_ZL29rocblas_internal_gemmt_kernelIlLi16ELi32ELi8ELc84ELc84ELc76ELb0ELb0EfPKfPKS1_PKPfEviT_T9_T10_S7_lS9_S7_lS8_T11_S7_li, .Lfunc_end445-_ZL29rocblas_internal_gemmt_kernelIlLi16ELi32ELi8ELc84ELc84ELc76ELb0ELb0EfPKfPKS1_PKPfEviT_T9_T10_S7_lS9_S7_lS8_T11_S7_li
                                        ; -- End function
	.set _ZL29rocblas_internal_gemmt_kernelIlLi16ELi32ELi8ELc84ELc84ELc76ELb0ELb0EfPKfPKS1_PKPfEviT_T9_T10_S7_lS9_S7_lS8_T11_S7_li.num_vgpr, 50
	.set _ZL29rocblas_internal_gemmt_kernelIlLi16ELi32ELi8ELc84ELc84ELc76ELb0ELb0EfPKfPKS1_PKPfEviT_T9_T10_S7_lS9_S7_lS8_T11_S7_li.num_agpr, 0
	.set _ZL29rocblas_internal_gemmt_kernelIlLi16ELi32ELi8ELc84ELc84ELc76ELb0ELb0EfPKfPKS1_PKPfEviT_T9_T10_S7_lS9_S7_lS8_T11_S7_li.numbered_sgpr, 35
	.set _ZL29rocblas_internal_gemmt_kernelIlLi16ELi32ELi8ELc84ELc84ELc76ELb0ELb0EfPKfPKS1_PKPfEviT_T9_T10_S7_lS9_S7_lS8_T11_S7_li.num_named_barrier, 0
	.set _ZL29rocblas_internal_gemmt_kernelIlLi16ELi32ELi8ELc84ELc84ELc76ELb0ELb0EfPKfPKS1_PKPfEviT_T9_T10_S7_lS9_S7_lS8_T11_S7_li.private_seg_size, 0
	.set _ZL29rocblas_internal_gemmt_kernelIlLi16ELi32ELi8ELc84ELc84ELc76ELb0ELb0EfPKfPKS1_PKPfEviT_T9_T10_S7_lS9_S7_lS8_T11_S7_li.uses_vcc, 1
	.set _ZL29rocblas_internal_gemmt_kernelIlLi16ELi32ELi8ELc84ELc84ELc76ELb0ELb0EfPKfPKS1_PKPfEviT_T9_T10_S7_lS9_S7_lS8_T11_S7_li.uses_flat_scratch, 0
	.set _ZL29rocblas_internal_gemmt_kernelIlLi16ELi32ELi8ELc84ELc84ELc76ELb0ELb0EfPKfPKS1_PKPfEviT_T9_T10_S7_lS9_S7_lS8_T11_S7_li.has_dyn_sized_stack, 0
	.set _ZL29rocblas_internal_gemmt_kernelIlLi16ELi32ELi8ELc84ELc84ELc76ELb0ELb0EfPKfPKS1_PKPfEviT_T9_T10_S7_lS9_S7_lS8_T11_S7_li.has_recursion, 0
	.set _ZL29rocblas_internal_gemmt_kernelIlLi16ELi32ELi8ELc84ELc84ELc76ELb0ELb0EfPKfPKS1_PKPfEviT_T9_T10_S7_lS9_S7_lS8_T11_S7_li.has_indirect_call, 0
	.section	.AMDGPU.csdata,"",@progbits
; Kernel info:
; codeLenInByte = 1304
; TotalNumSgprs: 41
; NumVgprs: 50
; NumAgprs: 0
; TotalNumVgprs: 50
; ScratchSize: 0
; MemoryBound: 0
; FloatMode: 240
; IeeeMode: 1
; LDSByteSize: 2048 bytes/workgroup (compile time only)
; SGPRBlocks: 5
; VGPRBlocks: 6
; NumSGPRsForWavesPerEU: 41
; NumVGPRsForWavesPerEU: 50
; AccumOffset: 52
; Occupancy: 8
; WaveLimiterHint : 1
; COMPUTE_PGM_RSRC2:SCRATCH_EN: 0
; COMPUTE_PGM_RSRC2:USER_SGPR: 2
; COMPUTE_PGM_RSRC2:TRAP_HANDLER: 0
; COMPUTE_PGM_RSRC2:TGID_X_EN: 1
; COMPUTE_PGM_RSRC2:TGID_Y_EN: 1
; COMPUTE_PGM_RSRC2:TGID_Z_EN: 1
; COMPUTE_PGM_RSRC2:TIDIG_COMP_CNT: 1
; COMPUTE_PGM_RSRC3_GFX90A:ACCUM_OFFSET: 12
; COMPUTE_PGM_RSRC3_GFX90A:TG_SPLIT: 0
	.section	.text._ZL29rocblas_internal_gemmt_kernelIlLi16ELi32ELi8ELc84ELc67ELc76ELb0ELb0EfPKfPKS1_PKPfEviT_T9_T10_S7_lS9_S7_lS8_T11_S7_li,"axG",@progbits,_ZL29rocblas_internal_gemmt_kernelIlLi16ELi32ELi8ELc84ELc67ELc76ELb0ELb0EfPKfPKS1_PKPfEviT_T9_T10_S7_lS9_S7_lS8_T11_S7_li,comdat
	.globl	_ZL29rocblas_internal_gemmt_kernelIlLi16ELi32ELi8ELc84ELc67ELc76ELb0ELb0EfPKfPKS1_PKPfEviT_T9_T10_S7_lS9_S7_lS8_T11_S7_li ; -- Begin function _ZL29rocblas_internal_gemmt_kernelIlLi16ELi32ELi8ELc84ELc67ELc76ELb0ELb0EfPKfPKS1_PKPfEviT_T9_T10_S7_lS9_S7_lS8_T11_S7_li
	.p2align	8
	.type	_ZL29rocblas_internal_gemmt_kernelIlLi16ELi32ELi8ELc84ELc67ELc76ELb0ELb0EfPKfPKS1_PKPfEviT_T9_T10_S7_lS9_S7_lS8_T11_S7_li,@function
_ZL29rocblas_internal_gemmt_kernelIlLi16ELi32ELi8ELc84ELc67ELc76ELb0ELb0EfPKfPKS1_PKPfEviT_T9_T10_S7_lS9_S7_lS8_T11_S7_li: ; @_ZL29rocblas_internal_gemmt_kernelIlLi16ELi32ELi8ELc84ELc67ELc76ELb0ELb0EfPKfPKS1_PKPfEviT_T9_T10_S7_lS9_S7_lS8_T11_S7_li
; %bb.0:
	s_load_dwordx8 s[24:31], s[0:1], 0x48
	s_load_dwordx16 s[8:23], s[0:1], 0x8
	s_waitcnt lgkmcnt(0)
	s_load_dword s33, s[24:25], 0x0
	s_load_dword s34, s[10:11], 0x0
	s_waitcnt lgkmcnt(0)
	v_cmp_neq_f32_e64 s[6:7], s33, 1.0
	s_and_b64 vcc, exec, s[6:7]
	s_cbranch_vccnz .LBB446_2
; %bb.1:
	s_cmp_lg_u64 s[8:9], 0
	s_cselect_b64 s[6:7], -1, 0
	v_cmp_neq_f32_e64 s[10:11], s34, 0
	s_and_b64 s[6:7], s[6:7], s[10:11]
.LBB446_2:
	s_andn2_b64 vcc, exec, s[6:7]
	s_cbranch_vccnz .LBB446_28
; %bb.3:
	s_mov_b32 s5, 0
	s_load_dword s24, s[0:1], 0x0
	s_lshl_b64 s[0:1], s[4:5], 3
	s_add_u32 s4, s26, s0
	s_addc_u32 s5, s27, s1
	s_load_dwordx2 s[4:5], s[4:5], 0x0
	s_lshl_b32 s25, s2, 5
	s_lshl_b32 s26, s3, 5
	v_cmp_eq_f32_e64 s[2:3], s34, 0
	v_cmp_lt_i64_e64 s[6:7], s[8:9], 1
	v_mov_b32_e32 v3, 0
	s_or_b64 s[2:3], s[2:3], s[6:7]
	v_and_b32_e32 v5, 0x3ff, v0
	v_bfe_u32 v7, v0, 10, 10
	s_and_b64 vcc, exec, s[2:3]
	v_mov_b32_e32 v2, v3
	v_mov_b32_e32 v1, v3
	;; [unrolled: 1-line block ×3, first 2 shown]
	s_cbranch_vccnz .LBB446_12
; %bb.4:
	s_add_u32 s2, s18, s0
	s_addc_u32 s3, s19, s1
	s_load_dwordx2 s[2:3], s[2:3], 0x0
	s_lshl_b64 s[6:7], s[22:23], 2
	v_lshl_add_u32 v1, v7, 4, v5
	v_lshrrev_b32_e32 v6, 5, v1
	v_lshrrev_b32_e32 v10, 3, v1
	s_waitcnt lgkmcnt(0)
	s_add_u32 s6, s2, s6
	s_addc_u32 s7, s3, s7
	s_add_u32 s0, s12, s0
	s_addc_u32 s1, s13, s1
	s_load_dwordx2 s[0:1], s[0:1], 0x0
	v_and_b32_e32 v1, 31, v1
	s_lshl_b64 s[2:3], s[16:17], 2
	v_or_b32_e32 v2, s25, v1
	v_lshlrev_b32_e32 v1, 2, v1
	s_waitcnt lgkmcnt(0)
	s_add_u32 s2, s0, s2
	s_addc_u32 s3, s1, s3
	v_cmp_gt_i32_e64 s[0:1], s24, v2
	v_lshl_or_b32 v14, v6, 7, v1
	s_ashr_i32 s12, s25, 31
	v_mul_lo_u32 v1, s15, v2
	v_mad_u64_u32 v[2:3], s[10:11], s14, v2, 0
	v_and_b32_e32 v4, 7, v5
	s_mul_i32 s10, s14, s12
	v_add3_u32 v3, v3, s10, v1
	v_lshlrev_b32_e32 v1, 2, v4
	v_add_u32_e32 v0, s26, v10
	v_lshl_or_b32 v1, v10, 5, v1
	v_add_u32_e32 v15, 0x400, v1
	v_ashrrev_i32_e32 v1, 31, v0
	v_lshl_add_u64 v[8:9], v[2:3], 2, s[2:3]
	v_cmp_gt_i32_e64 s[2:3], s24, v0
	v_lshl_add_u64 v[10:11], v[0:1], 2, s[6:7]
	v_mov_b32_e32 v0, 0x400
	v_mov_b32_e32 v13, 0
	v_lshlrev_b32_e32 v16, 2, v5
	v_lshl_add_u32 v17, v7, 5, v0
	s_mov_b64 s[6:7], 0
	v_mov_b32_e32 v0, v13
	v_mov_b32_e32 v1, v13
	;; [unrolled: 1-line block ×4, first 2 shown]
	s_branch .LBB446_6
.LBB446_5:                              ;   in Loop: Header=BB446_6 Depth=1
	s_or_b64 exec, exec, s[10:11]
	s_waitcnt vmcnt(0) lgkmcnt(0)
	ds_write_b32 v15, v18
	s_waitcnt lgkmcnt(0)
	s_barrier
	ds_read_b128 v[18:21], v17
	ds_read_b128 v[22:25], v17 offset:16
	ds_read2_b32 v[34:35], v16 offset1:16
	ds_read2_b32 v[36:37], v16 offset0:32 offset1:48
	ds_read2_b32 v[38:39], v16 offset0:64 offset1:80
	;; [unrolled: 1-line block ×4, first 2 shown]
	ds_read_b128 v[26:29], v17 offset:512
	ds_read_b128 v[30:33], v17 offset:528
	ds_read2_b32 v[44:45], v16 offset0:160 offset1:176
	ds_read2_b32 v[46:47], v16 offset0:192 offset1:208
	;; [unrolled: 1-line block ×3, first 2 shown]
	s_waitcnt lgkmcnt(9)
	v_pk_fma_f32 v[2:3], v[34:35], v[18:19], v[2:3] op_sel_hi:[1,0,1]
	v_mov_b32_e32 v12, v21
	s_waitcnt lgkmcnt(8)
	v_pk_fma_f32 v[2:3], v[36:37], v[18:19], v[2:3] op_sel:[0,1,0]
	s_waitcnt lgkmcnt(4)
	v_pk_fma_f32 v[0:1], v[34:35], v[26:27], v[0:1] op_sel_hi:[1,0,1]
	v_pk_fma_f32 v[2:3], v[38:39], v[20:21], v[2:3] op_sel_hi:[1,0,1]
	v_pk_fma_f32 v[0:1], v[36:37], v[26:27], v[0:1] op_sel:[0,1,0]
	v_pk_fma_f32 v[2:3], v[40:41], v[12:13], v[2:3] op_sel_hi:[1,0,1]
	v_mov_b32_e32 v12, v25
	v_pk_fma_f32 v[2:3], v[42:43], v[22:23], v[2:3] op_sel_hi:[1,0,1]
	v_pk_fma_f32 v[0:1], v[38:39], v[28:29], v[0:1] op_sel_hi:[1,0,1]
	s_waitcnt lgkmcnt(2)
	v_pk_fma_f32 v[2:3], v[44:45], v[22:23], v[2:3] op_sel:[0,1,0]
	s_add_u32 s6, s6, 8
	s_waitcnt lgkmcnt(1)
	v_pk_fma_f32 v[2:3], v[46:47], v[24:25], v[2:3] op_sel_hi:[1,0,1]
	s_addc_u32 s7, s7, 0
	s_waitcnt lgkmcnt(0)
	v_pk_fma_f32 v[2:3], v[48:49], v[12:13], v[2:3] op_sel_hi:[1,0,1]
	v_mov_b32_e32 v12, v29
	v_pk_fma_f32 v[0:1], v[40:41], v[12:13], v[0:1] op_sel_hi:[1,0,1]
	v_mov_b64_e32 v[18:19], s[6:7]
	v_pk_fma_f32 v[0:1], v[42:43], v[30:31], v[0:1] op_sel_hi:[1,0,1]
	v_mov_b32_e32 v12, v33
	v_pk_fma_f32 v[0:1], v[44:45], v[30:31], v[0:1] op_sel:[0,1,0]
	v_cmp_gt_i64_e32 vcc, s[8:9], v[18:19]
	v_pk_fma_f32 v[0:1], v[46:47], v[32:33], v[0:1] op_sel_hi:[1,0,1]
	s_nop 0
	v_pk_fma_f32 v[0:1], v[48:49], v[12:13], v[0:1] op_sel_hi:[1,0,1]
	s_barrier
	s_cbranch_vccz .LBB446_12
.LBB446_6:                              ; =>This Inner Loop Header: Depth=1
	v_mov_b32_e32 v18, 0
	s_and_saveexec_b64 s[10:11], s[0:1]
	s_cbranch_execz .LBB446_10
; %bb.7:                                ;   in Loop: Header=BB446_6 Depth=1
	v_add_u32_e32 v12, s6, v6
	v_cmp_gt_u64_e32 vcc, s[8:9], v[12:13]
	v_mov_b32_e32 v18, 0
	s_and_saveexec_b64 s[12:13], vcc
	s_cbranch_execz .LBB446_9
; %bb.8:                                ;   in Loop: Header=BB446_6 Depth=1
	v_lshl_add_u64 v[18:19], v[12:13], 2, v[8:9]
	flat_load_dword v18, v[18:19]
.LBB446_9:                              ;   in Loop: Header=BB446_6 Depth=1
	s_or_b64 exec, exec, s[12:13]
.LBB446_10:                             ;   in Loop: Header=BB446_6 Depth=1
	s_or_b64 exec, exec, s[10:11]
	v_add_u32_e32 v12, s6, v4
	v_cmp_gt_u64_e32 vcc, s[8:9], v[12:13]
	s_waitcnt vmcnt(0) lgkmcnt(0)
	ds_write_b32 v14, v18
	s_and_b64 s[12:13], vcc, s[2:3]
	v_mov_b32_e32 v18, 0
	s_and_saveexec_b64 s[10:11], s[12:13]
	s_cbranch_execz .LBB446_5
; %bb.11:                               ;   in Loop: Header=BB446_6 Depth=1
	v_mad_u64_u32 v[18:19], s[12:13], s20, v12, 0
	v_mov_b32_e32 v20, v19
	v_mad_u64_u32 v[20:21], s[12:13], s21, v12, v[20:21]
	v_mov_b32_e32 v19, v20
	v_lshl_add_u64 v[18:19], v[18:19], 2, v[10:11]
	flat_load_dword v18, v[18:19]
	s_branch .LBB446_5
.LBB446_12:
	s_lshl_b64 s[0:1], s[30:31], 2
	v_add_u32_e32 v10, s26, v7
	s_waitcnt lgkmcnt(0)
	s_add_u32 s6, s4, s0
	v_add_u32_e32 v4, s25, v5
	v_ashrrev_i32_e32 v5, 31, v10
	s_addc_u32 s7, s5, s1
	v_mul_lo_u32 v5, s28, v5
	v_mul_lo_u32 v8, s29, v10
	v_mad_u64_u32 v[6:7], s[0:1], s28, v10, 0
	v_add3_u32 v7, v7, v5, v8
	v_cmp_neq_f32_e64 s[0:1], s33, 0
	v_lshl_add_u64 v[8:9], v[6:7], 2, s[6:7]
	v_cmp_le_i32_e32 vcc, v10, v4
	v_cmp_gt_i32_e64 s[2:3], s24, v4
	v_cndmask_b32_e64 v6, 0, 1, s[0:1]
	s_and_b64 s[8:9], vcc, s[2:3]
	v_ashrrev_i32_e32 v5, 31, v4
	v_cmp_ne_u32_e64 s[0:1], 1, v6
	s_and_saveexec_b64 s[4:5], s[8:9]
	s_cbranch_execz .LBB446_16
; %bb.13:
	v_mul_f32_e32 v2, s34, v2
	s_and_b64 vcc, exec, s[0:1]
	v_lshl_add_u64 v[6:7], v[4:5], 2, v[8:9]
	s_cbranch_vccnz .LBB446_15
; %bb.14:
	flat_load_dword v11, v[6:7]
	s_waitcnt vmcnt(0) lgkmcnt(0)
	v_fmac_f32_e32 v2, s33, v11
.LBB446_15:
	flat_store_dword v[6:7], v2
.LBB446_16:
	s_or_b64 exec, exec, s[4:5]
	v_add_u32_e32 v6, 16, v4
	v_cmp_le_i32_e32 vcc, v10, v6
	v_cmp_gt_i32_e64 s[4:5], s24, v6
	s_and_b64 s[10:11], vcc, s[4:5]
	v_ashrrev_i32_e32 v7, 31, v6
	s_and_saveexec_b64 s[8:9], s[10:11]
	s_cbranch_execz .LBB446_20
; %bb.17:
	v_mul_f32_e32 v11, s34, v3
	s_and_b64 vcc, exec, s[0:1]
	v_lshl_add_u64 v[2:3], v[6:7], 2, v[8:9]
	s_cbranch_vccnz .LBB446_19
; %bb.18:
	flat_load_dword v8, v[2:3]
	s_waitcnt vmcnt(0) lgkmcnt(0)
	v_fmac_f32_e32 v11, s33, v8
.LBB446_19:
	flat_store_dword v[2:3], v11
.LBB446_20:
	s_or_b64 exec, exec, s[8:9]
	v_add_u32_e32 v8, 16, v10
	v_ashrrev_i32_e32 v2, 31, v8
	v_mul_lo_u32 v9, s28, v2
	v_mul_lo_u32 v10, s29, v8
	v_mad_u64_u32 v[2:3], s[8:9], s28, v8, 0
	v_add3_u32 v3, v3, v9, v10
	v_cmp_le_i32_e32 vcc, v8, v4
	v_lshl_add_u64 v[2:3], v[2:3], 2, s[6:7]
	s_and_b64 s[6:7], vcc, s[2:3]
	s_and_saveexec_b64 s[2:3], s[6:7]
	s_cbranch_execz .LBB446_24
; %bb.21:
	v_mul_f32_e32 v0, s34, v0
	s_and_b64 vcc, exec, s[0:1]
	v_lshl_add_u64 v[4:5], v[4:5], 2, v[2:3]
	s_cbranch_vccnz .LBB446_23
; %bb.22:
	flat_load_dword v9, v[4:5]
	s_waitcnt vmcnt(0) lgkmcnt(0)
	v_fmac_f32_e32 v0, s33, v9
.LBB446_23:
	flat_store_dword v[4:5], v0
.LBB446_24:
	s_or_b64 exec, exec, s[2:3]
	v_cmp_le_i32_e32 vcc, v8, v6
	s_and_b64 s[2:3], vcc, s[4:5]
	s_and_saveexec_b64 s[4:5], s[2:3]
	s_cbranch_execz .LBB446_28
; %bb.25:
	v_mul_f32_e32 v4, s34, v1
	s_and_b64 vcc, exec, s[0:1]
	v_lshl_add_u64 v[0:1], v[6:7], 2, v[2:3]
	s_cbranch_vccnz .LBB446_27
; %bb.26:
	flat_load_dword v2, v[0:1]
	s_waitcnt vmcnt(0) lgkmcnt(0)
	v_fmac_f32_e32 v4, s33, v2
.LBB446_27:
	flat_store_dword v[0:1], v4
.LBB446_28:
	s_endpgm
	.section	.rodata,"a",@progbits
	.p2align	6, 0x0
	.amdhsa_kernel _ZL29rocblas_internal_gemmt_kernelIlLi16ELi32ELi8ELc84ELc67ELc76ELb0ELb0EfPKfPKS1_PKPfEviT_T9_T10_S7_lS9_S7_lS8_T11_S7_li
		.amdhsa_group_segment_fixed_size 2048
		.amdhsa_private_segment_fixed_size 0
		.amdhsa_kernarg_size 108
		.amdhsa_user_sgpr_count 2
		.amdhsa_user_sgpr_dispatch_ptr 0
		.amdhsa_user_sgpr_queue_ptr 0
		.amdhsa_user_sgpr_kernarg_segment_ptr 1
		.amdhsa_user_sgpr_dispatch_id 0
		.amdhsa_user_sgpr_kernarg_preload_length 0
		.amdhsa_user_sgpr_kernarg_preload_offset 0
		.amdhsa_user_sgpr_private_segment_size 0
		.amdhsa_uses_dynamic_stack 0
		.amdhsa_enable_private_segment 0
		.amdhsa_system_sgpr_workgroup_id_x 1
		.amdhsa_system_sgpr_workgroup_id_y 1
		.amdhsa_system_sgpr_workgroup_id_z 1
		.amdhsa_system_sgpr_workgroup_info 0
		.amdhsa_system_vgpr_workitem_id 1
		.amdhsa_next_free_vgpr 50
		.amdhsa_next_free_sgpr 35
		.amdhsa_accum_offset 52
		.amdhsa_reserve_vcc 1
		.amdhsa_float_round_mode_32 0
		.amdhsa_float_round_mode_16_64 0
		.amdhsa_float_denorm_mode_32 3
		.amdhsa_float_denorm_mode_16_64 3
		.amdhsa_dx10_clamp 1
		.amdhsa_ieee_mode 1
		.amdhsa_fp16_overflow 0
		.amdhsa_tg_split 0
		.amdhsa_exception_fp_ieee_invalid_op 0
		.amdhsa_exception_fp_denorm_src 0
		.amdhsa_exception_fp_ieee_div_zero 0
		.amdhsa_exception_fp_ieee_overflow 0
		.amdhsa_exception_fp_ieee_underflow 0
		.amdhsa_exception_fp_ieee_inexact 0
		.amdhsa_exception_int_div_zero 0
	.end_amdhsa_kernel
	.section	.text._ZL29rocblas_internal_gemmt_kernelIlLi16ELi32ELi8ELc84ELc67ELc76ELb0ELb0EfPKfPKS1_PKPfEviT_T9_T10_S7_lS9_S7_lS8_T11_S7_li,"axG",@progbits,_ZL29rocblas_internal_gemmt_kernelIlLi16ELi32ELi8ELc84ELc67ELc76ELb0ELb0EfPKfPKS1_PKPfEviT_T9_T10_S7_lS9_S7_lS8_T11_S7_li,comdat
.Lfunc_end446:
	.size	_ZL29rocblas_internal_gemmt_kernelIlLi16ELi32ELi8ELc84ELc67ELc76ELb0ELb0EfPKfPKS1_PKPfEviT_T9_T10_S7_lS9_S7_lS8_T11_S7_li, .Lfunc_end446-_ZL29rocblas_internal_gemmt_kernelIlLi16ELi32ELi8ELc84ELc67ELc76ELb0ELb0EfPKfPKS1_PKPfEviT_T9_T10_S7_lS9_S7_lS8_T11_S7_li
                                        ; -- End function
	.set _ZL29rocblas_internal_gemmt_kernelIlLi16ELi32ELi8ELc84ELc67ELc76ELb0ELb0EfPKfPKS1_PKPfEviT_T9_T10_S7_lS9_S7_lS8_T11_S7_li.num_vgpr, 50
	.set _ZL29rocblas_internal_gemmt_kernelIlLi16ELi32ELi8ELc84ELc67ELc76ELb0ELb0EfPKfPKS1_PKPfEviT_T9_T10_S7_lS9_S7_lS8_T11_S7_li.num_agpr, 0
	.set _ZL29rocblas_internal_gemmt_kernelIlLi16ELi32ELi8ELc84ELc67ELc76ELb0ELb0EfPKfPKS1_PKPfEviT_T9_T10_S7_lS9_S7_lS8_T11_S7_li.numbered_sgpr, 35
	.set _ZL29rocblas_internal_gemmt_kernelIlLi16ELi32ELi8ELc84ELc67ELc76ELb0ELb0EfPKfPKS1_PKPfEviT_T9_T10_S7_lS9_S7_lS8_T11_S7_li.num_named_barrier, 0
	.set _ZL29rocblas_internal_gemmt_kernelIlLi16ELi32ELi8ELc84ELc67ELc76ELb0ELb0EfPKfPKS1_PKPfEviT_T9_T10_S7_lS9_S7_lS8_T11_S7_li.private_seg_size, 0
	.set _ZL29rocblas_internal_gemmt_kernelIlLi16ELi32ELi8ELc84ELc67ELc76ELb0ELb0EfPKfPKS1_PKPfEviT_T9_T10_S7_lS9_S7_lS8_T11_S7_li.uses_vcc, 1
	.set _ZL29rocblas_internal_gemmt_kernelIlLi16ELi32ELi8ELc84ELc67ELc76ELb0ELb0EfPKfPKS1_PKPfEviT_T9_T10_S7_lS9_S7_lS8_T11_S7_li.uses_flat_scratch, 0
	.set _ZL29rocblas_internal_gemmt_kernelIlLi16ELi32ELi8ELc84ELc67ELc76ELb0ELb0EfPKfPKS1_PKPfEviT_T9_T10_S7_lS9_S7_lS8_T11_S7_li.has_dyn_sized_stack, 0
	.set _ZL29rocblas_internal_gemmt_kernelIlLi16ELi32ELi8ELc84ELc67ELc76ELb0ELb0EfPKfPKS1_PKPfEviT_T9_T10_S7_lS9_S7_lS8_T11_S7_li.has_recursion, 0
	.set _ZL29rocblas_internal_gemmt_kernelIlLi16ELi32ELi8ELc84ELc67ELc76ELb0ELb0EfPKfPKS1_PKPfEviT_T9_T10_S7_lS9_S7_lS8_T11_S7_li.has_indirect_call, 0
	.section	.AMDGPU.csdata,"",@progbits
; Kernel info:
; codeLenInByte = 1304
; TotalNumSgprs: 41
; NumVgprs: 50
; NumAgprs: 0
; TotalNumVgprs: 50
; ScratchSize: 0
; MemoryBound: 0
; FloatMode: 240
; IeeeMode: 1
; LDSByteSize: 2048 bytes/workgroup (compile time only)
; SGPRBlocks: 5
; VGPRBlocks: 6
; NumSGPRsForWavesPerEU: 41
; NumVGPRsForWavesPerEU: 50
; AccumOffset: 52
; Occupancy: 8
; WaveLimiterHint : 1
; COMPUTE_PGM_RSRC2:SCRATCH_EN: 0
; COMPUTE_PGM_RSRC2:USER_SGPR: 2
; COMPUTE_PGM_RSRC2:TRAP_HANDLER: 0
; COMPUTE_PGM_RSRC2:TGID_X_EN: 1
; COMPUTE_PGM_RSRC2:TGID_Y_EN: 1
; COMPUTE_PGM_RSRC2:TGID_Z_EN: 1
; COMPUTE_PGM_RSRC2:TIDIG_COMP_CNT: 1
; COMPUTE_PGM_RSRC3_GFX90A:ACCUM_OFFSET: 12
; COMPUTE_PGM_RSRC3_GFX90A:TG_SPLIT: 0
	.section	.text._ZL29rocblas_internal_gemmt_kernelIlLi16ELi32ELi8ELc67ELc78ELc76ELb0ELb0EfPKfPKS1_PKPfEviT_T9_T10_S7_lS9_S7_lS8_T11_S7_li,"axG",@progbits,_ZL29rocblas_internal_gemmt_kernelIlLi16ELi32ELi8ELc67ELc78ELc76ELb0ELb0EfPKfPKS1_PKPfEviT_T9_T10_S7_lS9_S7_lS8_T11_S7_li,comdat
	.globl	_ZL29rocblas_internal_gemmt_kernelIlLi16ELi32ELi8ELc67ELc78ELc76ELb0ELb0EfPKfPKS1_PKPfEviT_T9_T10_S7_lS9_S7_lS8_T11_S7_li ; -- Begin function _ZL29rocblas_internal_gemmt_kernelIlLi16ELi32ELi8ELc67ELc78ELc76ELb0ELb0EfPKfPKS1_PKPfEviT_T9_T10_S7_lS9_S7_lS8_T11_S7_li
	.p2align	8
	.type	_ZL29rocblas_internal_gemmt_kernelIlLi16ELi32ELi8ELc67ELc78ELc76ELb0ELb0EfPKfPKS1_PKPfEviT_T9_T10_S7_lS9_S7_lS8_T11_S7_li,@function
_ZL29rocblas_internal_gemmt_kernelIlLi16ELi32ELi8ELc67ELc78ELc76ELb0ELb0EfPKfPKS1_PKPfEviT_T9_T10_S7_lS9_S7_lS8_T11_S7_li: ; @_ZL29rocblas_internal_gemmt_kernelIlLi16ELi32ELi8ELc67ELc78ELc76ELb0ELb0EfPKfPKS1_PKPfEviT_T9_T10_S7_lS9_S7_lS8_T11_S7_li
; %bb.0:
	s_load_dwordx8 s[24:31], s[0:1], 0x48
	s_load_dwordx16 s[8:23], s[0:1], 0x8
	s_waitcnt lgkmcnt(0)
	s_load_dword s33, s[24:25], 0x0
	s_load_dword s34, s[10:11], 0x0
	s_waitcnt lgkmcnt(0)
	v_cmp_neq_f32_e64 s[6:7], s33, 1.0
	s_and_b64 vcc, exec, s[6:7]
	s_cbranch_vccnz .LBB447_2
; %bb.1:
	s_cmp_lg_u64 s[8:9], 0
	s_cselect_b64 s[6:7], -1, 0
	v_cmp_neq_f32_e64 s[10:11], s34, 0
	s_and_b64 s[6:7], s[6:7], s[10:11]
.LBB447_2:
	s_andn2_b64 vcc, exec, s[6:7]
	s_cbranch_vccnz .LBB447_28
; %bb.3:
	s_mov_b32 s5, 0
	s_load_dword s24, s[0:1], 0x0
	s_lshl_b64 s[0:1], s[4:5], 3
	s_add_u32 s4, s26, s0
	s_addc_u32 s5, s27, s1
	s_load_dwordx2 s[4:5], s[4:5], 0x0
	s_lshl_b32 s25, s2, 5
	s_lshl_b32 s26, s3, 5
	v_cmp_eq_f32_e64 s[2:3], s34, 0
	v_cmp_lt_i64_e64 s[6:7], s[8:9], 1
	v_mov_b32_e32 v3, 0
	s_or_b64 s[2:3], s[2:3], s[6:7]
	v_and_b32_e32 v5, 0x3ff, v0
	v_bfe_u32 v7, v0, 10, 10
	s_and_b64 vcc, exec, s[2:3]
	v_mov_b32_e32 v2, v3
	v_mov_b32_e32 v1, v3
	;; [unrolled: 1-line block ×3, first 2 shown]
	s_cbranch_vccnz .LBB447_12
; %bb.4:
	s_add_u32 s2, s18, s0
	s_addc_u32 s3, s19, s1
	s_load_dwordx2 s[2:3], s[2:3], 0x0
	s_lshl_b64 s[6:7], s[22:23], 2
	v_lshl_add_u32 v0, v7, 4, v5
	v_lshrrev_b32_e32 v6, 5, v0
	v_lshrrev_b32_e32 v2, 3, v0
	s_waitcnt lgkmcnt(0)
	s_add_u32 s6, s2, s6
	s_addc_u32 s7, s3, s7
	s_add_u32 s0, s12, s0
	s_addc_u32 s1, s13, s1
	s_load_dwordx2 s[0:1], s[0:1], 0x0
	v_and_b32_e32 v0, 31, v0
	s_lshl_b64 s[2:3], s[16:17], 2
	v_or_b32_e32 v1, s25, v0
	v_lshlrev_b32_e32 v0, 2, v0
	s_waitcnt lgkmcnt(0)
	s_add_u32 s2, s0, s2
	s_addc_u32 s3, s1, s3
	v_cmp_gt_i32_e64 s[0:1], s24, v1
	v_lshl_or_b32 v14, v6, 7, v0
	s_ashr_i32 s12, s25, 31
	v_mul_lo_u32 v8, s15, v1
	v_mad_u64_u32 v[0:1], s[10:11], s14, v1, 0
	s_mul_i32 s10, s14, s12
	v_and_b32_e32 v4, 7, v5
	v_add3_u32 v1, v1, s10, v8
	v_lshl_add_u64 v[8:9], v[0:1], 2, s[2:3]
	v_lshlrev_b32_e32 v0, 2, v4
	v_add_u32_e32 v3, s26, v2
	v_lshl_or_b32 v0, v2, 5, v0
	v_add_u32_e32 v15, 0x400, v0
	v_ashrrev_i32_e32 v0, 31, v3
	v_mul_lo_u32 v2, s20, v0
	v_mul_lo_u32 v10, s21, v3
	v_mad_u64_u32 v[0:1], s[10:11], s20, v3, 0
	v_add3_u32 v1, v1, v2, v10
	v_lshl_add_u64 v[10:11], v[0:1], 2, s[6:7]
	v_mov_b32_e32 v0, 0x400
	v_mov_b32_e32 v13, 0
	v_cmp_gt_i32_e64 s[2:3], s24, v3
	v_lshlrev_b32_e32 v16, 2, v5
	v_lshl_add_u32 v17, v7, 5, v0
	s_mov_b64 s[6:7], 0
	v_mov_b32_e32 v0, v13
	v_mov_b32_e32 v1, v13
	;; [unrolled: 1-line block ×4, first 2 shown]
	s_branch .LBB447_6
.LBB447_5:                              ;   in Loop: Header=BB447_6 Depth=1
	s_or_b64 exec, exec, s[10:11]
	s_waitcnt vmcnt(0) lgkmcnt(0)
	ds_write_b32 v15, v18
	s_waitcnt lgkmcnt(0)
	s_barrier
	ds_read_b128 v[18:21], v17
	ds_read_b128 v[22:25], v17 offset:16
	ds_read2_b32 v[34:35], v16 offset1:16
	ds_read2_b32 v[36:37], v16 offset0:32 offset1:48
	ds_read2_b32 v[38:39], v16 offset0:64 offset1:80
	;; [unrolled: 1-line block ×4, first 2 shown]
	ds_read_b128 v[26:29], v17 offset:512
	ds_read_b128 v[30:33], v17 offset:528
	ds_read2_b32 v[44:45], v16 offset0:160 offset1:176
	ds_read2_b32 v[46:47], v16 offset0:192 offset1:208
	;; [unrolled: 1-line block ×3, first 2 shown]
	s_waitcnt lgkmcnt(9)
	v_pk_fma_f32 v[2:3], v[34:35], v[18:19], v[2:3] op_sel_hi:[1,0,1]
	v_mov_b32_e32 v12, v21
	s_waitcnt lgkmcnt(8)
	v_pk_fma_f32 v[2:3], v[36:37], v[18:19], v[2:3] op_sel:[0,1,0]
	s_waitcnt lgkmcnt(4)
	v_pk_fma_f32 v[0:1], v[34:35], v[26:27], v[0:1] op_sel_hi:[1,0,1]
	v_pk_fma_f32 v[2:3], v[38:39], v[20:21], v[2:3] op_sel_hi:[1,0,1]
	v_pk_fma_f32 v[0:1], v[36:37], v[26:27], v[0:1] op_sel:[0,1,0]
	v_pk_fma_f32 v[2:3], v[40:41], v[12:13], v[2:3] op_sel_hi:[1,0,1]
	v_mov_b32_e32 v12, v25
	v_pk_fma_f32 v[2:3], v[42:43], v[22:23], v[2:3] op_sel_hi:[1,0,1]
	v_pk_fma_f32 v[0:1], v[38:39], v[28:29], v[0:1] op_sel_hi:[1,0,1]
	s_waitcnt lgkmcnt(2)
	v_pk_fma_f32 v[2:3], v[44:45], v[22:23], v[2:3] op_sel:[0,1,0]
	s_add_u32 s6, s6, 8
	s_waitcnt lgkmcnt(1)
	v_pk_fma_f32 v[2:3], v[46:47], v[24:25], v[2:3] op_sel_hi:[1,0,1]
	s_addc_u32 s7, s7, 0
	s_waitcnt lgkmcnt(0)
	v_pk_fma_f32 v[2:3], v[48:49], v[12:13], v[2:3] op_sel_hi:[1,0,1]
	v_mov_b32_e32 v12, v29
	v_pk_fma_f32 v[0:1], v[40:41], v[12:13], v[0:1] op_sel_hi:[1,0,1]
	v_mov_b64_e32 v[18:19], s[6:7]
	v_pk_fma_f32 v[0:1], v[42:43], v[30:31], v[0:1] op_sel_hi:[1,0,1]
	v_mov_b32_e32 v12, v33
	v_pk_fma_f32 v[0:1], v[44:45], v[30:31], v[0:1] op_sel:[0,1,0]
	v_cmp_gt_i64_e32 vcc, s[8:9], v[18:19]
	v_pk_fma_f32 v[0:1], v[46:47], v[32:33], v[0:1] op_sel_hi:[1,0,1]
	s_nop 0
	v_pk_fma_f32 v[0:1], v[48:49], v[12:13], v[0:1] op_sel_hi:[1,0,1]
	s_barrier
	s_cbranch_vccz .LBB447_12
.LBB447_6:                              ; =>This Inner Loop Header: Depth=1
	v_mov_b32_e32 v18, 0
	s_and_saveexec_b64 s[10:11], s[0:1]
	s_cbranch_execz .LBB447_10
; %bb.7:                                ;   in Loop: Header=BB447_6 Depth=1
	v_add_u32_e32 v12, s6, v6
	v_cmp_gt_u64_e32 vcc, s[8:9], v[12:13]
	v_mov_b32_e32 v18, 0
	s_and_saveexec_b64 s[12:13], vcc
	s_cbranch_execz .LBB447_9
; %bb.8:                                ;   in Loop: Header=BB447_6 Depth=1
	v_lshl_add_u64 v[18:19], v[12:13], 2, v[8:9]
	flat_load_dword v18, v[18:19]
.LBB447_9:                              ;   in Loop: Header=BB447_6 Depth=1
	s_or_b64 exec, exec, s[12:13]
.LBB447_10:                             ;   in Loop: Header=BB447_6 Depth=1
	s_or_b64 exec, exec, s[10:11]
	v_add_u32_e32 v12, s6, v4
	v_cmp_gt_u64_e32 vcc, s[8:9], v[12:13]
	s_waitcnt vmcnt(0) lgkmcnt(0)
	ds_write_b32 v14, v18
	s_and_b64 s[12:13], vcc, s[2:3]
	v_mov_b32_e32 v18, 0
	s_and_saveexec_b64 s[10:11], s[12:13]
	s_cbranch_execz .LBB447_5
; %bb.11:                               ;   in Loop: Header=BB447_6 Depth=1
	v_lshl_add_u64 v[18:19], v[12:13], 2, v[10:11]
	flat_load_dword v18, v[18:19]
	s_branch .LBB447_5
.LBB447_12:
	s_lshl_b64 s[0:1], s[30:31], 2
	v_add_u32_e32 v10, s26, v7
	s_waitcnt lgkmcnt(0)
	s_add_u32 s6, s4, s0
	v_add_u32_e32 v4, s25, v5
	v_ashrrev_i32_e32 v5, 31, v10
	s_addc_u32 s7, s5, s1
	v_mul_lo_u32 v5, s28, v5
	v_mul_lo_u32 v8, s29, v10
	v_mad_u64_u32 v[6:7], s[0:1], s28, v10, 0
	v_add3_u32 v7, v7, v5, v8
	v_cmp_neq_f32_e64 s[0:1], s33, 0
	v_lshl_add_u64 v[8:9], v[6:7], 2, s[6:7]
	v_cmp_le_i32_e32 vcc, v10, v4
	v_cmp_gt_i32_e64 s[2:3], s24, v4
	v_cndmask_b32_e64 v6, 0, 1, s[0:1]
	s_and_b64 s[8:9], vcc, s[2:3]
	v_ashrrev_i32_e32 v5, 31, v4
	v_cmp_ne_u32_e64 s[0:1], 1, v6
	s_and_saveexec_b64 s[4:5], s[8:9]
	s_cbranch_execz .LBB447_16
; %bb.13:
	v_mul_f32_e32 v2, s34, v2
	s_and_b64 vcc, exec, s[0:1]
	v_lshl_add_u64 v[6:7], v[4:5], 2, v[8:9]
	s_cbranch_vccnz .LBB447_15
; %bb.14:
	flat_load_dword v11, v[6:7]
	s_waitcnt vmcnt(0) lgkmcnt(0)
	v_fmac_f32_e32 v2, s33, v11
.LBB447_15:
	flat_store_dword v[6:7], v2
.LBB447_16:
	s_or_b64 exec, exec, s[4:5]
	v_add_u32_e32 v6, 16, v4
	v_cmp_le_i32_e32 vcc, v10, v6
	v_cmp_gt_i32_e64 s[4:5], s24, v6
	s_and_b64 s[10:11], vcc, s[4:5]
	v_ashrrev_i32_e32 v7, 31, v6
	s_and_saveexec_b64 s[8:9], s[10:11]
	s_cbranch_execz .LBB447_20
; %bb.17:
	v_mul_f32_e32 v11, s34, v3
	s_and_b64 vcc, exec, s[0:1]
	v_lshl_add_u64 v[2:3], v[6:7], 2, v[8:9]
	s_cbranch_vccnz .LBB447_19
; %bb.18:
	flat_load_dword v8, v[2:3]
	s_waitcnt vmcnt(0) lgkmcnt(0)
	v_fmac_f32_e32 v11, s33, v8
.LBB447_19:
	flat_store_dword v[2:3], v11
.LBB447_20:
	s_or_b64 exec, exec, s[8:9]
	v_add_u32_e32 v8, 16, v10
	v_ashrrev_i32_e32 v2, 31, v8
	v_mul_lo_u32 v9, s28, v2
	v_mul_lo_u32 v10, s29, v8
	v_mad_u64_u32 v[2:3], s[8:9], s28, v8, 0
	v_add3_u32 v3, v3, v9, v10
	v_cmp_le_i32_e32 vcc, v8, v4
	v_lshl_add_u64 v[2:3], v[2:3], 2, s[6:7]
	s_and_b64 s[6:7], vcc, s[2:3]
	s_and_saveexec_b64 s[2:3], s[6:7]
	s_cbranch_execz .LBB447_24
; %bb.21:
	v_mul_f32_e32 v0, s34, v0
	s_and_b64 vcc, exec, s[0:1]
	v_lshl_add_u64 v[4:5], v[4:5], 2, v[2:3]
	s_cbranch_vccnz .LBB447_23
; %bb.22:
	flat_load_dword v9, v[4:5]
	s_waitcnt vmcnt(0) lgkmcnt(0)
	v_fmac_f32_e32 v0, s33, v9
.LBB447_23:
	flat_store_dword v[4:5], v0
.LBB447_24:
	s_or_b64 exec, exec, s[2:3]
	v_cmp_le_i32_e32 vcc, v8, v6
	s_and_b64 s[2:3], vcc, s[4:5]
	s_and_saveexec_b64 s[4:5], s[2:3]
	s_cbranch_execz .LBB447_28
; %bb.25:
	v_mul_f32_e32 v4, s34, v1
	s_and_b64 vcc, exec, s[0:1]
	v_lshl_add_u64 v[0:1], v[6:7], 2, v[2:3]
	s_cbranch_vccnz .LBB447_27
; %bb.26:
	flat_load_dword v2, v[0:1]
	s_waitcnt vmcnt(0) lgkmcnt(0)
	v_fmac_f32_e32 v4, s33, v2
.LBB447_27:
	flat_store_dword v[0:1], v4
.LBB447_28:
	s_endpgm
	.section	.rodata,"a",@progbits
	.p2align	6, 0x0
	.amdhsa_kernel _ZL29rocblas_internal_gemmt_kernelIlLi16ELi32ELi8ELc67ELc78ELc76ELb0ELb0EfPKfPKS1_PKPfEviT_T9_T10_S7_lS9_S7_lS8_T11_S7_li
		.amdhsa_group_segment_fixed_size 2048
		.amdhsa_private_segment_fixed_size 0
		.amdhsa_kernarg_size 108
		.amdhsa_user_sgpr_count 2
		.amdhsa_user_sgpr_dispatch_ptr 0
		.amdhsa_user_sgpr_queue_ptr 0
		.amdhsa_user_sgpr_kernarg_segment_ptr 1
		.amdhsa_user_sgpr_dispatch_id 0
		.amdhsa_user_sgpr_kernarg_preload_length 0
		.amdhsa_user_sgpr_kernarg_preload_offset 0
		.amdhsa_user_sgpr_private_segment_size 0
		.amdhsa_uses_dynamic_stack 0
		.amdhsa_enable_private_segment 0
		.amdhsa_system_sgpr_workgroup_id_x 1
		.amdhsa_system_sgpr_workgroup_id_y 1
		.amdhsa_system_sgpr_workgroup_id_z 1
		.amdhsa_system_sgpr_workgroup_info 0
		.amdhsa_system_vgpr_workitem_id 1
		.amdhsa_next_free_vgpr 50
		.amdhsa_next_free_sgpr 35
		.amdhsa_accum_offset 52
		.amdhsa_reserve_vcc 1
		.amdhsa_float_round_mode_32 0
		.amdhsa_float_round_mode_16_64 0
		.amdhsa_float_denorm_mode_32 3
		.amdhsa_float_denorm_mode_16_64 3
		.amdhsa_dx10_clamp 1
		.amdhsa_ieee_mode 1
		.amdhsa_fp16_overflow 0
		.amdhsa_tg_split 0
		.amdhsa_exception_fp_ieee_invalid_op 0
		.amdhsa_exception_fp_denorm_src 0
		.amdhsa_exception_fp_ieee_div_zero 0
		.amdhsa_exception_fp_ieee_overflow 0
		.amdhsa_exception_fp_ieee_underflow 0
		.amdhsa_exception_fp_ieee_inexact 0
		.amdhsa_exception_int_div_zero 0
	.end_amdhsa_kernel
	.section	.text._ZL29rocblas_internal_gemmt_kernelIlLi16ELi32ELi8ELc67ELc78ELc76ELb0ELb0EfPKfPKS1_PKPfEviT_T9_T10_S7_lS9_S7_lS8_T11_S7_li,"axG",@progbits,_ZL29rocblas_internal_gemmt_kernelIlLi16ELi32ELi8ELc67ELc78ELc76ELb0ELb0EfPKfPKS1_PKPfEviT_T9_T10_S7_lS9_S7_lS8_T11_S7_li,comdat
.Lfunc_end447:
	.size	_ZL29rocblas_internal_gemmt_kernelIlLi16ELi32ELi8ELc67ELc78ELc76ELb0ELb0EfPKfPKS1_PKPfEviT_T9_T10_S7_lS9_S7_lS8_T11_S7_li, .Lfunc_end447-_ZL29rocblas_internal_gemmt_kernelIlLi16ELi32ELi8ELc67ELc78ELc76ELb0ELb0EfPKfPKS1_PKPfEviT_T9_T10_S7_lS9_S7_lS8_T11_S7_li
                                        ; -- End function
	.set _ZL29rocblas_internal_gemmt_kernelIlLi16ELi32ELi8ELc67ELc78ELc76ELb0ELb0EfPKfPKS1_PKPfEviT_T9_T10_S7_lS9_S7_lS8_T11_S7_li.num_vgpr, 50
	.set _ZL29rocblas_internal_gemmt_kernelIlLi16ELi32ELi8ELc67ELc78ELc76ELb0ELb0EfPKfPKS1_PKPfEviT_T9_T10_S7_lS9_S7_lS8_T11_S7_li.num_agpr, 0
	.set _ZL29rocblas_internal_gemmt_kernelIlLi16ELi32ELi8ELc67ELc78ELc76ELb0ELb0EfPKfPKS1_PKPfEviT_T9_T10_S7_lS9_S7_lS8_T11_S7_li.numbered_sgpr, 35
	.set _ZL29rocblas_internal_gemmt_kernelIlLi16ELi32ELi8ELc67ELc78ELc76ELb0ELb0EfPKfPKS1_PKPfEviT_T9_T10_S7_lS9_S7_lS8_T11_S7_li.num_named_barrier, 0
	.set _ZL29rocblas_internal_gemmt_kernelIlLi16ELi32ELi8ELc67ELc78ELc76ELb0ELb0EfPKfPKS1_PKPfEviT_T9_T10_S7_lS9_S7_lS8_T11_S7_li.private_seg_size, 0
	.set _ZL29rocblas_internal_gemmt_kernelIlLi16ELi32ELi8ELc67ELc78ELc76ELb0ELb0EfPKfPKS1_PKPfEviT_T9_T10_S7_lS9_S7_lS8_T11_S7_li.uses_vcc, 1
	.set _ZL29rocblas_internal_gemmt_kernelIlLi16ELi32ELi8ELc67ELc78ELc76ELb0ELb0EfPKfPKS1_PKPfEviT_T9_T10_S7_lS9_S7_lS8_T11_S7_li.uses_flat_scratch, 0
	.set _ZL29rocblas_internal_gemmt_kernelIlLi16ELi32ELi8ELc67ELc78ELc76ELb0ELb0EfPKfPKS1_PKPfEviT_T9_T10_S7_lS9_S7_lS8_T11_S7_li.has_dyn_sized_stack, 0
	.set _ZL29rocblas_internal_gemmt_kernelIlLi16ELi32ELi8ELc67ELc78ELc76ELb0ELb0EfPKfPKS1_PKPfEviT_T9_T10_S7_lS9_S7_lS8_T11_S7_li.has_recursion, 0
	.set _ZL29rocblas_internal_gemmt_kernelIlLi16ELi32ELi8ELc67ELc78ELc76ELb0ELb0EfPKfPKS1_PKPfEviT_T9_T10_S7_lS9_S7_lS8_T11_S7_li.has_indirect_call, 0
	.section	.AMDGPU.csdata,"",@progbits
; Kernel info:
; codeLenInByte = 1312
; TotalNumSgprs: 41
; NumVgprs: 50
; NumAgprs: 0
; TotalNumVgprs: 50
; ScratchSize: 0
; MemoryBound: 0
; FloatMode: 240
; IeeeMode: 1
; LDSByteSize: 2048 bytes/workgroup (compile time only)
; SGPRBlocks: 5
; VGPRBlocks: 6
; NumSGPRsForWavesPerEU: 41
; NumVGPRsForWavesPerEU: 50
; AccumOffset: 52
; Occupancy: 8
; WaveLimiterHint : 1
; COMPUTE_PGM_RSRC2:SCRATCH_EN: 0
; COMPUTE_PGM_RSRC2:USER_SGPR: 2
; COMPUTE_PGM_RSRC2:TRAP_HANDLER: 0
; COMPUTE_PGM_RSRC2:TGID_X_EN: 1
; COMPUTE_PGM_RSRC2:TGID_Y_EN: 1
; COMPUTE_PGM_RSRC2:TGID_Z_EN: 1
; COMPUTE_PGM_RSRC2:TIDIG_COMP_CNT: 1
; COMPUTE_PGM_RSRC3_GFX90A:ACCUM_OFFSET: 12
; COMPUTE_PGM_RSRC3_GFX90A:TG_SPLIT: 0
	.section	.text._ZL29rocblas_internal_gemmt_kernelIlLi16ELi32ELi8ELc67ELc84ELc76ELb0ELb0EfPKfPKS1_PKPfEviT_T9_T10_S7_lS9_S7_lS8_T11_S7_li,"axG",@progbits,_ZL29rocblas_internal_gemmt_kernelIlLi16ELi32ELi8ELc67ELc84ELc76ELb0ELb0EfPKfPKS1_PKPfEviT_T9_T10_S7_lS9_S7_lS8_T11_S7_li,comdat
	.globl	_ZL29rocblas_internal_gemmt_kernelIlLi16ELi32ELi8ELc67ELc84ELc76ELb0ELb0EfPKfPKS1_PKPfEviT_T9_T10_S7_lS9_S7_lS8_T11_S7_li ; -- Begin function _ZL29rocblas_internal_gemmt_kernelIlLi16ELi32ELi8ELc67ELc84ELc76ELb0ELb0EfPKfPKS1_PKPfEviT_T9_T10_S7_lS9_S7_lS8_T11_S7_li
	.p2align	8
	.type	_ZL29rocblas_internal_gemmt_kernelIlLi16ELi32ELi8ELc67ELc84ELc76ELb0ELb0EfPKfPKS1_PKPfEviT_T9_T10_S7_lS9_S7_lS8_T11_S7_li,@function
_ZL29rocblas_internal_gemmt_kernelIlLi16ELi32ELi8ELc67ELc84ELc76ELb0ELb0EfPKfPKS1_PKPfEviT_T9_T10_S7_lS9_S7_lS8_T11_S7_li: ; @_ZL29rocblas_internal_gemmt_kernelIlLi16ELi32ELi8ELc67ELc84ELc76ELb0ELb0EfPKfPKS1_PKPfEviT_T9_T10_S7_lS9_S7_lS8_T11_S7_li
; %bb.0:
	s_load_dwordx8 s[24:31], s[0:1], 0x48
	s_load_dwordx16 s[8:23], s[0:1], 0x8
	s_waitcnt lgkmcnt(0)
	s_load_dword s33, s[24:25], 0x0
	s_load_dword s34, s[10:11], 0x0
	s_waitcnt lgkmcnt(0)
	v_cmp_neq_f32_e64 s[6:7], s33, 1.0
	s_and_b64 vcc, exec, s[6:7]
	s_cbranch_vccnz .LBB448_2
; %bb.1:
	s_cmp_lg_u64 s[8:9], 0
	s_cselect_b64 s[6:7], -1, 0
	v_cmp_neq_f32_e64 s[10:11], s34, 0
	s_and_b64 s[6:7], s[6:7], s[10:11]
.LBB448_2:
	s_andn2_b64 vcc, exec, s[6:7]
	s_cbranch_vccnz .LBB448_28
; %bb.3:
	s_mov_b32 s5, 0
	s_load_dword s24, s[0:1], 0x0
	s_lshl_b64 s[0:1], s[4:5], 3
	s_add_u32 s4, s26, s0
	s_addc_u32 s5, s27, s1
	s_load_dwordx2 s[4:5], s[4:5], 0x0
	s_lshl_b32 s25, s2, 5
	s_lshl_b32 s26, s3, 5
	v_cmp_eq_f32_e64 s[2:3], s34, 0
	v_cmp_lt_i64_e64 s[6:7], s[8:9], 1
	v_mov_b32_e32 v3, 0
	s_or_b64 s[2:3], s[2:3], s[6:7]
	v_and_b32_e32 v5, 0x3ff, v0
	v_bfe_u32 v7, v0, 10, 10
	s_and_b64 vcc, exec, s[2:3]
	v_mov_b32_e32 v2, v3
	v_mov_b32_e32 v1, v3
	;; [unrolled: 1-line block ×3, first 2 shown]
	s_cbranch_vccnz .LBB448_12
; %bb.4:
	s_add_u32 s2, s18, s0
	s_addc_u32 s3, s19, s1
	s_load_dwordx2 s[2:3], s[2:3], 0x0
	s_lshl_b64 s[6:7], s[22:23], 2
	v_lshl_add_u32 v1, v7, 4, v5
	v_lshrrev_b32_e32 v6, 5, v1
	v_lshrrev_b32_e32 v10, 3, v1
	s_waitcnt lgkmcnt(0)
	s_add_u32 s6, s2, s6
	s_addc_u32 s7, s3, s7
	s_add_u32 s0, s12, s0
	s_addc_u32 s1, s13, s1
	s_load_dwordx2 s[0:1], s[0:1], 0x0
	v_and_b32_e32 v1, 31, v1
	s_lshl_b64 s[2:3], s[16:17], 2
	v_or_b32_e32 v2, s25, v1
	v_lshlrev_b32_e32 v1, 2, v1
	s_waitcnt lgkmcnt(0)
	s_add_u32 s2, s0, s2
	s_addc_u32 s3, s1, s3
	v_cmp_gt_i32_e64 s[0:1], s24, v2
	v_lshl_or_b32 v14, v6, 7, v1
	s_ashr_i32 s12, s25, 31
	v_mul_lo_u32 v1, s15, v2
	v_mad_u64_u32 v[2:3], s[10:11], s14, v2, 0
	v_and_b32_e32 v4, 7, v5
	s_mul_i32 s10, s14, s12
	v_add3_u32 v3, v3, s10, v1
	v_lshlrev_b32_e32 v1, 2, v4
	v_add_u32_e32 v0, s26, v10
	v_lshl_or_b32 v1, v10, 5, v1
	v_add_u32_e32 v15, 0x400, v1
	v_ashrrev_i32_e32 v1, 31, v0
	v_lshl_add_u64 v[8:9], v[2:3], 2, s[2:3]
	v_cmp_gt_i32_e64 s[2:3], s24, v0
	v_lshl_add_u64 v[10:11], v[0:1], 2, s[6:7]
	v_mov_b32_e32 v0, 0x400
	v_mov_b32_e32 v13, 0
	v_lshlrev_b32_e32 v16, 2, v5
	v_lshl_add_u32 v17, v7, 5, v0
	s_mov_b64 s[6:7], 0
	v_mov_b32_e32 v0, v13
	v_mov_b32_e32 v1, v13
	;; [unrolled: 1-line block ×4, first 2 shown]
	s_branch .LBB448_6
.LBB448_5:                              ;   in Loop: Header=BB448_6 Depth=1
	s_or_b64 exec, exec, s[10:11]
	s_waitcnt vmcnt(0) lgkmcnt(0)
	ds_write_b32 v15, v18
	s_waitcnt lgkmcnt(0)
	s_barrier
	ds_read_b128 v[18:21], v17
	ds_read_b128 v[22:25], v17 offset:16
	ds_read2_b32 v[34:35], v16 offset1:16
	ds_read2_b32 v[36:37], v16 offset0:32 offset1:48
	ds_read2_b32 v[38:39], v16 offset0:64 offset1:80
	ds_read2_b32 v[40:41], v16 offset0:96 offset1:112
	ds_read2_b32 v[42:43], v16 offset0:128 offset1:144
	ds_read_b128 v[26:29], v17 offset:512
	ds_read_b128 v[30:33], v17 offset:528
	ds_read2_b32 v[44:45], v16 offset0:160 offset1:176
	ds_read2_b32 v[46:47], v16 offset0:192 offset1:208
	;; [unrolled: 1-line block ×3, first 2 shown]
	s_waitcnt lgkmcnt(9)
	v_pk_fma_f32 v[2:3], v[34:35], v[18:19], v[2:3] op_sel_hi:[1,0,1]
	v_mov_b32_e32 v12, v21
	s_waitcnt lgkmcnt(8)
	v_pk_fma_f32 v[2:3], v[36:37], v[18:19], v[2:3] op_sel:[0,1,0]
	s_waitcnt lgkmcnt(4)
	v_pk_fma_f32 v[0:1], v[34:35], v[26:27], v[0:1] op_sel_hi:[1,0,1]
	v_pk_fma_f32 v[2:3], v[38:39], v[20:21], v[2:3] op_sel_hi:[1,0,1]
	v_pk_fma_f32 v[0:1], v[36:37], v[26:27], v[0:1] op_sel:[0,1,0]
	v_pk_fma_f32 v[2:3], v[40:41], v[12:13], v[2:3] op_sel_hi:[1,0,1]
	v_mov_b32_e32 v12, v25
	v_pk_fma_f32 v[2:3], v[42:43], v[22:23], v[2:3] op_sel_hi:[1,0,1]
	v_pk_fma_f32 v[0:1], v[38:39], v[28:29], v[0:1] op_sel_hi:[1,0,1]
	s_waitcnt lgkmcnt(2)
	v_pk_fma_f32 v[2:3], v[44:45], v[22:23], v[2:3] op_sel:[0,1,0]
	s_add_u32 s6, s6, 8
	s_waitcnt lgkmcnt(1)
	v_pk_fma_f32 v[2:3], v[46:47], v[24:25], v[2:3] op_sel_hi:[1,0,1]
	s_addc_u32 s7, s7, 0
	s_waitcnt lgkmcnt(0)
	v_pk_fma_f32 v[2:3], v[48:49], v[12:13], v[2:3] op_sel_hi:[1,0,1]
	v_mov_b32_e32 v12, v29
	v_pk_fma_f32 v[0:1], v[40:41], v[12:13], v[0:1] op_sel_hi:[1,0,1]
	v_mov_b64_e32 v[18:19], s[6:7]
	v_pk_fma_f32 v[0:1], v[42:43], v[30:31], v[0:1] op_sel_hi:[1,0,1]
	v_mov_b32_e32 v12, v33
	v_pk_fma_f32 v[0:1], v[44:45], v[30:31], v[0:1] op_sel:[0,1,0]
	v_cmp_gt_i64_e32 vcc, s[8:9], v[18:19]
	v_pk_fma_f32 v[0:1], v[46:47], v[32:33], v[0:1] op_sel_hi:[1,0,1]
	s_nop 0
	v_pk_fma_f32 v[0:1], v[48:49], v[12:13], v[0:1] op_sel_hi:[1,0,1]
	s_barrier
	s_cbranch_vccz .LBB448_12
.LBB448_6:                              ; =>This Inner Loop Header: Depth=1
	v_mov_b32_e32 v18, 0
	s_and_saveexec_b64 s[10:11], s[0:1]
	s_cbranch_execz .LBB448_10
; %bb.7:                                ;   in Loop: Header=BB448_6 Depth=1
	v_add_u32_e32 v12, s6, v6
	v_cmp_gt_u64_e32 vcc, s[8:9], v[12:13]
	v_mov_b32_e32 v18, 0
	s_and_saveexec_b64 s[12:13], vcc
	s_cbranch_execz .LBB448_9
; %bb.8:                                ;   in Loop: Header=BB448_6 Depth=1
	v_lshl_add_u64 v[18:19], v[12:13], 2, v[8:9]
	flat_load_dword v18, v[18:19]
.LBB448_9:                              ;   in Loop: Header=BB448_6 Depth=1
	s_or_b64 exec, exec, s[12:13]
.LBB448_10:                             ;   in Loop: Header=BB448_6 Depth=1
	s_or_b64 exec, exec, s[10:11]
	v_add_u32_e32 v12, s6, v4
	v_cmp_gt_u64_e32 vcc, s[8:9], v[12:13]
	s_waitcnt vmcnt(0) lgkmcnt(0)
	ds_write_b32 v14, v18
	s_and_b64 s[12:13], vcc, s[2:3]
	v_mov_b32_e32 v18, 0
	s_and_saveexec_b64 s[10:11], s[12:13]
	s_cbranch_execz .LBB448_5
; %bb.11:                               ;   in Loop: Header=BB448_6 Depth=1
	v_mad_u64_u32 v[18:19], s[12:13], s20, v12, 0
	v_mov_b32_e32 v20, v19
	v_mad_u64_u32 v[20:21], s[12:13], s21, v12, v[20:21]
	v_mov_b32_e32 v19, v20
	v_lshl_add_u64 v[18:19], v[18:19], 2, v[10:11]
	flat_load_dword v18, v[18:19]
	s_branch .LBB448_5
.LBB448_12:
	s_lshl_b64 s[0:1], s[30:31], 2
	v_add_u32_e32 v10, s26, v7
	s_waitcnt lgkmcnt(0)
	s_add_u32 s6, s4, s0
	v_add_u32_e32 v4, s25, v5
	v_ashrrev_i32_e32 v5, 31, v10
	s_addc_u32 s7, s5, s1
	v_mul_lo_u32 v5, s28, v5
	v_mul_lo_u32 v8, s29, v10
	v_mad_u64_u32 v[6:7], s[0:1], s28, v10, 0
	v_add3_u32 v7, v7, v5, v8
	v_cmp_neq_f32_e64 s[0:1], s33, 0
	v_lshl_add_u64 v[8:9], v[6:7], 2, s[6:7]
	v_cmp_le_i32_e32 vcc, v10, v4
	v_cmp_gt_i32_e64 s[2:3], s24, v4
	v_cndmask_b32_e64 v6, 0, 1, s[0:1]
	s_and_b64 s[8:9], vcc, s[2:3]
	v_ashrrev_i32_e32 v5, 31, v4
	v_cmp_ne_u32_e64 s[0:1], 1, v6
	s_and_saveexec_b64 s[4:5], s[8:9]
	s_cbranch_execz .LBB448_16
; %bb.13:
	v_mul_f32_e32 v2, s34, v2
	s_and_b64 vcc, exec, s[0:1]
	v_lshl_add_u64 v[6:7], v[4:5], 2, v[8:9]
	s_cbranch_vccnz .LBB448_15
; %bb.14:
	flat_load_dword v11, v[6:7]
	s_waitcnt vmcnt(0) lgkmcnt(0)
	v_fmac_f32_e32 v2, s33, v11
.LBB448_15:
	flat_store_dword v[6:7], v2
.LBB448_16:
	s_or_b64 exec, exec, s[4:5]
	v_add_u32_e32 v6, 16, v4
	v_cmp_le_i32_e32 vcc, v10, v6
	v_cmp_gt_i32_e64 s[4:5], s24, v6
	s_and_b64 s[10:11], vcc, s[4:5]
	v_ashrrev_i32_e32 v7, 31, v6
	s_and_saveexec_b64 s[8:9], s[10:11]
	s_cbranch_execz .LBB448_20
; %bb.17:
	v_mul_f32_e32 v11, s34, v3
	s_and_b64 vcc, exec, s[0:1]
	v_lshl_add_u64 v[2:3], v[6:7], 2, v[8:9]
	s_cbranch_vccnz .LBB448_19
; %bb.18:
	flat_load_dword v8, v[2:3]
	s_waitcnt vmcnt(0) lgkmcnt(0)
	v_fmac_f32_e32 v11, s33, v8
.LBB448_19:
	flat_store_dword v[2:3], v11
.LBB448_20:
	s_or_b64 exec, exec, s[8:9]
	v_add_u32_e32 v8, 16, v10
	v_ashrrev_i32_e32 v2, 31, v8
	v_mul_lo_u32 v9, s28, v2
	v_mul_lo_u32 v10, s29, v8
	v_mad_u64_u32 v[2:3], s[8:9], s28, v8, 0
	v_add3_u32 v3, v3, v9, v10
	v_cmp_le_i32_e32 vcc, v8, v4
	v_lshl_add_u64 v[2:3], v[2:3], 2, s[6:7]
	s_and_b64 s[6:7], vcc, s[2:3]
	s_and_saveexec_b64 s[2:3], s[6:7]
	s_cbranch_execz .LBB448_24
; %bb.21:
	v_mul_f32_e32 v0, s34, v0
	s_and_b64 vcc, exec, s[0:1]
	v_lshl_add_u64 v[4:5], v[4:5], 2, v[2:3]
	s_cbranch_vccnz .LBB448_23
; %bb.22:
	flat_load_dword v9, v[4:5]
	s_waitcnt vmcnt(0) lgkmcnt(0)
	v_fmac_f32_e32 v0, s33, v9
.LBB448_23:
	flat_store_dword v[4:5], v0
.LBB448_24:
	s_or_b64 exec, exec, s[2:3]
	v_cmp_le_i32_e32 vcc, v8, v6
	s_and_b64 s[2:3], vcc, s[4:5]
	s_and_saveexec_b64 s[4:5], s[2:3]
	s_cbranch_execz .LBB448_28
; %bb.25:
	v_mul_f32_e32 v4, s34, v1
	s_and_b64 vcc, exec, s[0:1]
	v_lshl_add_u64 v[0:1], v[6:7], 2, v[2:3]
	s_cbranch_vccnz .LBB448_27
; %bb.26:
	flat_load_dword v2, v[0:1]
	s_waitcnt vmcnt(0) lgkmcnt(0)
	v_fmac_f32_e32 v4, s33, v2
.LBB448_27:
	flat_store_dword v[0:1], v4
.LBB448_28:
	s_endpgm
	.section	.rodata,"a",@progbits
	.p2align	6, 0x0
	.amdhsa_kernel _ZL29rocblas_internal_gemmt_kernelIlLi16ELi32ELi8ELc67ELc84ELc76ELb0ELb0EfPKfPKS1_PKPfEviT_T9_T10_S7_lS9_S7_lS8_T11_S7_li
		.amdhsa_group_segment_fixed_size 2048
		.amdhsa_private_segment_fixed_size 0
		.amdhsa_kernarg_size 108
		.amdhsa_user_sgpr_count 2
		.amdhsa_user_sgpr_dispatch_ptr 0
		.amdhsa_user_sgpr_queue_ptr 0
		.amdhsa_user_sgpr_kernarg_segment_ptr 1
		.amdhsa_user_sgpr_dispatch_id 0
		.amdhsa_user_sgpr_kernarg_preload_length 0
		.amdhsa_user_sgpr_kernarg_preload_offset 0
		.amdhsa_user_sgpr_private_segment_size 0
		.amdhsa_uses_dynamic_stack 0
		.amdhsa_enable_private_segment 0
		.amdhsa_system_sgpr_workgroup_id_x 1
		.amdhsa_system_sgpr_workgroup_id_y 1
		.amdhsa_system_sgpr_workgroup_id_z 1
		.amdhsa_system_sgpr_workgroup_info 0
		.amdhsa_system_vgpr_workitem_id 1
		.amdhsa_next_free_vgpr 50
		.amdhsa_next_free_sgpr 35
		.amdhsa_accum_offset 52
		.amdhsa_reserve_vcc 1
		.amdhsa_float_round_mode_32 0
		.amdhsa_float_round_mode_16_64 0
		.amdhsa_float_denorm_mode_32 3
		.amdhsa_float_denorm_mode_16_64 3
		.amdhsa_dx10_clamp 1
		.amdhsa_ieee_mode 1
		.amdhsa_fp16_overflow 0
		.amdhsa_tg_split 0
		.amdhsa_exception_fp_ieee_invalid_op 0
		.amdhsa_exception_fp_denorm_src 0
		.amdhsa_exception_fp_ieee_div_zero 0
		.amdhsa_exception_fp_ieee_overflow 0
		.amdhsa_exception_fp_ieee_underflow 0
		.amdhsa_exception_fp_ieee_inexact 0
		.amdhsa_exception_int_div_zero 0
	.end_amdhsa_kernel
	.section	.text._ZL29rocblas_internal_gemmt_kernelIlLi16ELi32ELi8ELc67ELc84ELc76ELb0ELb0EfPKfPKS1_PKPfEviT_T9_T10_S7_lS9_S7_lS8_T11_S7_li,"axG",@progbits,_ZL29rocblas_internal_gemmt_kernelIlLi16ELi32ELi8ELc67ELc84ELc76ELb0ELb0EfPKfPKS1_PKPfEviT_T9_T10_S7_lS9_S7_lS8_T11_S7_li,comdat
.Lfunc_end448:
	.size	_ZL29rocblas_internal_gemmt_kernelIlLi16ELi32ELi8ELc67ELc84ELc76ELb0ELb0EfPKfPKS1_PKPfEviT_T9_T10_S7_lS9_S7_lS8_T11_S7_li, .Lfunc_end448-_ZL29rocblas_internal_gemmt_kernelIlLi16ELi32ELi8ELc67ELc84ELc76ELb0ELb0EfPKfPKS1_PKPfEviT_T9_T10_S7_lS9_S7_lS8_T11_S7_li
                                        ; -- End function
	.set _ZL29rocblas_internal_gemmt_kernelIlLi16ELi32ELi8ELc67ELc84ELc76ELb0ELb0EfPKfPKS1_PKPfEviT_T9_T10_S7_lS9_S7_lS8_T11_S7_li.num_vgpr, 50
	.set _ZL29rocblas_internal_gemmt_kernelIlLi16ELi32ELi8ELc67ELc84ELc76ELb0ELb0EfPKfPKS1_PKPfEviT_T9_T10_S7_lS9_S7_lS8_T11_S7_li.num_agpr, 0
	.set _ZL29rocblas_internal_gemmt_kernelIlLi16ELi32ELi8ELc67ELc84ELc76ELb0ELb0EfPKfPKS1_PKPfEviT_T9_T10_S7_lS9_S7_lS8_T11_S7_li.numbered_sgpr, 35
	.set _ZL29rocblas_internal_gemmt_kernelIlLi16ELi32ELi8ELc67ELc84ELc76ELb0ELb0EfPKfPKS1_PKPfEviT_T9_T10_S7_lS9_S7_lS8_T11_S7_li.num_named_barrier, 0
	.set _ZL29rocblas_internal_gemmt_kernelIlLi16ELi32ELi8ELc67ELc84ELc76ELb0ELb0EfPKfPKS1_PKPfEviT_T9_T10_S7_lS9_S7_lS8_T11_S7_li.private_seg_size, 0
	.set _ZL29rocblas_internal_gemmt_kernelIlLi16ELi32ELi8ELc67ELc84ELc76ELb0ELb0EfPKfPKS1_PKPfEviT_T9_T10_S7_lS9_S7_lS8_T11_S7_li.uses_vcc, 1
	.set _ZL29rocblas_internal_gemmt_kernelIlLi16ELi32ELi8ELc67ELc84ELc76ELb0ELb0EfPKfPKS1_PKPfEviT_T9_T10_S7_lS9_S7_lS8_T11_S7_li.uses_flat_scratch, 0
	.set _ZL29rocblas_internal_gemmt_kernelIlLi16ELi32ELi8ELc67ELc84ELc76ELb0ELb0EfPKfPKS1_PKPfEviT_T9_T10_S7_lS9_S7_lS8_T11_S7_li.has_dyn_sized_stack, 0
	.set _ZL29rocblas_internal_gemmt_kernelIlLi16ELi32ELi8ELc67ELc84ELc76ELb0ELb0EfPKfPKS1_PKPfEviT_T9_T10_S7_lS9_S7_lS8_T11_S7_li.has_recursion, 0
	.set _ZL29rocblas_internal_gemmt_kernelIlLi16ELi32ELi8ELc67ELc84ELc76ELb0ELb0EfPKfPKS1_PKPfEviT_T9_T10_S7_lS9_S7_lS8_T11_S7_li.has_indirect_call, 0
	.section	.AMDGPU.csdata,"",@progbits
; Kernel info:
; codeLenInByte = 1304
; TotalNumSgprs: 41
; NumVgprs: 50
; NumAgprs: 0
; TotalNumVgprs: 50
; ScratchSize: 0
; MemoryBound: 0
; FloatMode: 240
; IeeeMode: 1
; LDSByteSize: 2048 bytes/workgroup (compile time only)
; SGPRBlocks: 5
; VGPRBlocks: 6
; NumSGPRsForWavesPerEU: 41
; NumVGPRsForWavesPerEU: 50
; AccumOffset: 52
; Occupancy: 8
; WaveLimiterHint : 1
; COMPUTE_PGM_RSRC2:SCRATCH_EN: 0
; COMPUTE_PGM_RSRC2:USER_SGPR: 2
; COMPUTE_PGM_RSRC2:TRAP_HANDLER: 0
; COMPUTE_PGM_RSRC2:TGID_X_EN: 1
; COMPUTE_PGM_RSRC2:TGID_Y_EN: 1
; COMPUTE_PGM_RSRC2:TGID_Z_EN: 1
; COMPUTE_PGM_RSRC2:TIDIG_COMP_CNT: 1
; COMPUTE_PGM_RSRC3_GFX90A:ACCUM_OFFSET: 12
; COMPUTE_PGM_RSRC3_GFX90A:TG_SPLIT: 0
	.section	.text._ZL29rocblas_internal_gemmt_kernelIlLi16ELi32ELi8ELc67ELc67ELc76ELb0ELb0EfPKfPKS1_PKPfEviT_T9_T10_S7_lS9_S7_lS8_T11_S7_li,"axG",@progbits,_ZL29rocblas_internal_gemmt_kernelIlLi16ELi32ELi8ELc67ELc67ELc76ELb0ELb0EfPKfPKS1_PKPfEviT_T9_T10_S7_lS9_S7_lS8_T11_S7_li,comdat
	.globl	_ZL29rocblas_internal_gemmt_kernelIlLi16ELi32ELi8ELc67ELc67ELc76ELb0ELb0EfPKfPKS1_PKPfEviT_T9_T10_S7_lS9_S7_lS8_T11_S7_li ; -- Begin function _ZL29rocblas_internal_gemmt_kernelIlLi16ELi32ELi8ELc67ELc67ELc76ELb0ELb0EfPKfPKS1_PKPfEviT_T9_T10_S7_lS9_S7_lS8_T11_S7_li
	.p2align	8
	.type	_ZL29rocblas_internal_gemmt_kernelIlLi16ELi32ELi8ELc67ELc67ELc76ELb0ELb0EfPKfPKS1_PKPfEviT_T9_T10_S7_lS9_S7_lS8_T11_S7_li,@function
_ZL29rocblas_internal_gemmt_kernelIlLi16ELi32ELi8ELc67ELc67ELc76ELb0ELb0EfPKfPKS1_PKPfEviT_T9_T10_S7_lS9_S7_lS8_T11_S7_li: ; @_ZL29rocblas_internal_gemmt_kernelIlLi16ELi32ELi8ELc67ELc67ELc76ELb0ELb0EfPKfPKS1_PKPfEviT_T9_T10_S7_lS9_S7_lS8_T11_S7_li
; %bb.0:
	s_load_dwordx8 s[24:31], s[0:1], 0x48
	s_load_dwordx16 s[8:23], s[0:1], 0x8
	s_waitcnt lgkmcnt(0)
	s_load_dword s33, s[24:25], 0x0
	s_load_dword s34, s[10:11], 0x0
	s_waitcnt lgkmcnt(0)
	v_cmp_neq_f32_e64 s[6:7], s33, 1.0
	s_and_b64 vcc, exec, s[6:7]
	s_cbranch_vccnz .LBB449_2
; %bb.1:
	s_cmp_lg_u64 s[8:9], 0
	s_cselect_b64 s[6:7], -1, 0
	v_cmp_neq_f32_e64 s[10:11], s34, 0
	s_and_b64 s[6:7], s[6:7], s[10:11]
.LBB449_2:
	s_andn2_b64 vcc, exec, s[6:7]
	s_cbranch_vccnz .LBB449_28
; %bb.3:
	s_mov_b32 s5, 0
	s_load_dword s24, s[0:1], 0x0
	s_lshl_b64 s[0:1], s[4:5], 3
	s_add_u32 s4, s26, s0
	s_addc_u32 s5, s27, s1
	s_load_dwordx2 s[4:5], s[4:5], 0x0
	s_lshl_b32 s25, s2, 5
	s_lshl_b32 s26, s3, 5
	v_cmp_eq_f32_e64 s[2:3], s34, 0
	v_cmp_lt_i64_e64 s[6:7], s[8:9], 1
	v_mov_b32_e32 v3, 0
	s_or_b64 s[2:3], s[2:3], s[6:7]
	v_and_b32_e32 v5, 0x3ff, v0
	v_bfe_u32 v7, v0, 10, 10
	s_and_b64 vcc, exec, s[2:3]
	v_mov_b32_e32 v2, v3
	v_mov_b32_e32 v1, v3
	;; [unrolled: 1-line block ×3, first 2 shown]
	s_cbranch_vccnz .LBB449_12
; %bb.4:
	s_add_u32 s2, s18, s0
	s_addc_u32 s3, s19, s1
	s_load_dwordx2 s[2:3], s[2:3], 0x0
	s_lshl_b64 s[6:7], s[22:23], 2
	v_lshl_add_u32 v1, v7, 4, v5
	v_lshrrev_b32_e32 v6, 5, v1
	v_lshrrev_b32_e32 v10, 3, v1
	s_waitcnt lgkmcnt(0)
	s_add_u32 s6, s2, s6
	s_addc_u32 s7, s3, s7
	s_add_u32 s0, s12, s0
	s_addc_u32 s1, s13, s1
	s_load_dwordx2 s[0:1], s[0:1], 0x0
	v_and_b32_e32 v1, 31, v1
	s_lshl_b64 s[2:3], s[16:17], 2
	v_or_b32_e32 v2, s25, v1
	v_lshlrev_b32_e32 v1, 2, v1
	s_waitcnt lgkmcnt(0)
	s_add_u32 s2, s0, s2
	s_addc_u32 s3, s1, s3
	v_cmp_gt_i32_e64 s[0:1], s24, v2
	v_lshl_or_b32 v14, v6, 7, v1
	s_ashr_i32 s12, s25, 31
	v_mul_lo_u32 v1, s15, v2
	v_mad_u64_u32 v[2:3], s[10:11], s14, v2, 0
	v_and_b32_e32 v4, 7, v5
	s_mul_i32 s10, s14, s12
	v_add3_u32 v3, v3, s10, v1
	v_lshlrev_b32_e32 v1, 2, v4
	v_add_u32_e32 v0, s26, v10
	v_lshl_or_b32 v1, v10, 5, v1
	v_add_u32_e32 v15, 0x400, v1
	v_ashrrev_i32_e32 v1, 31, v0
	v_lshl_add_u64 v[8:9], v[2:3], 2, s[2:3]
	v_cmp_gt_i32_e64 s[2:3], s24, v0
	v_lshl_add_u64 v[10:11], v[0:1], 2, s[6:7]
	v_mov_b32_e32 v0, 0x400
	v_mov_b32_e32 v13, 0
	v_lshlrev_b32_e32 v16, 2, v5
	v_lshl_add_u32 v17, v7, 5, v0
	s_mov_b64 s[6:7], 0
	v_mov_b32_e32 v0, v13
	v_mov_b32_e32 v1, v13
	;; [unrolled: 1-line block ×4, first 2 shown]
	s_branch .LBB449_6
.LBB449_5:                              ;   in Loop: Header=BB449_6 Depth=1
	s_or_b64 exec, exec, s[10:11]
	s_waitcnt vmcnt(0) lgkmcnt(0)
	ds_write_b32 v15, v18
	s_waitcnt lgkmcnt(0)
	s_barrier
	ds_read_b128 v[18:21], v17
	ds_read_b128 v[22:25], v17 offset:16
	ds_read2_b32 v[34:35], v16 offset1:16
	ds_read2_b32 v[36:37], v16 offset0:32 offset1:48
	ds_read2_b32 v[38:39], v16 offset0:64 offset1:80
	;; [unrolled: 1-line block ×4, first 2 shown]
	ds_read_b128 v[26:29], v17 offset:512
	ds_read_b128 v[30:33], v17 offset:528
	ds_read2_b32 v[44:45], v16 offset0:160 offset1:176
	ds_read2_b32 v[46:47], v16 offset0:192 offset1:208
	;; [unrolled: 1-line block ×3, first 2 shown]
	s_waitcnt lgkmcnt(9)
	v_pk_fma_f32 v[2:3], v[34:35], v[18:19], v[2:3] op_sel_hi:[1,0,1]
	v_mov_b32_e32 v12, v21
	s_waitcnt lgkmcnt(8)
	v_pk_fma_f32 v[2:3], v[36:37], v[18:19], v[2:3] op_sel:[0,1,0]
	s_waitcnt lgkmcnt(4)
	v_pk_fma_f32 v[0:1], v[34:35], v[26:27], v[0:1] op_sel_hi:[1,0,1]
	v_pk_fma_f32 v[2:3], v[38:39], v[20:21], v[2:3] op_sel_hi:[1,0,1]
	v_pk_fma_f32 v[0:1], v[36:37], v[26:27], v[0:1] op_sel:[0,1,0]
	v_pk_fma_f32 v[2:3], v[40:41], v[12:13], v[2:3] op_sel_hi:[1,0,1]
	v_mov_b32_e32 v12, v25
	v_pk_fma_f32 v[2:3], v[42:43], v[22:23], v[2:3] op_sel_hi:[1,0,1]
	v_pk_fma_f32 v[0:1], v[38:39], v[28:29], v[0:1] op_sel_hi:[1,0,1]
	s_waitcnt lgkmcnt(2)
	v_pk_fma_f32 v[2:3], v[44:45], v[22:23], v[2:3] op_sel:[0,1,0]
	s_add_u32 s6, s6, 8
	s_waitcnt lgkmcnt(1)
	v_pk_fma_f32 v[2:3], v[46:47], v[24:25], v[2:3] op_sel_hi:[1,0,1]
	s_addc_u32 s7, s7, 0
	s_waitcnt lgkmcnt(0)
	v_pk_fma_f32 v[2:3], v[48:49], v[12:13], v[2:3] op_sel_hi:[1,0,1]
	v_mov_b32_e32 v12, v29
	v_pk_fma_f32 v[0:1], v[40:41], v[12:13], v[0:1] op_sel_hi:[1,0,1]
	v_mov_b64_e32 v[18:19], s[6:7]
	v_pk_fma_f32 v[0:1], v[42:43], v[30:31], v[0:1] op_sel_hi:[1,0,1]
	v_mov_b32_e32 v12, v33
	v_pk_fma_f32 v[0:1], v[44:45], v[30:31], v[0:1] op_sel:[0,1,0]
	v_cmp_gt_i64_e32 vcc, s[8:9], v[18:19]
	v_pk_fma_f32 v[0:1], v[46:47], v[32:33], v[0:1] op_sel_hi:[1,0,1]
	s_nop 0
	v_pk_fma_f32 v[0:1], v[48:49], v[12:13], v[0:1] op_sel_hi:[1,0,1]
	s_barrier
	s_cbranch_vccz .LBB449_12
.LBB449_6:                              ; =>This Inner Loop Header: Depth=1
	v_mov_b32_e32 v18, 0
	s_and_saveexec_b64 s[10:11], s[0:1]
	s_cbranch_execz .LBB449_10
; %bb.7:                                ;   in Loop: Header=BB449_6 Depth=1
	v_add_u32_e32 v12, s6, v6
	v_cmp_gt_u64_e32 vcc, s[8:9], v[12:13]
	v_mov_b32_e32 v18, 0
	s_and_saveexec_b64 s[12:13], vcc
	s_cbranch_execz .LBB449_9
; %bb.8:                                ;   in Loop: Header=BB449_6 Depth=1
	v_lshl_add_u64 v[18:19], v[12:13], 2, v[8:9]
	flat_load_dword v18, v[18:19]
.LBB449_9:                              ;   in Loop: Header=BB449_6 Depth=1
	s_or_b64 exec, exec, s[12:13]
.LBB449_10:                             ;   in Loop: Header=BB449_6 Depth=1
	s_or_b64 exec, exec, s[10:11]
	v_add_u32_e32 v12, s6, v4
	v_cmp_gt_u64_e32 vcc, s[8:9], v[12:13]
	s_waitcnt vmcnt(0) lgkmcnt(0)
	ds_write_b32 v14, v18
	s_and_b64 s[12:13], vcc, s[2:3]
	v_mov_b32_e32 v18, 0
	s_and_saveexec_b64 s[10:11], s[12:13]
	s_cbranch_execz .LBB449_5
; %bb.11:                               ;   in Loop: Header=BB449_6 Depth=1
	v_mad_u64_u32 v[18:19], s[12:13], s20, v12, 0
	v_mov_b32_e32 v20, v19
	v_mad_u64_u32 v[20:21], s[12:13], s21, v12, v[20:21]
	v_mov_b32_e32 v19, v20
	v_lshl_add_u64 v[18:19], v[18:19], 2, v[10:11]
	flat_load_dword v18, v[18:19]
	s_branch .LBB449_5
.LBB449_12:
	s_lshl_b64 s[0:1], s[30:31], 2
	v_add_u32_e32 v10, s26, v7
	s_waitcnt lgkmcnt(0)
	s_add_u32 s6, s4, s0
	v_add_u32_e32 v4, s25, v5
	v_ashrrev_i32_e32 v5, 31, v10
	s_addc_u32 s7, s5, s1
	v_mul_lo_u32 v5, s28, v5
	v_mul_lo_u32 v8, s29, v10
	v_mad_u64_u32 v[6:7], s[0:1], s28, v10, 0
	v_add3_u32 v7, v7, v5, v8
	v_cmp_neq_f32_e64 s[0:1], s33, 0
	v_lshl_add_u64 v[8:9], v[6:7], 2, s[6:7]
	v_cmp_le_i32_e32 vcc, v10, v4
	v_cmp_gt_i32_e64 s[2:3], s24, v4
	v_cndmask_b32_e64 v6, 0, 1, s[0:1]
	s_and_b64 s[8:9], vcc, s[2:3]
	v_ashrrev_i32_e32 v5, 31, v4
	v_cmp_ne_u32_e64 s[0:1], 1, v6
	s_and_saveexec_b64 s[4:5], s[8:9]
	s_cbranch_execz .LBB449_16
; %bb.13:
	v_mul_f32_e32 v2, s34, v2
	s_and_b64 vcc, exec, s[0:1]
	v_lshl_add_u64 v[6:7], v[4:5], 2, v[8:9]
	s_cbranch_vccnz .LBB449_15
; %bb.14:
	flat_load_dword v11, v[6:7]
	s_waitcnt vmcnt(0) lgkmcnt(0)
	v_fmac_f32_e32 v2, s33, v11
.LBB449_15:
	flat_store_dword v[6:7], v2
.LBB449_16:
	s_or_b64 exec, exec, s[4:5]
	v_add_u32_e32 v6, 16, v4
	v_cmp_le_i32_e32 vcc, v10, v6
	v_cmp_gt_i32_e64 s[4:5], s24, v6
	s_and_b64 s[10:11], vcc, s[4:5]
	v_ashrrev_i32_e32 v7, 31, v6
	s_and_saveexec_b64 s[8:9], s[10:11]
	s_cbranch_execz .LBB449_20
; %bb.17:
	v_mul_f32_e32 v11, s34, v3
	s_and_b64 vcc, exec, s[0:1]
	v_lshl_add_u64 v[2:3], v[6:7], 2, v[8:9]
	s_cbranch_vccnz .LBB449_19
; %bb.18:
	flat_load_dword v8, v[2:3]
	s_waitcnt vmcnt(0) lgkmcnt(0)
	v_fmac_f32_e32 v11, s33, v8
.LBB449_19:
	flat_store_dword v[2:3], v11
.LBB449_20:
	s_or_b64 exec, exec, s[8:9]
	v_add_u32_e32 v8, 16, v10
	v_ashrrev_i32_e32 v2, 31, v8
	v_mul_lo_u32 v9, s28, v2
	v_mul_lo_u32 v10, s29, v8
	v_mad_u64_u32 v[2:3], s[8:9], s28, v8, 0
	v_add3_u32 v3, v3, v9, v10
	v_cmp_le_i32_e32 vcc, v8, v4
	v_lshl_add_u64 v[2:3], v[2:3], 2, s[6:7]
	s_and_b64 s[6:7], vcc, s[2:3]
	s_and_saveexec_b64 s[2:3], s[6:7]
	s_cbranch_execz .LBB449_24
; %bb.21:
	v_mul_f32_e32 v0, s34, v0
	s_and_b64 vcc, exec, s[0:1]
	v_lshl_add_u64 v[4:5], v[4:5], 2, v[2:3]
	s_cbranch_vccnz .LBB449_23
; %bb.22:
	flat_load_dword v9, v[4:5]
	s_waitcnt vmcnt(0) lgkmcnt(0)
	v_fmac_f32_e32 v0, s33, v9
.LBB449_23:
	flat_store_dword v[4:5], v0
.LBB449_24:
	s_or_b64 exec, exec, s[2:3]
	v_cmp_le_i32_e32 vcc, v8, v6
	s_and_b64 s[2:3], vcc, s[4:5]
	s_and_saveexec_b64 s[4:5], s[2:3]
	s_cbranch_execz .LBB449_28
; %bb.25:
	v_mul_f32_e32 v4, s34, v1
	s_and_b64 vcc, exec, s[0:1]
	v_lshl_add_u64 v[0:1], v[6:7], 2, v[2:3]
	s_cbranch_vccnz .LBB449_27
; %bb.26:
	flat_load_dword v2, v[0:1]
	s_waitcnt vmcnt(0) lgkmcnt(0)
	v_fmac_f32_e32 v4, s33, v2
.LBB449_27:
	flat_store_dword v[0:1], v4
.LBB449_28:
	s_endpgm
	.section	.rodata,"a",@progbits
	.p2align	6, 0x0
	.amdhsa_kernel _ZL29rocblas_internal_gemmt_kernelIlLi16ELi32ELi8ELc67ELc67ELc76ELb0ELb0EfPKfPKS1_PKPfEviT_T9_T10_S7_lS9_S7_lS8_T11_S7_li
		.amdhsa_group_segment_fixed_size 2048
		.amdhsa_private_segment_fixed_size 0
		.amdhsa_kernarg_size 108
		.amdhsa_user_sgpr_count 2
		.amdhsa_user_sgpr_dispatch_ptr 0
		.amdhsa_user_sgpr_queue_ptr 0
		.amdhsa_user_sgpr_kernarg_segment_ptr 1
		.amdhsa_user_sgpr_dispatch_id 0
		.amdhsa_user_sgpr_kernarg_preload_length 0
		.amdhsa_user_sgpr_kernarg_preload_offset 0
		.amdhsa_user_sgpr_private_segment_size 0
		.amdhsa_uses_dynamic_stack 0
		.amdhsa_enable_private_segment 0
		.amdhsa_system_sgpr_workgroup_id_x 1
		.amdhsa_system_sgpr_workgroup_id_y 1
		.amdhsa_system_sgpr_workgroup_id_z 1
		.amdhsa_system_sgpr_workgroup_info 0
		.amdhsa_system_vgpr_workitem_id 1
		.amdhsa_next_free_vgpr 50
		.amdhsa_next_free_sgpr 35
		.amdhsa_accum_offset 52
		.amdhsa_reserve_vcc 1
		.amdhsa_float_round_mode_32 0
		.amdhsa_float_round_mode_16_64 0
		.amdhsa_float_denorm_mode_32 3
		.amdhsa_float_denorm_mode_16_64 3
		.amdhsa_dx10_clamp 1
		.amdhsa_ieee_mode 1
		.amdhsa_fp16_overflow 0
		.amdhsa_tg_split 0
		.amdhsa_exception_fp_ieee_invalid_op 0
		.amdhsa_exception_fp_denorm_src 0
		.amdhsa_exception_fp_ieee_div_zero 0
		.amdhsa_exception_fp_ieee_overflow 0
		.amdhsa_exception_fp_ieee_underflow 0
		.amdhsa_exception_fp_ieee_inexact 0
		.amdhsa_exception_int_div_zero 0
	.end_amdhsa_kernel
	.section	.text._ZL29rocblas_internal_gemmt_kernelIlLi16ELi32ELi8ELc67ELc67ELc76ELb0ELb0EfPKfPKS1_PKPfEviT_T9_T10_S7_lS9_S7_lS8_T11_S7_li,"axG",@progbits,_ZL29rocblas_internal_gemmt_kernelIlLi16ELi32ELi8ELc67ELc67ELc76ELb0ELb0EfPKfPKS1_PKPfEviT_T9_T10_S7_lS9_S7_lS8_T11_S7_li,comdat
.Lfunc_end449:
	.size	_ZL29rocblas_internal_gemmt_kernelIlLi16ELi32ELi8ELc67ELc67ELc76ELb0ELb0EfPKfPKS1_PKPfEviT_T9_T10_S7_lS9_S7_lS8_T11_S7_li, .Lfunc_end449-_ZL29rocblas_internal_gemmt_kernelIlLi16ELi32ELi8ELc67ELc67ELc76ELb0ELb0EfPKfPKS1_PKPfEviT_T9_T10_S7_lS9_S7_lS8_T11_S7_li
                                        ; -- End function
	.set _ZL29rocblas_internal_gemmt_kernelIlLi16ELi32ELi8ELc67ELc67ELc76ELb0ELb0EfPKfPKS1_PKPfEviT_T9_T10_S7_lS9_S7_lS8_T11_S7_li.num_vgpr, 50
	.set _ZL29rocblas_internal_gemmt_kernelIlLi16ELi32ELi8ELc67ELc67ELc76ELb0ELb0EfPKfPKS1_PKPfEviT_T9_T10_S7_lS9_S7_lS8_T11_S7_li.num_agpr, 0
	.set _ZL29rocblas_internal_gemmt_kernelIlLi16ELi32ELi8ELc67ELc67ELc76ELb0ELb0EfPKfPKS1_PKPfEviT_T9_T10_S7_lS9_S7_lS8_T11_S7_li.numbered_sgpr, 35
	.set _ZL29rocblas_internal_gemmt_kernelIlLi16ELi32ELi8ELc67ELc67ELc76ELb0ELb0EfPKfPKS1_PKPfEviT_T9_T10_S7_lS9_S7_lS8_T11_S7_li.num_named_barrier, 0
	.set _ZL29rocblas_internal_gemmt_kernelIlLi16ELi32ELi8ELc67ELc67ELc76ELb0ELb0EfPKfPKS1_PKPfEviT_T9_T10_S7_lS9_S7_lS8_T11_S7_li.private_seg_size, 0
	.set _ZL29rocblas_internal_gemmt_kernelIlLi16ELi32ELi8ELc67ELc67ELc76ELb0ELb0EfPKfPKS1_PKPfEviT_T9_T10_S7_lS9_S7_lS8_T11_S7_li.uses_vcc, 1
	.set _ZL29rocblas_internal_gemmt_kernelIlLi16ELi32ELi8ELc67ELc67ELc76ELb0ELb0EfPKfPKS1_PKPfEviT_T9_T10_S7_lS9_S7_lS8_T11_S7_li.uses_flat_scratch, 0
	.set _ZL29rocblas_internal_gemmt_kernelIlLi16ELi32ELi8ELc67ELc67ELc76ELb0ELb0EfPKfPKS1_PKPfEviT_T9_T10_S7_lS9_S7_lS8_T11_S7_li.has_dyn_sized_stack, 0
	.set _ZL29rocblas_internal_gemmt_kernelIlLi16ELi32ELi8ELc67ELc67ELc76ELb0ELb0EfPKfPKS1_PKPfEviT_T9_T10_S7_lS9_S7_lS8_T11_S7_li.has_recursion, 0
	.set _ZL29rocblas_internal_gemmt_kernelIlLi16ELi32ELi8ELc67ELc67ELc76ELb0ELb0EfPKfPKS1_PKPfEviT_T9_T10_S7_lS9_S7_lS8_T11_S7_li.has_indirect_call, 0
	.section	.AMDGPU.csdata,"",@progbits
; Kernel info:
; codeLenInByte = 1304
; TotalNumSgprs: 41
; NumVgprs: 50
; NumAgprs: 0
; TotalNumVgprs: 50
; ScratchSize: 0
; MemoryBound: 0
; FloatMode: 240
; IeeeMode: 1
; LDSByteSize: 2048 bytes/workgroup (compile time only)
; SGPRBlocks: 5
; VGPRBlocks: 6
; NumSGPRsForWavesPerEU: 41
; NumVGPRsForWavesPerEU: 50
; AccumOffset: 52
; Occupancy: 8
; WaveLimiterHint : 1
; COMPUTE_PGM_RSRC2:SCRATCH_EN: 0
; COMPUTE_PGM_RSRC2:USER_SGPR: 2
; COMPUTE_PGM_RSRC2:TRAP_HANDLER: 0
; COMPUTE_PGM_RSRC2:TGID_X_EN: 1
; COMPUTE_PGM_RSRC2:TGID_Y_EN: 1
; COMPUTE_PGM_RSRC2:TGID_Z_EN: 1
; COMPUTE_PGM_RSRC2:TIDIG_COMP_CNT: 1
; COMPUTE_PGM_RSRC3_GFX90A:ACCUM_OFFSET: 12
; COMPUTE_PGM_RSRC3_GFX90A:TG_SPLIT: 0
	.section	.text._ZL29rocblas_internal_gemmt_kernelIlLi16ELi32ELi8ELc78ELc78ELc85ELb0ELb0EffPKPKfPKPfEviT_T9_T10_S7_lS9_S7_lS8_T11_S7_li,"axG",@progbits,_ZL29rocblas_internal_gemmt_kernelIlLi16ELi32ELi8ELc78ELc78ELc85ELb0ELb0EffPKPKfPKPfEviT_T9_T10_S7_lS9_S7_lS8_T11_S7_li,comdat
	.globl	_ZL29rocblas_internal_gemmt_kernelIlLi16ELi32ELi8ELc78ELc78ELc85ELb0ELb0EffPKPKfPKPfEviT_T9_T10_S7_lS9_S7_lS8_T11_S7_li ; -- Begin function _ZL29rocblas_internal_gemmt_kernelIlLi16ELi32ELi8ELc78ELc78ELc85ELb0ELb0EffPKPKfPKPfEviT_T9_T10_S7_lS9_S7_lS8_T11_S7_li
	.p2align	8
	.type	_ZL29rocblas_internal_gemmt_kernelIlLi16ELi32ELi8ELc78ELc78ELc85ELb0ELb0EffPKPKfPKPfEviT_T9_T10_S7_lS9_S7_lS8_T11_S7_li,@function
_ZL29rocblas_internal_gemmt_kernelIlLi16ELi32ELi8ELc78ELc78ELc85ELb0ELb0EffPKPKfPKPfEviT_T9_T10_S7_lS9_S7_lS8_T11_S7_li: ; @_ZL29rocblas_internal_gemmt_kernelIlLi16ELi32ELi8ELc78ELc78ELc85ELb0ELb0EffPKPKfPKPfEviT_T9_T10_S7_lS9_S7_lS8_T11_S7_li
; %bb.0:
	s_load_dword s26, s[0:1], 0x48
	s_load_dwordx2 s[20:21], s[0:1], 0x8
	s_load_dword s27, s[0:1], 0x10
	s_waitcnt lgkmcnt(0)
	v_cmp_neq_f32_e64 s[6:7], s26, 1.0
	s_and_b64 vcc, exec, s[6:7]
	s_cbranch_vccnz .LBB450_2
; %bb.1:
	s_cmp_lg_u64 s[20:21], 0
	s_cselect_b64 s[6:7], -1, 0
	v_cmp_neq_f32_e64 s[8:9], s27, 0
	s_and_b64 s[6:7], s[6:7], s[8:9]
.LBB450_2:
	s_andn2_b64 vcc, exec, s[6:7]
	s_cbranch_vccnz .LBB450_28
; %bb.3:
	s_load_dwordx2 s[22:23], s[0:1], 0x60
	s_load_dword s28, s[0:1], 0x0
	s_load_dwordx4 s[12:15], s[0:1], 0x50
	s_mov_b32 s5, 0
	s_lshl_b64 s[24:25], s[4:5], 3
	v_mov_b32_e32 v7, 0
	v_and_b32_e32 v3, 0x3ff, v0
	s_waitcnt lgkmcnt(0)
	s_add_u32 s4, s12, s24
	s_addc_u32 s5, s13, s25
	s_load_dwordx2 s[12:13], s[4:5], 0x0
	s_lshl_b32 s29, s2, 5
	s_lshl_b32 s30, s3, 5
	v_cmp_eq_f32_e64 s[2:3], s27, 0
	v_cmp_lt_i64_e64 s[4:5], s[20:21], 1
	s_or_b64 s[2:3], s[2:3], s[4:5]
	v_bfe_u32 v5, v0, 10, 10
	s_and_b64 vcc, exec, s[2:3]
	v_mov_b32_e32 v6, v7
	v_mov_b32_e32 v1, v7
	;; [unrolled: 1-line block ×3, first 2 shown]
	s_cbranch_vccnz .LBB450_12
; %bb.4:
	s_load_dwordx8 s[4:11], s[0:1], 0x18
	s_load_dwordx4 s[16:19], s[0:1], 0x38
	v_lshl_add_u32 v0, v5, 4, v3
	v_and_b32_e32 v1, 31, v0
	v_lshrrev_b32_e32 v4, 5, v0
	s_waitcnt lgkmcnt(0)
	s_add_u32 s0, s10, s24
	s_addc_u32 s1, s11, s25
	s_load_dwordx2 s[0:1], s[0:1], 0x0
	s_lshl_b64 s[2:3], s[18:19], 2
	v_lshrrev_b32_e32 v6, 3, v0
	v_or_b32_e32 v0, s29, v1
	v_lshlrev_b32_e32 v1, 2, v1
	s_waitcnt lgkmcnt(0)
	s_add_u32 s10, s0, s2
	s_addc_u32 s11, s1, s3
	s_add_u32 s0, s4, s24
	s_addc_u32 s1, s5, s25
	s_load_dwordx2 s[2:3], s[0:1], 0x0
	s_lshl_b64 s[4:5], s[8:9], 2
	v_and_b32_e32 v2, 7, v3
	v_lshl_or_b32 v14, v4, 7, v1
	v_ashrrev_i32_e32 v1, 31, v0
	s_waitcnt lgkmcnt(0)
	s_add_u32 s2, s2, s4
	s_addc_u32 s3, s3, s5
	v_cmp_gt_i32_e64 s[0:1], s28, v0
	v_lshl_add_u64 v[8:9], v[0:1], 2, s[2:3]
	v_lshlrev_b32_e32 v0, 2, v2
	v_add_u32_e32 v7, s30, v6
	v_lshl_or_b32 v0, v6, 5, v0
	v_add_u32_e32 v15, 0x400, v0
	v_ashrrev_i32_e32 v0, 31, v7
	v_mul_lo_u32 v6, s16, v0
	v_mul_lo_u32 v10, s17, v7
	v_mad_u64_u32 v[0:1], s[4:5], s16, v7, 0
	v_add3_u32 v1, v1, v6, v10
	v_lshl_add_u64 v[10:11], v[0:1], 2, s[10:11]
	v_mov_b32_e32 v0, 0x400
	v_mov_b32_e32 v13, 0
	v_cmp_gt_i32_e64 s[2:3], s28, v7
	v_lshlrev_b32_e32 v16, 2, v3
	v_lshl_add_u32 v17, v5, 5, v0
	s_mov_b64 s[4:5], 0
	v_mov_b32_e32 v0, v13
	v_mov_b32_e32 v1, v13
	;; [unrolled: 1-line block ×4, first 2 shown]
	s_branch .LBB450_6
.LBB450_5:                              ;   in Loop: Header=BB450_6 Depth=1
	s_or_b64 exec, exec, s[8:9]
	s_waitcnt vmcnt(0) lgkmcnt(0)
	ds_write_b32 v15, v18
	s_waitcnt lgkmcnt(0)
	s_barrier
	ds_read_b128 v[18:21], v17
	ds_read_b128 v[22:25], v17 offset:16
	ds_read2_b32 v[34:35], v16 offset1:16
	ds_read2_b32 v[36:37], v16 offset0:32 offset1:48
	ds_read2_b32 v[38:39], v16 offset0:64 offset1:80
	;; [unrolled: 1-line block ×4, first 2 shown]
	ds_read_b128 v[26:29], v17 offset:512
	ds_read_b128 v[30:33], v17 offset:528
	ds_read2_b32 v[44:45], v16 offset0:160 offset1:176
	ds_read2_b32 v[46:47], v16 offset0:192 offset1:208
	ds_read2_b32 v[48:49], v16 offset0:224 offset1:240
	s_waitcnt lgkmcnt(9)
	v_pk_fma_f32 v[6:7], v[34:35], v[18:19], v[6:7] op_sel_hi:[1,0,1]
	v_mov_b32_e32 v12, v21
	s_waitcnt lgkmcnt(8)
	v_pk_fma_f32 v[6:7], v[36:37], v[18:19], v[6:7] op_sel:[0,1,0]
	s_waitcnt lgkmcnt(4)
	v_pk_fma_f32 v[0:1], v[34:35], v[26:27], v[0:1] op_sel_hi:[1,0,1]
	v_pk_fma_f32 v[6:7], v[38:39], v[20:21], v[6:7] op_sel_hi:[1,0,1]
	v_pk_fma_f32 v[0:1], v[36:37], v[26:27], v[0:1] op_sel:[0,1,0]
	v_pk_fma_f32 v[6:7], v[40:41], v[12:13], v[6:7] op_sel_hi:[1,0,1]
	v_mov_b32_e32 v12, v25
	v_pk_fma_f32 v[6:7], v[42:43], v[22:23], v[6:7] op_sel_hi:[1,0,1]
	v_pk_fma_f32 v[0:1], v[38:39], v[28:29], v[0:1] op_sel_hi:[1,0,1]
	s_waitcnt lgkmcnt(2)
	v_pk_fma_f32 v[6:7], v[44:45], v[22:23], v[6:7] op_sel:[0,1,0]
	s_add_u32 s4, s4, 8
	s_waitcnt lgkmcnt(1)
	v_pk_fma_f32 v[6:7], v[46:47], v[24:25], v[6:7] op_sel_hi:[1,0,1]
	s_addc_u32 s5, s5, 0
	s_waitcnt lgkmcnt(0)
	v_pk_fma_f32 v[6:7], v[48:49], v[12:13], v[6:7] op_sel_hi:[1,0,1]
	v_mov_b32_e32 v12, v29
	v_pk_fma_f32 v[0:1], v[40:41], v[12:13], v[0:1] op_sel_hi:[1,0,1]
	v_mov_b64_e32 v[18:19], s[4:5]
	v_pk_fma_f32 v[0:1], v[42:43], v[30:31], v[0:1] op_sel_hi:[1,0,1]
	v_mov_b32_e32 v12, v33
	v_pk_fma_f32 v[0:1], v[44:45], v[30:31], v[0:1] op_sel:[0,1,0]
	v_cmp_gt_i64_e32 vcc, s[20:21], v[18:19]
	v_pk_fma_f32 v[0:1], v[46:47], v[32:33], v[0:1] op_sel_hi:[1,0,1]
	s_nop 0
	v_pk_fma_f32 v[0:1], v[48:49], v[12:13], v[0:1] op_sel_hi:[1,0,1]
	s_barrier
	s_cbranch_vccz .LBB450_12
.LBB450_6:                              ; =>This Inner Loop Header: Depth=1
	v_mov_b32_e32 v18, 0
	s_and_saveexec_b64 s[8:9], s[0:1]
	s_cbranch_execz .LBB450_10
; %bb.7:                                ;   in Loop: Header=BB450_6 Depth=1
	v_add_u32_e32 v12, s4, v4
	v_cmp_gt_u64_e32 vcc, s[20:21], v[12:13]
	v_mov_b32_e32 v18, 0
	s_and_saveexec_b64 s[10:11], vcc
	s_cbranch_execz .LBB450_9
; %bb.8:                                ;   in Loop: Header=BB450_6 Depth=1
	v_mad_u64_u32 v[18:19], s[16:17], s6, v12, 0
	v_mov_b32_e32 v20, v19
	v_mad_u64_u32 v[20:21], s[16:17], s7, v12, v[20:21]
	v_mov_b32_e32 v19, v20
	v_lshl_add_u64 v[18:19], v[18:19], 2, v[8:9]
	flat_load_dword v18, v[18:19]
.LBB450_9:                              ;   in Loop: Header=BB450_6 Depth=1
	s_or_b64 exec, exec, s[10:11]
.LBB450_10:                             ;   in Loop: Header=BB450_6 Depth=1
	s_or_b64 exec, exec, s[8:9]
	v_add_u32_e32 v12, s4, v2
	v_cmp_gt_u64_e32 vcc, s[20:21], v[12:13]
	s_waitcnt vmcnt(0) lgkmcnt(0)
	ds_write_b32 v14, v18
	s_and_b64 s[10:11], vcc, s[2:3]
	v_mov_b32_e32 v18, 0
	s_and_saveexec_b64 s[8:9], s[10:11]
	s_cbranch_execz .LBB450_5
; %bb.11:                               ;   in Loop: Header=BB450_6 Depth=1
	v_lshl_add_u64 v[18:19], v[12:13], 2, v[10:11]
	flat_load_dword v18, v[18:19]
	s_branch .LBB450_5
.LBB450_12:
	s_lshl_b64 s[0:1], s[22:23], 2
	v_add_u32_e32 v10, s30, v5
	s_waitcnt lgkmcnt(0)
	s_add_u32 s4, s12, s0
	v_add_u32_e32 v2, s29, v3
	v_ashrrev_i32_e32 v3, 31, v10
	s_addc_u32 s5, s13, s1
	v_mul_lo_u32 v3, s14, v3
	v_mul_lo_u32 v8, s15, v10
	v_mad_u64_u32 v[4:5], s[0:1], s14, v10, 0
	v_add3_u32 v5, v5, v3, v8
	v_cmp_neq_f32_e64 s[0:1], s26, 0
	v_cmp_gt_i32_e64 s[2:3], s28, v10
	v_lshl_add_u64 v[8:9], v[4:5], 2, s[4:5]
	v_cmp_le_i32_e32 vcc, v2, v10
	v_cndmask_b32_e64 v4, 0, 1, s[0:1]
	s_and_b64 s[8:9], s[2:3], vcc
	v_ashrrev_i32_e32 v3, 31, v2
	v_cmp_ne_u32_e64 s[0:1], 1, v4
	s_and_saveexec_b64 s[6:7], s[8:9]
	s_cbranch_execz .LBB450_16
; %bb.13:
	v_mul_f32_e32 v6, s27, v6
	s_and_b64 vcc, exec, s[0:1]
	v_lshl_add_u64 v[4:5], v[2:3], 2, v[8:9]
	s_cbranch_vccnz .LBB450_15
; %bb.14:
	flat_load_dword v11, v[4:5]
	s_waitcnt vmcnt(0) lgkmcnt(0)
	v_fmac_f32_e32 v6, s26, v11
.LBB450_15:
	flat_store_dword v[4:5], v6
.LBB450_16:
	s_or_b64 exec, exec, s[6:7]
	v_add_u32_e32 v4, 16, v2
	v_cmp_le_i32_e32 vcc, v4, v10
	s_and_b64 s[6:7], s[2:3], vcc
	v_ashrrev_i32_e32 v5, 31, v4
	s_and_saveexec_b64 s[2:3], s[6:7]
	s_cbranch_execz .LBB450_20
; %bb.17:
	v_mul_f32_e32 v11, s27, v7
	s_and_b64 vcc, exec, s[0:1]
	v_lshl_add_u64 v[6:7], v[4:5], 2, v[8:9]
	s_cbranch_vccnz .LBB450_19
; %bb.18:
	flat_load_dword v8, v[6:7]
	s_waitcnt vmcnt(0) lgkmcnt(0)
	v_fmac_f32_e32 v11, s26, v8
.LBB450_19:
	flat_store_dword v[6:7], v11
.LBB450_20:
	s_or_b64 exec, exec, s[2:3]
	v_add_u32_e32 v8, 16, v10
	v_ashrrev_i32_e32 v6, 31, v8
	v_mul_lo_u32 v9, s14, v6
	v_mul_lo_u32 v10, s15, v8
	v_mad_u64_u32 v[6:7], s[6:7], s14, v8, 0
	v_cmp_gt_i32_e64 s[2:3], s28, v8
	v_add3_u32 v7, v7, v9, v10
	v_cmp_le_i32_e32 vcc, v2, v8
	v_lshl_add_u64 v[6:7], v[6:7], 2, s[4:5]
	s_and_b64 s[6:7], s[2:3], vcc
	s_and_saveexec_b64 s[4:5], s[6:7]
	s_cbranch_execz .LBB450_24
; %bb.21:
	v_mul_f32_e32 v0, s27, v0
	s_and_b64 vcc, exec, s[0:1]
	v_lshl_add_u64 v[2:3], v[2:3], 2, v[6:7]
	s_cbranch_vccnz .LBB450_23
; %bb.22:
	flat_load_dword v9, v[2:3]
	s_waitcnt vmcnt(0) lgkmcnt(0)
	v_fmac_f32_e32 v0, s26, v9
.LBB450_23:
	flat_store_dword v[2:3], v0
.LBB450_24:
	s_or_b64 exec, exec, s[4:5]
	v_cmp_le_i32_e32 vcc, v4, v8
	s_and_b64 s[2:3], s[2:3], vcc
	s_and_saveexec_b64 s[4:5], s[2:3]
	s_cbranch_execz .LBB450_28
; %bb.25:
	v_mul_f32_e32 v2, s27, v1
	s_and_b64 vcc, exec, s[0:1]
	v_lshl_add_u64 v[0:1], v[4:5], 2, v[6:7]
	s_cbranch_vccnz .LBB450_27
; %bb.26:
	flat_load_dword v3, v[0:1]
	s_waitcnt vmcnt(0) lgkmcnt(0)
	v_fmac_f32_e32 v2, s26, v3
.LBB450_27:
	flat_store_dword v[0:1], v2
.LBB450_28:
	s_endpgm
	.section	.rodata,"a",@progbits
	.p2align	6, 0x0
	.amdhsa_kernel _ZL29rocblas_internal_gemmt_kernelIlLi16ELi32ELi8ELc78ELc78ELc85ELb0ELb0EffPKPKfPKPfEviT_T9_T10_S7_lS9_S7_lS8_T11_S7_li
		.amdhsa_group_segment_fixed_size 2048
		.amdhsa_private_segment_fixed_size 0
		.amdhsa_kernarg_size 108
		.amdhsa_user_sgpr_count 2
		.amdhsa_user_sgpr_dispatch_ptr 0
		.amdhsa_user_sgpr_queue_ptr 0
		.amdhsa_user_sgpr_kernarg_segment_ptr 1
		.amdhsa_user_sgpr_dispatch_id 0
		.amdhsa_user_sgpr_kernarg_preload_length 0
		.amdhsa_user_sgpr_kernarg_preload_offset 0
		.amdhsa_user_sgpr_private_segment_size 0
		.amdhsa_uses_dynamic_stack 0
		.amdhsa_enable_private_segment 0
		.amdhsa_system_sgpr_workgroup_id_x 1
		.amdhsa_system_sgpr_workgroup_id_y 1
		.amdhsa_system_sgpr_workgroup_id_z 1
		.amdhsa_system_sgpr_workgroup_info 0
		.amdhsa_system_vgpr_workitem_id 1
		.amdhsa_next_free_vgpr 50
		.amdhsa_next_free_sgpr 31
		.amdhsa_accum_offset 52
		.amdhsa_reserve_vcc 1
		.amdhsa_float_round_mode_32 0
		.amdhsa_float_round_mode_16_64 0
		.amdhsa_float_denorm_mode_32 3
		.amdhsa_float_denorm_mode_16_64 3
		.amdhsa_dx10_clamp 1
		.amdhsa_ieee_mode 1
		.amdhsa_fp16_overflow 0
		.amdhsa_tg_split 0
		.amdhsa_exception_fp_ieee_invalid_op 0
		.amdhsa_exception_fp_denorm_src 0
		.amdhsa_exception_fp_ieee_div_zero 0
		.amdhsa_exception_fp_ieee_overflow 0
		.amdhsa_exception_fp_ieee_underflow 0
		.amdhsa_exception_fp_ieee_inexact 0
		.amdhsa_exception_int_div_zero 0
	.end_amdhsa_kernel
	.section	.text._ZL29rocblas_internal_gemmt_kernelIlLi16ELi32ELi8ELc78ELc78ELc85ELb0ELb0EffPKPKfPKPfEviT_T9_T10_S7_lS9_S7_lS8_T11_S7_li,"axG",@progbits,_ZL29rocblas_internal_gemmt_kernelIlLi16ELi32ELi8ELc78ELc78ELc85ELb0ELb0EffPKPKfPKPfEviT_T9_T10_S7_lS9_S7_lS8_T11_S7_li,comdat
.Lfunc_end450:
	.size	_ZL29rocblas_internal_gemmt_kernelIlLi16ELi32ELi8ELc78ELc78ELc85ELb0ELb0EffPKPKfPKPfEviT_T9_T10_S7_lS9_S7_lS8_T11_S7_li, .Lfunc_end450-_ZL29rocblas_internal_gemmt_kernelIlLi16ELi32ELi8ELc78ELc78ELc85ELb0ELb0EffPKPKfPKPfEviT_T9_T10_S7_lS9_S7_lS8_T11_S7_li
                                        ; -- End function
	.set _ZL29rocblas_internal_gemmt_kernelIlLi16ELi32ELi8ELc78ELc78ELc85ELb0ELb0EffPKPKfPKPfEviT_T9_T10_S7_lS9_S7_lS8_T11_S7_li.num_vgpr, 50
	.set _ZL29rocblas_internal_gemmt_kernelIlLi16ELi32ELi8ELc78ELc78ELc85ELb0ELb0EffPKPKfPKPfEviT_T9_T10_S7_lS9_S7_lS8_T11_S7_li.num_agpr, 0
	.set _ZL29rocblas_internal_gemmt_kernelIlLi16ELi32ELi8ELc78ELc78ELc85ELb0ELb0EffPKPKfPKPfEviT_T9_T10_S7_lS9_S7_lS8_T11_S7_li.numbered_sgpr, 31
	.set _ZL29rocblas_internal_gemmt_kernelIlLi16ELi32ELi8ELc78ELc78ELc85ELb0ELb0EffPKPKfPKPfEviT_T9_T10_S7_lS9_S7_lS8_T11_S7_li.num_named_barrier, 0
	.set _ZL29rocblas_internal_gemmt_kernelIlLi16ELi32ELi8ELc78ELc78ELc85ELb0ELb0EffPKPKfPKPfEviT_T9_T10_S7_lS9_S7_lS8_T11_S7_li.private_seg_size, 0
	.set _ZL29rocblas_internal_gemmt_kernelIlLi16ELi32ELi8ELc78ELc78ELc85ELb0ELb0EffPKPKfPKPfEviT_T9_T10_S7_lS9_S7_lS8_T11_S7_li.uses_vcc, 1
	.set _ZL29rocblas_internal_gemmt_kernelIlLi16ELi32ELi8ELc78ELc78ELc85ELb0ELb0EffPKPKfPKPfEviT_T9_T10_S7_lS9_S7_lS8_T11_S7_li.uses_flat_scratch, 0
	.set _ZL29rocblas_internal_gemmt_kernelIlLi16ELi32ELi8ELc78ELc78ELc85ELb0ELb0EffPKPKfPKPfEviT_T9_T10_S7_lS9_S7_lS8_T11_S7_li.has_dyn_sized_stack, 0
	.set _ZL29rocblas_internal_gemmt_kernelIlLi16ELi32ELi8ELc78ELc78ELc85ELb0ELb0EffPKPKfPKPfEviT_T9_T10_S7_lS9_S7_lS8_T11_S7_li.has_recursion, 0
	.set _ZL29rocblas_internal_gemmt_kernelIlLi16ELi32ELi8ELc78ELc78ELc85ELb0ELb0EffPKPKfPKPfEviT_T9_T10_S7_lS9_S7_lS8_T11_S7_li.has_indirect_call, 0
	.section	.AMDGPU.csdata,"",@progbits
; Kernel info:
; codeLenInByte = 1336
; TotalNumSgprs: 37
; NumVgprs: 50
; NumAgprs: 0
; TotalNumVgprs: 50
; ScratchSize: 0
; MemoryBound: 0
; FloatMode: 240
; IeeeMode: 1
; LDSByteSize: 2048 bytes/workgroup (compile time only)
; SGPRBlocks: 4
; VGPRBlocks: 6
; NumSGPRsForWavesPerEU: 37
; NumVGPRsForWavesPerEU: 50
; AccumOffset: 52
; Occupancy: 8
; WaveLimiterHint : 1
; COMPUTE_PGM_RSRC2:SCRATCH_EN: 0
; COMPUTE_PGM_RSRC2:USER_SGPR: 2
; COMPUTE_PGM_RSRC2:TRAP_HANDLER: 0
; COMPUTE_PGM_RSRC2:TGID_X_EN: 1
; COMPUTE_PGM_RSRC2:TGID_Y_EN: 1
; COMPUTE_PGM_RSRC2:TGID_Z_EN: 1
; COMPUTE_PGM_RSRC2:TIDIG_COMP_CNT: 1
; COMPUTE_PGM_RSRC3_GFX90A:ACCUM_OFFSET: 12
; COMPUTE_PGM_RSRC3_GFX90A:TG_SPLIT: 0
	.section	.text._ZL29rocblas_internal_gemmt_kernelIlLi16ELi32ELi8ELc78ELc84ELc85ELb0ELb0EffPKPKfPKPfEviT_T9_T10_S7_lS9_S7_lS8_T11_S7_li,"axG",@progbits,_ZL29rocblas_internal_gemmt_kernelIlLi16ELi32ELi8ELc78ELc84ELc85ELb0ELb0EffPKPKfPKPfEviT_T9_T10_S7_lS9_S7_lS8_T11_S7_li,comdat
	.globl	_ZL29rocblas_internal_gemmt_kernelIlLi16ELi32ELi8ELc78ELc84ELc85ELb0ELb0EffPKPKfPKPfEviT_T9_T10_S7_lS9_S7_lS8_T11_S7_li ; -- Begin function _ZL29rocblas_internal_gemmt_kernelIlLi16ELi32ELi8ELc78ELc84ELc85ELb0ELb0EffPKPKfPKPfEviT_T9_T10_S7_lS9_S7_lS8_T11_S7_li
	.p2align	8
	.type	_ZL29rocblas_internal_gemmt_kernelIlLi16ELi32ELi8ELc78ELc84ELc85ELb0ELb0EffPKPKfPKPfEviT_T9_T10_S7_lS9_S7_lS8_T11_S7_li,@function
_ZL29rocblas_internal_gemmt_kernelIlLi16ELi32ELi8ELc78ELc84ELc85ELb0ELb0EffPKPKfPKPfEviT_T9_T10_S7_lS9_S7_lS8_T11_S7_li: ; @_ZL29rocblas_internal_gemmt_kernelIlLi16ELi32ELi8ELc78ELc84ELc85ELb0ELb0EffPKPKfPKPfEviT_T9_T10_S7_lS9_S7_lS8_T11_S7_li
; %bb.0:
	s_load_dword s26, s[0:1], 0x48
	s_load_dwordx2 s[20:21], s[0:1], 0x8
	s_load_dword s27, s[0:1], 0x10
	s_waitcnt lgkmcnt(0)
	v_cmp_neq_f32_e64 s[6:7], s26, 1.0
	s_and_b64 vcc, exec, s[6:7]
	s_cbranch_vccnz .LBB451_2
; %bb.1:
	s_cmp_lg_u64 s[20:21], 0
	s_cselect_b64 s[6:7], -1, 0
	v_cmp_neq_f32_e64 s[8:9], s27, 0
	s_and_b64 s[6:7], s[6:7], s[8:9]
.LBB451_2:
	s_andn2_b64 vcc, exec, s[6:7]
	s_cbranch_vccnz .LBB451_28
; %bb.3:
	s_load_dwordx2 s[22:23], s[0:1], 0x60
	s_load_dword s28, s[0:1], 0x0
	s_load_dwordx4 s[12:15], s[0:1], 0x50
	s_mov_b32 s5, 0
	s_lshl_b64 s[24:25], s[4:5], 3
	v_mov_b32_e32 v5, 0
	v_and_b32_e32 v3, 0x3ff, v0
	s_waitcnt lgkmcnt(0)
	s_add_u32 s4, s12, s24
	s_addc_u32 s5, s13, s25
	s_load_dwordx2 s[12:13], s[4:5], 0x0
	s_lshl_b32 s29, s2, 5
	s_lshl_b32 s30, s3, 5
	v_cmp_eq_f32_e64 s[2:3], s27, 0
	v_cmp_lt_i64_e64 s[4:5], s[20:21], 1
	s_or_b64 s[2:3], s[2:3], s[4:5]
	v_bfe_u32 v7, v0, 10, 10
	s_and_b64 vcc, exec, s[2:3]
	v_mov_b32_e32 v4, v5
	v_mov_b32_e32 v1, v5
	;; [unrolled: 1-line block ×3, first 2 shown]
	s_cbranch_vccnz .LBB451_12
; %bb.4:
	s_load_dwordx8 s[4:11], s[0:1], 0x18
	s_load_dwordx4 s[16:19], s[0:1], 0x38
	v_lshl_add_u32 v0, v7, 4, v3
	v_and_b32_e32 v5, 31, v0
	v_lshrrev_b32_e32 v6, 5, v0
	s_waitcnt lgkmcnt(0)
	s_add_u32 s0, s10, s24
	s_addc_u32 s1, s11, s25
	s_load_dwordx2 s[0:1], s[0:1], 0x0
	s_lshl_b64 s[2:3], s[18:19], 2
	v_or_b32_e32 v4, s29, v5
	v_lshlrev_b32_e32 v5, 2, v5
	v_and_b32_e32 v2, 7, v3
	s_waitcnt lgkmcnt(0)
	s_add_u32 s10, s0, s2
	s_addc_u32 s11, s1, s3
	s_add_u32 s0, s4, s24
	s_addc_u32 s1, s5, s25
	s_load_dwordx2 s[2:3], s[0:1], 0x0
	s_lshl_b64 s[4:5], s[8:9], 2
	v_lshl_or_b32 v14, v6, 7, v5
	v_ashrrev_i32_e32 v5, 31, v4
	v_lshrrev_b32_e32 v1, 3, v0
	s_waitcnt lgkmcnt(0)
	s_add_u32 s2, s2, s4
	s_addc_u32 s3, s3, s5
	v_cmp_gt_i32_e64 s[0:1], s28, v4
	v_lshl_add_u64 v[8:9], v[4:5], 2, s[2:3]
	v_lshlrev_b32_e32 v4, 2, v2
	v_add_u32_e32 v0, s30, v1
	v_lshl_or_b32 v1, v1, 5, v4
	v_add_u32_e32 v15, 0x400, v1
	v_ashrrev_i32_e32 v1, 31, v0
	v_cmp_gt_i32_e64 s[2:3], s28, v0
	v_lshl_add_u64 v[10:11], v[0:1], 2, s[10:11]
	v_mov_b32_e32 v0, 0x400
	v_mov_b32_e32 v13, 0
	v_lshlrev_b32_e32 v16, 2, v3
	v_lshl_add_u32 v17, v7, 5, v0
	s_mov_b64 s[4:5], 0
	v_mov_b32_e32 v0, v13
	v_mov_b32_e32 v1, v13
	;; [unrolled: 1-line block ×4, first 2 shown]
	s_branch .LBB451_6
.LBB451_5:                              ;   in Loop: Header=BB451_6 Depth=1
	s_or_b64 exec, exec, s[8:9]
	s_waitcnt vmcnt(0) lgkmcnt(0)
	ds_write_b32 v15, v18
	s_waitcnt lgkmcnt(0)
	s_barrier
	ds_read_b128 v[18:21], v17
	ds_read_b128 v[22:25], v17 offset:16
	ds_read2_b32 v[34:35], v16 offset1:16
	ds_read2_b32 v[36:37], v16 offset0:32 offset1:48
	ds_read2_b32 v[38:39], v16 offset0:64 offset1:80
	;; [unrolled: 1-line block ×4, first 2 shown]
	ds_read_b128 v[26:29], v17 offset:512
	ds_read_b128 v[30:33], v17 offset:528
	ds_read2_b32 v[44:45], v16 offset0:160 offset1:176
	ds_read2_b32 v[46:47], v16 offset0:192 offset1:208
	;; [unrolled: 1-line block ×3, first 2 shown]
	s_waitcnt lgkmcnt(9)
	v_pk_fma_f32 v[4:5], v[34:35], v[18:19], v[4:5] op_sel_hi:[1,0,1]
	v_mov_b32_e32 v12, v21
	s_waitcnt lgkmcnt(8)
	v_pk_fma_f32 v[4:5], v[36:37], v[18:19], v[4:5] op_sel:[0,1,0]
	s_waitcnt lgkmcnt(4)
	v_pk_fma_f32 v[0:1], v[34:35], v[26:27], v[0:1] op_sel_hi:[1,0,1]
	v_pk_fma_f32 v[4:5], v[38:39], v[20:21], v[4:5] op_sel_hi:[1,0,1]
	v_pk_fma_f32 v[0:1], v[36:37], v[26:27], v[0:1] op_sel:[0,1,0]
	v_pk_fma_f32 v[4:5], v[40:41], v[12:13], v[4:5] op_sel_hi:[1,0,1]
	v_mov_b32_e32 v12, v25
	v_pk_fma_f32 v[4:5], v[42:43], v[22:23], v[4:5] op_sel_hi:[1,0,1]
	v_pk_fma_f32 v[0:1], v[38:39], v[28:29], v[0:1] op_sel_hi:[1,0,1]
	s_waitcnt lgkmcnt(2)
	v_pk_fma_f32 v[4:5], v[44:45], v[22:23], v[4:5] op_sel:[0,1,0]
	s_add_u32 s4, s4, 8
	s_waitcnt lgkmcnt(1)
	v_pk_fma_f32 v[4:5], v[46:47], v[24:25], v[4:5] op_sel_hi:[1,0,1]
	s_addc_u32 s5, s5, 0
	s_waitcnt lgkmcnt(0)
	v_pk_fma_f32 v[4:5], v[48:49], v[12:13], v[4:5] op_sel_hi:[1,0,1]
	v_mov_b32_e32 v12, v29
	v_pk_fma_f32 v[0:1], v[40:41], v[12:13], v[0:1] op_sel_hi:[1,0,1]
	v_mov_b64_e32 v[18:19], s[4:5]
	v_pk_fma_f32 v[0:1], v[42:43], v[30:31], v[0:1] op_sel_hi:[1,0,1]
	v_mov_b32_e32 v12, v33
	v_pk_fma_f32 v[0:1], v[44:45], v[30:31], v[0:1] op_sel:[0,1,0]
	v_cmp_gt_i64_e32 vcc, s[20:21], v[18:19]
	v_pk_fma_f32 v[0:1], v[46:47], v[32:33], v[0:1] op_sel_hi:[1,0,1]
	s_nop 0
	v_pk_fma_f32 v[0:1], v[48:49], v[12:13], v[0:1] op_sel_hi:[1,0,1]
	s_barrier
	s_cbranch_vccz .LBB451_12
.LBB451_6:                              ; =>This Inner Loop Header: Depth=1
	v_mov_b32_e32 v18, 0
	s_and_saveexec_b64 s[8:9], s[0:1]
	s_cbranch_execz .LBB451_10
; %bb.7:                                ;   in Loop: Header=BB451_6 Depth=1
	v_add_u32_e32 v12, s4, v6
	v_cmp_gt_u64_e32 vcc, s[20:21], v[12:13]
	v_mov_b32_e32 v18, 0
	s_and_saveexec_b64 s[10:11], vcc
	s_cbranch_execz .LBB451_9
; %bb.8:                                ;   in Loop: Header=BB451_6 Depth=1
	v_mad_u64_u32 v[18:19], s[18:19], s6, v12, 0
	v_mov_b32_e32 v20, v19
	v_mad_u64_u32 v[20:21], s[18:19], s7, v12, v[20:21]
	v_mov_b32_e32 v19, v20
	v_lshl_add_u64 v[18:19], v[18:19], 2, v[8:9]
	flat_load_dword v18, v[18:19]
.LBB451_9:                              ;   in Loop: Header=BB451_6 Depth=1
	s_or_b64 exec, exec, s[10:11]
.LBB451_10:                             ;   in Loop: Header=BB451_6 Depth=1
	s_or_b64 exec, exec, s[8:9]
	v_add_u32_e32 v12, s4, v2
	v_cmp_gt_u64_e32 vcc, s[20:21], v[12:13]
	s_waitcnt vmcnt(0) lgkmcnt(0)
	ds_write_b32 v14, v18
	s_and_b64 s[10:11], vcc, s[2:3]
	v_mov_b32_e32 v18, 0
	s_and_saveexec_b64 s[8:9], s[10:11]
	s_cbranch_execz .LBB451_5
; %bb.11:                               ;   in Loop: Header=BB451_6 Depth=1
	v_mad_u64_u32 v[18:19], s[10:11], s16, v12, 0
	v_mov_b32_e32 v20, v19
	v_mad_u64_u32 v[20:21], s[10:11], s17, v12, v[20:21]
	v_mov_b32_e32 v19, v20
	v_lshl_add_u64 v[18:19], v[18:19], 2, v[10:11]
	flat_load_dword v18, v[18:19]
	s_branch .LBB451_5
.LBB451_12:
	s_lshl_b64 s[0:1], s[22:23], 2
	v_add_u32_e32 v10, s30, v7
	s_waitcnt lgkmcnt(0)
	s_add_u32 s4, s12, s0
	v_add_u32_e32 v2, s29, v3
	v_ashrrev_i32_e32 v3, 31, v10
	s_addc_u32 s5, s13, s1
	v_mul_lo_u32 v3, s14, v3
	v_mul_lo_u32 v8, s15, v10
	v_mad_u64_u32 v[6:7], s[0:1], s14, v10, 0
	v_add3_u32 v7, v7, v3, v8
	v_cmp_neq_f32_e64 s[0:1], s26, 0
	v_cmp_gt_i32_e64 s[2:3], s28, v10
	v_lshl_add_u64 v[8:9], v[6:7], 2, s[4:5]
	v_cmp_le_i32_e32 vcc, v2, v10
	v_cndmask_b32_e64 v6, 0, 1, s[0:1]
	s_and_b64 s[8:9], s[2:3], vcc
	v_ashrrev_i32_e32 v3, 31, v2
	v_cmp_ne_u32_e64 s[0:1], 1, v6
	s_and_saveexec_b64 s[6:7], s[8:9]
	s_cbranch_execz .LBB451_16
; %bb.13:
	v_mul_f32_e32 v4, s27, v4
	s_and_b64 vcc, exec, s[0:1]
	v_lshl_add_u64 v[6:7], v[2:3], 2, v[8:9]
	s_cbranch_vccnz .LBB451_15
; %bb.14:
	flat_load_dword v11, v[6:7]
	s_waitcnt vmcnt(0) lgkmcnt(0)
	v_fmac_f32_e32 v4, s26, v11
.LBB451_15:
	flat_store_dword v[6:7], v4
.LBB451_16:
	s_or_b64 exec, exec, s[6:7]
	v_add_u32_e32 v6, 16, v2
	v_cmp_le_i32_e32 vcc, v6, v10
	s_and_b64 s[6:7], s[2:3], vcc
	v_ashrrev_i32_e32 v7, 31, v6
	s_and_saveexec_b64 s[2:3], s[6:7]
	s_cbranch_execz .LBB451_20
; %bb.17:
	v_mul_f32_e32 v11, s27, v5
	s_and_b64 vcc, exec, s[0:1]
	v_lshl_add_u64 v[4:5], v[6:7], 2, v[8:9]
	s_cbranch_vccnz .LBB451_19
; %bb.18:
	flat_load_dword v8, v[4:5]
	s_waitcnt vmcnt(0) lgkmcnt(0)
	v_fmac_f32_e32 v11, s26, v8
.LBB451_19:
	flat_store_dword v[4:5], v11
.LBB451_20:
	s_or_b64 exec, exec, s[2:3]
	v_add_u32_e32 v8, 16, v10
	v_ashrrev_i32_e32 v4, 31, v8
	v_mul_lo_u32 v9, s14, v4
	v_mul_lo_u32 v10, s15, v8
	v_mad_u64_u32 v[4:5], s[6:7], s14, v8, 0
	v_cmp_gt_i32_e64 s[2:3], s28, v8
	v_add3_u32 v5, v5, v9, v10
	v_cmp_le_i32_e32 vcc, v2, v8
	v_lshl_add_u64 v[4:5], v[4:5], 2, s[4:5]
	s_and_b64 s[6:7], s[2:3], vcc
	s_and_saveexec_b64 s[4:5], s[6:7]
	s_cbranch_execz .LBB451_24
; %bb.21:
	v_mul_f32_e32 v0, s27, v0
	s_and_b64 vcc, exec, s[0:1]
	v_lshl_add_u64 v[2:3], v[2:3], 2, v[4:5]
	s_cbranch_vccnz .LBB451_23
; %bb.22:
	flat_load_dword v9, v[2:3]
	s_waitcnt vmcnt(0) lgkmcnt(0)
	v_fmac_f32_e32 v0, s26, v9
.LBB451_23:
	flat_store_dword v[2:3], v0
.LBB451_24:
	s_or_b64 exec, exec, s[4:5]
	v_cmp_le_i32_e32 vcc, v6, v8
	s_and_b64 s[2:3], s[2:3], vcc
	s_and_saveexec_b64 s[4:5], s[2:3]
	s_cbranch_execz .LBB451_28
; %bb.25:
	v_mul_f32_e32 v2, s27, v1
	s_and_b64 vcc, exec, s[0:1]
	v_lshl_add_u64 v[0:1], v[6:7], 2, v[4:5]
	s_cbranch_vccnz .LBB451_27
; %bb.26:
	flat_load_dword v3, v[0:1]
	s_waitcnt vmcnt(0) lgkmcnt(0)
	v_fmac_f32_e32 v2, s26, v3
.LBB451_27:
	flat_store_dword v[0:1], v2
.LBB451_28:
	s_endpgm
	.section	.rodata,"a",@progbits
	.p2align	6, 0x0
	.amdhsa_kernel _ZL29rocblas_internal_gemmt_kernelIlLi16ELi32ELi8ELc78ELc84ELc85ELb0ELb0EffPKPKfPKPfEviT_T9_T10_S7_lS9_S7_lS8_T11_S7_li
		.amdhsa_group_segment_fixed_size 2048
		.amdhsa_private_segment_fixed_size 0
		.amdhsa_kernarg_size 108
		.amdhsa_user_sgpr_count 2
		.amdhsa_user_sgpr_dispatch_ptr 0
		.amdhsa_user_sgpr_queue_ptr 0
		.amdhsa_user_sgpr_kernarg_segment_ptr 1
		.amdhsa_user_sgpr_dispatch_id 0
		.amdhsa_user_sgpr_kernarg_preload_length 0
		.amdhsa_user_sgpr_kernarg_preload_offset 0
		.amdhsa_user_sgpr_private_segment_size 0
		.amdhsa_uses_dynamic_stack 0
		.amdhsa_enable_private_segment 0
		.amdhsa_system_sgpr_workgroup_id_x 1
		.amdhsa_system_sgpr_workgroup_id_y 1
		.amdhsa_system_sgpr_workgroup_id_z 1
		.amdhsa_system_sgpr_workgroup_info 0
		.amdhsa_system_vgpr_workitem_id 1
		.amdhsa_next_free_vgpr 50
		.amdhsa_next_free_sgpr 31
		.amdhsa_accum_offset 52
		.amdhsa_reserve_vcc 1
		.amdhsa_float_round_mode_32 0
		.amdhsa_float_round_mode_16_64 0
		.amdhsa_float_denorm_mode_32 3
		.amdhsa_float_denorm_mode_16_64 3
		.amdhsa_dx10_clamp 1
		.amdhsa_ieee_mode 1
		.amdhsa_fp16_overflow 0
		.amdhsa_tg_split 0
		.amdhsa_exception_fp_ieee_invalid_op 0
		.amdhsa_exception_fp_denorm_src 0
		.amdhsa_exception_fp_ieee_div_zero 0
		.amdhsa_exception_fp_ieee_overflow 0
		.amdhsa_exception_fp_ieee_underflow 0
		.amdhsa_exception_fp_ieee_inexact 0
		.amdhsa_exception_int_div_zero 0
	.end_amdhsa_kernel
	.section	.text._ZL29rocblas_internal_gemmt_kernelIlLi16ELi32ELi8ELc78ELc84ELc85ELb0ELb0EffPKPKfPKPfEviT_T9_T10_S7_lS9_S7_lS8_T11_S7_li,"axG",@progbits,_ZL29rocblas_internal_gemmt_kernelIlLi16ELi32ELi8ELc78ELc84ELc85ELb0ELb0EffPKPKfPKPfEviT_T9_T10_S7_lS9_S7_lS8_T11_S7_li,comdat
.Lfunc_end451:
	.size	_ZL29rocblas_internal_gemmt_kernelIlLi16ELi32ELi8ELc78ELc84ELc85ELb0ELb0EffPKPKfPKPfEviT_T9_T10_S7_lS9_S7_lS8_T11_S7_li, .Lfunc_end451-_ZL29rocblas_internal_gemmt_kernelIlLi16ELi32ELi8ELc78ELc84ELc85ELb0ELb0EffPKPKfPKPfEviT_T9_T10_S7_lS9_S7_lS8_T11_S7_li
                                        ; -- End function
	.set _ZL29rocblas_internal_gemmt_kernelIlLi16ELi32ELi8ELc78ELc84ELc85ELb0ELb0EffPKPKfPKPfEviT_T9_T10_S7_lS9_S7_lS8_T11_S7_li.num_vgpr, 50
	.set _ZL29rocblas_internal_gemmt_kernelIlLi16ELi32ELi8ELc78ELc84ELc85ELb0ELb0EffPKPKfPKPfEviT_T9_T10_S7_lS9_S7_lS8_T11_S7_li.num_agpr, 0
	.set _ZL29rocblas_internal_gemmt_kernelIlLi16ELi32ELi8ELc78ELc84ELc85ELb0ELb0EffPKPKfPKPfEviT_T9_T10_S7_lS9_S7_lS8_T11_S7_li.numbered_sgpr, 31
	.set _ZL29rocblas_internal_gemmt_kernelIlLi16ELi32ELi8ELc78ELc84ELc85ELb0ELb0EffPKPKfPKPfEviT_T9_T10_S7_lS9_S7_lS8_T11_S7_li.num_named_barrier, 0
	.set _ZL29rocblas_internal_gemmt_kernelIlLi16ELi32ELi8ELc78ELc84ELc85ELb0ELb0EffPKPKfPKPfEviT_T9_T10_S7_lS9_S7_lS8_T11_S7_li.private_seg_size, 0
	.set _ZL29rocblas_internal_gemmt_kernelIlLi16ELi32ELi8ELc78ELc84ELc85ELb0ELb0EffPKPKfPKPfEviT_T9_T10_S7_lS9_S7_lS8_T11_S7_li.uses_vcc, 1
	.set _ZL29rocblas_internal_gemmt_kernelIlLi16ELi32ELi8ELc78ELc84ELc85ELb0ELb0EffPKPKfPKPfEviT_T9_T10_S7_lS9_S7_lS8_T11_S7_li.uses_flat_scratch, 0
	.set _ZL29rocblas_internal_gemmt_kernelIlLi16ELi32ELi8ELc78ELc84ELc85ELb0ELb0EffPKPKfPKPfEviT_T9_T10_S7_lS9_S7_lS8_T11_S7_li.has_dyn_sized_stack, 0
	.set _ZL29rocblas_internal_gemmt_kernelIlLi16ELi32ELi8ELc78ELc84ELc85ELb0ELb0EffPKPKfPKPfEviT_T9_T10_S7_lS9_S7_lS8_T11_S7_li.has_recursion, 0
	.set _ZL29rocblas_internal_gemmt_kernelIlLi16ELi32ELi8ELc78ELc84ELc85ELb0ELb0EffPKPKfPKPfEviT_T9_T10_S7_lS9_S7_lS8_T11_S7_li.has_indirect_call, 0
	.section	.AMDGPU.csdata,"",@progbits
; Kernel info:
; codeLenInByte = 1328
; TotalNumSgprs: 37
; NumVgprs: 50
; NumAgprs: 0
; TotalNumVgprs: 50
; ScratchSize: 0
; MemoryBound: 0
; FloatMode: 240
; IeeeMode: 1
; LDSByteSize: 2048 bytes/workgroup (compile time only)
; SGPRBlocks: 4
; VGPRBlocks: 6
; NumSGPRsForWavesPerEU: 37
; NumVGPRsForWavesPerEU: 50
; AccumOffset: 52
; Occupancy: 8
; WaveLimiterHint : 1
; COMPUTE_PGM_RSRC2:SCRATCH_EN: 0
; COMPUTE_PGM_RSRC2:USER_SGPR: 2
; COMPUTE_PGM_RSRC2:TRAP_HANDLER: 0
; COMPUTE_PGM_RSRC2:TGID_X_EN: 1
; COMPUTE_PGM_RSRC2:TGID_Y_EN: 1
; COMPUTE_PGM_RSRC2:TGID_Z_EN: 1
; COMPUTE_PGM_RSRC2:TIDIG_COMP_CNT: 1
; COMPUTE_PGM_RSRC3_GFX90A:ACCUM_OFFSET: 12
; COMPUTE_PGM_RSRC3_GFX90A:TG_SPLIT: 0
	.section	.text._ZL29rocblas_internal_gemmt_kernelIlLi16ELi32ELi8ELc78ELc67ELc85ELb0ELb0EffPKPKfPKPfEviT_T9_T10_S7_lS9_S7_lS8_T11_S7_li,"axG",@progbits,_ZL29rocblas_internal_gemmt_kernelIlLi16ELi32ELi8ELc78ELc67ELc85ELb0ELb0EffPKPKfPKPfEviT_T9_T10_S7_lS9_S7_lS8_T11_S7_li,comdat
	.globl	_ZL29rocblas_internal_gemmt_kernelIlLi16ELi32ELi8ELc78ELc67ELc85ELb0ELb0EffPKPKfPKPfEviT_T9_T10_S7_lS9_S7_lS8_T11_S7_li ; -- Begin function _ZL29rocblas_internal_gemmt_kernelIlLi16ELi32ELi8ELc78ELc67ELc85ELb0ELb0EffPKPKfPKPfEviT_T9_T10_S7_lS9_S7_lS8_T11_S7_li
	.p2align	8
	.type	_ZL29rocblas_internal_gemmt_kernelIlLi16ELi32ELi8ELc78ELc67ELc85ELb0ELb0EffPKPKfPKPfEviT_T9_T10_S7_lS9_S7_lS8_T11_S7_li,@function
_ZL29rocblas_internal_gemmt_kernelIlLi16ELi32ELi8ELc78ELc67ELc85ELb0ELb0EffPKPKfPKPfEviT_T9_T10_S7_lS9_S7_lS8_T11_S7_li: ; @_ZL29rocblas_internal_gemmt_kernelIlLi16ELi32ELi8ELc78ELc67ELc85ELb0ELb0EffPKPKfPKPfEviT_T9_T10_S7_lS9_S7_lS8_T11_S7_li
; %bb.0:
	s_load_dword s26, s[0:1], 0x48
	s_load_dwordx2 s[20:21], s[0:1], 0x8
	s_load_dword s27, s[0:1], 0x10
	s_waitcnt lgkmcnt(0)
	v_cmp_neq_f32_e64 s[6:7], s26, 1.0
	s_and_b64 vcc, exec, s[6:7]
	s_cbranch_vccnz .LBB452_2
; %bb.1:
	s_cmp_lg_u64 s[20:21], 0
	s_cselect_b64 s[6:7], -1, 0
	v_cmp_neq_f32_e64 s[8:9], s27, 0
	s_and_b64 s[6:7], s[6:7], s[8:9]
.LBB452_2:
	s_andn2_b64 vcc, exec, s[6:7]
	s_cbranch_vccnz .LBB452_28
; %bb.3:
	s_load_dwordx2 s[22:23], s[0:1], 0x60
	s_load_dword s28, s[0:1], 0x0
	s_load_dwordx4 s[12:15], s[0:1], 0x50
	s_mov_b32 s5, 0
	s_lshl_b64 s[24:25], s[4:5], 3
	v_mov_b32_e32 v5, 0
	v_and_b32_e32 v3, 0x3ff, v0
	s_waitcnt lgkmcnt(0)
	s_add_u32 s4, s12, s24
	s_addc_u32 s5, s13, s25
	s_load_dwordx2 s[12:13], s[4:5], 0x0
	s_lshl_b32 s29, s2, 5
	s_lshl_b32 s30, s3, 5
	v_cmp_eq_f32_e64 s[2:3], s27, 0
	v_cmp_lt_i64_e64 s[4:5], s[20:21], 1
	s_or_b64 s[2:3], s[2:3], s[4:5]
	v_bfe_u32 v7, v0, 10, 10
	s_and_b64 vcc, exec, s[2:3]
	v_mov_b32_e32 v4, v5
	v_mov_b32_e32 v1, v5
	v_mov_b32_e32 v0, v5
	s_cbranch_vccnz .LBB452_12
; %bb.4:
	s_load_dwordx8 s[4:11], s[0:1], 0x18
	s_load_dwordx4 s[16:19], s[0:1], 0x38
	v_lshl_add_u32 v0, v7, 4, v3
	v_and_b32_e32 v5, 31, v0
	v_lshrrev_b32_e32 v6, 5, v0
	s_waitcnt lgkmcnt(0)
	s_add_u32 s0, s10, s24
	s_addc_u32 s1, s11, s25
	s_load_dwordx2 s[0:1], s[0:1], 0x0
	s_lshl_b64 s[2:3], s[18:19], 2
	v_or_b32_e32 v4, s29, v5
	v_lshlrev_b32_e32 v5, 2, v5
	v_and_b32_e32 v2, 7, v3
	s_waitcnt lgkmcnt(0)
	s_add_u32 s10, s0, s2
	s_addc_u32 s11, s1, s3
	s_add_u32 s0, s4, s24
	s_addc_u32 s1, s5, s25
	s_load_dwordx2 s[2:3], s[0:1], 0x0
	s_lshl_b64 s[4:5], s[8:9], 2
	v_lshl_or_b32 v14, v6, 7, v5
	v_ashrrev_i32_e32 v5, 31, v4
	v_lshrrev_b32_e32 v1, 3, v0
	s_waitcnt lgkmcnt(0)
	s_add_u32 s2, s2, s4
	s_addc_u32 s3, s3, s5
	v_cmp_gt_i32_e64 s[0:1], s28, v4
	v_lshl_add_u64 v[8:9], v[4:5], 2, s[2:3]
	v_lshlrev_b32_e32 v4, 2, v2
	v_add_u32_e32 v0, s30, v1
	v_lshl_or_b32 v1, v1, 5, v4
	v_add_u32_e32 v15, 0x400, v1
	v_ashrrev_i32_e32 v1, 31, v0
	v_cmp_gt_i32_e64 s[2:3], s28, v0
	v_lshl_add_u64 v[10:11], v[0:1], 2, s[10:11]
	v_mov_b32_e32 v0, 0x400
	v_mov_b32_e32 v13, 0
	v_lshlrev_b32_e32 v16, 2, v3
	v_lshl_add_u32 v17, v7, 5, v0
	s_mov_b64 s[4:5], 0
	v_mov_b32_e32 v0, v13
	v_mov_b32_e32 v1, v13
	;; [unrolled: 1-line block ×4, first 2 shown]
	s_branch .LBB452_6
.LBB452_5:                              ;   in Loop: Header=BB452_6 Depth=1
	s_or_b64 exec, exec, s[8:9]
	s_waitcnt vmcnt(0) lgkmcnt(0)
	ds_write_b32 v15, v18
	s_waitcnt lgkmcnt(0)
	s_barrier
	ds_read_b128 v[18:21], v17
	ds_read_b128 v[22:25], v17 offset:16
	ds_read2_b32 v[34:35], v16 offset1:16
	ds_read2_b32 v[36:37], v16 offset0:32 offset1:48
	ds_read2_b32 v[38:39], v16 offset0:64 offset1:80
	;; [unrolled: 1-line block ×4, first 2 shown]
	ds_read_b128 v[26:29], v17 offset:512
	ds_read_b128 v[30:33], v17 offset:528
	ds_read2_b32 v[44:45], v16 offset0:160 offset1:176
	ds_read2_b32 v[46:47], v16 offset0:192 offset1:208
	;; [unrolled: 1-line block ×3, first 2 shown]
	s_waitcnt lgkmcnt(9)
	v_pk_fma_f32 v[4:5], v[34:35], v[18:19], v[4:5] op_sel_hi:[1,0,1]
	v_mov_b32_e32 v12, v21
	s_waitcnt lgkmcnt(8)
	v_pk_fma_f32 v[4:5], v[36:37], v[18:19], v[4:5] op_sel:[0,1,0]
	s_waitcnt lgkmcnt(4)
	v_pk_fma_f32 v[0:1], v[34:35], v[26:27], v[0:1] op_sel_hi:[1,0,1]
	v_pk_fma_f32 v[4:5], v[38:39], v[20:21], v[4:5] op_sel_hi:[1,0,1]
	v_pk_fma_f32 v[0:1], v[36:37], v[26:27], v[0:1] op_sel:[0,1,0]
	v_pk_fma_f32 v[4:5], v[40:41], v[12:13], v[4:5] op_sel_hi:[1,0,1]
	v_mov_b32_e32 v12, v25
	v_pk_fma_f32 v[4:5], v[42:43], v[22:23], v[4:5] op_sel_hi:[1,0,1]
	v_pk_fma_f32 v[0:1], v[38:39], v[28:29], v[0:1] op_sel_hi:[1,0,1]
	s_waitcnt lgkmcnt(2)
	v_pk_fma_f32 v[4:5], v[44:45], v[22:23], v[4:5] op_sel:[0,1,0]
	s_add_u32 s4, s4, 8
	s_waitcnt lgkmcnt(1)
	v_pk_fma_f32 v[4:5], v[46:47], v[24:25], v[4:5] op_sel_hi:[1,0,1]
	s_addc_u32 s5, s5, 0
	s_waitcnt lgkmcnt(0)
	v_pk_fma_f32 v[4:5], v[48:49], v[12:13], v[4:5] op_sel_hi:[1,0,1]
	v_mov_b32_e32 v12, v29
	v_pk_fma_f32 v[0:1], v[40:41], v[12:13], v[0:1] op_sel_hi:[1,0,1]
	v_mov_b64_e32 v[18:19], s[4:5]
	v_pk_fma_f32 v[0:1], v[42:43], v[30:31], v[0:1] op_sel_hi:[1,0,1]
	v_mov_b32_e32 v12, v33
	v_pk_fma_f32 v[0:1], v[44:45], v[30:31], v[0:1] op_sel:[0,1,0]
	v_cmp_gt_i64_e32 vcc, s[20:21], v[18:19]
	v_pk_fma_f32 v[0:1], v[46:47], v[32:33], v[0:1] op_sel_hi:[1,0,1]
	s_nop 0
	v_pk_fma_f32 v[0:1], v[48:49], v[12:13], v[0:1] op_sel_hi:[1,0,1]
	s_barrier
	s_cbranch_vccz .LBB452_12
.LBB452_6:                              ; =>This Inner Loop Header: Depth=1
	v_mov_b32_e32 v18, 0
	s_and_saveexec_b64 s[8:9], s[0:1]
	s_cbranch_execz .LBB452_10
; %bb.7:                                ;   in Loop: Header=BB452_6 Depth=1
	v_add_u32_e32 v12, s4, v6
	v_cmp_gt_u64_e32 vcc, s[20:21], v[12:13]
	v_mov_b32_e32 v18, 0
	s_and_saveexec_b64 s[10:11], vcc
	s_cbranch_execz .LBB452_9
; %bb.8:                                ;   in Loop: Header=BB452_6 Depth=1
	v_mad_u64_u32 v[18:19], s[18:19], s6, v12, 0
	v_mov_b32_e32 v20, v19
	v_mad_u64_u32 v[20:21], s[18:19], s7, v12, v[20:21]
	v_mov_b32_e32 v19, v20
	v_lshl_add_u64 v[18:19], v[18:19], 2, v[8:9]
	flat_load_dword v18, v[18:19]
.LBB452_9:                              ;   in Loop: Header=BB452_6 Depth=1
	s_or_b64 exec, exec, s[10:11]
.LBB452_10:                             ;   in Loop: Header=BB452_6 Depth=1
	s_or_b64 exec, exec, s[8:9]
	v_add_u32_e32 v12, s4, v2
	v_cmp_gt_u64_e32 vcc, s[20:21], v[12:13]
	s_waitcnt vmcnt(0) lgkmcnt(0)
	ds_write_b32 v14, v18
	s_and_b64 s[10:11], vcc, s[2:3]
	v_mov_b32_e32 v18, 0
	s_and_saveexec_b64 s[8:9], s[10:11]
	s_cbranch_execz .LBB452_5
; %bb.11:                               ;   in Loop: Header=BB452_6 Depth=1
	v_mad_u64_u32 v[18:19], s[10:11], s16, v12, 0
	v_mov_b32_e32 v20, v19
	v_mad_u64_u32 v[20:21], s[10:11], s17, v12, v[20:21]
	v_mov_b32_e32 v19, v20
	v_lshl_add_u64 v[18:19], v[18:19], 2, v[10:11]
	flat_load_dword v18, v[18:19]
	s_branch .LBB452_5
.LBB452_12:
	s_lshl_b64 s[0:1], s[22:23], 2
	v_add_u32_e32 v10, s30, v7
	s_waitcnt lgkmcnt(0)
	s_add_u32 s4, s12, s0
	v_add_u32_e32 v2, s29, v3
	v_ashrrev_i32_e32 v3, 31, v10
	s_addc_u32 s5, s13, s1
	v_mul_lo_u32 v3, s14, v3
	v_mul_lo_u32 v8, s15, v10
	v_mad_u64_u32 v[6:7], s[0:1], s14, v10, 0
	v_add3_u32 v7, v7, v3, v8
	v_cmp_neq_f32_e64 s[0:1], s26, 0
	v_cmp_gt_i32_e64 s[2:3], s28, v10
	v_lshl_add_u64 v[8:9], v[6:7], 2, s[4:5]
	v_cmp_le_i32_e32 vcc, v2, v10
	v_cndmask_b32_e64 v6, 0, 1, s[0:1]
	s_and_b64 s[8:9], s[2:3], vcc
	v_ashrrev_i32_e32 v3, 31, v2
	v_cmp_ne_u32_e64 s[0:1], 1, v6
	s_and_saveexec_b64 s[6:7], s[8:9]
	s_cbranch_execz .LBB452_16
; %bb.13:
	v_mul_f32_e32 v4, s27, v4
	s_and_b64 vcc, exec, s[0:1]
	v_lshl_add_u64 v[6:7], v[2:3], 2, v[8:9]
	s_cbranch_vccnz .LBB452_15
; %bb.14:
	flat_load_dword v11, v[6:7]
	s_waitcnt vmcnt(0) lgkmcnt(0)
	v_fmac_f32_e32 v4, s26, v11
.LBB452_15:
	flat_store_dword v[6:7], v4
.LBB452_16:
	s_or_b64 exec, exec, s[6:7]
	v_add_u32_e32 v6, 16, v2
	v_cmp_le_i32_e32 vcc, v6, v10
	s_and_b64 s[6:7], s[2:3], vcc
	v_ashrrev_i32_e32 v7, 31, v6
	s_and_saveexec_b64 s[2:3], s[6:7]
	s_cbranch_execz .LBB452_20
; %bb.17:
	v_mul_f32_e32 v11, s27, v5
	s_and_b64 vcc, exec, s[0:1]
	v_lshl_add_u64 v[4:5], v[6:7], 2, v[8:9]
	s_cbranch_vccnz .LBB452_19
; %bb.18:
	flat_load_dword v8, v[4:5]
	s_waitcnt vmcnt(0) lgkmcnt(0)
	v_fmac_f32_e32 v11, s26, v8
.LBB452_19:
	flat_store_dword v[4:5], v11
.LBB452_20:
	s_or_b64 exec, exec, s[2:3]
	v_add_u32_e32 v8, 16, v10
	v_ashrrev_i32_e32 v4, 31, v8
	v_mul_lo_u32 v9, s14, v4
	v_mul_lo_u32 v10, s15, v8
	v_mad_u64_u32 v[4:5], s[6:7], s14, v8, 0
	v_cmp_gt_i32_e64 s[2:3], s28, v8
	v_add3_u32 v5, v5, v9, v10
	v_cmp_le_i32_e32 vcc, v2, v8
	v_lshl_add_u64 v[4:5], v[4:5], 2, s[4:5]
	s_and_b64 s[6:7], s[2:3], vcc
	s_and_saveexec_b64 s[4:5], s[6:7]
	s_cbranch_execz .LBB452_24
; %bb.21:
	v_mul_f32_e32 v0, s27, v0
	s_and_b64 vcc, exec, s[0:1]
	v_lshl_add_u64 v[2:3], v[2:3], 2, v[4:5]
	s_cbranch_vccnz .LBB452_23
; %bb.22:
	flat_load_dword v9, v[2:3]
	s_waitcnt vmcnt(0) lgkmcnt(0)
	v_fmac_f32_e32 v0, s26, v9
.LBB452_23:
	flat_store_dword v[2:3], v0
.LBB452_24:
	s_or_b64 exec, exec, s[4:5]
	v_cmp_le_i32_e32 vcc, v6, v8
	s_and_b64 s[2:3], s[2:3], vcc
	s_and_saveexec_b64 s[4:5], s[2:3]
	s_cbranch_execz .LBB452_28
; %bb.25:
	v_mul_f32_e32 v2, s27, v1
	s_and_b64 vcc, exec, s[0:1]
	v_lshl_add_u64 v[0:1], v[6:7], 2, v[4:5]
	s_cbranch_vccnz .LBB452_27
; %bb.26:
	flat_load_dword v3, v[0:1]
	s_waitcnt vmcnt(0) lgkmcnt(0)
	v_fmac_f32_e32 v2, s26, v3
.LBB452_27:
	flat_store_dword v[0:1], v2
.LBB452_28:
	s_endpgm
	.section	.rodata,"a",@progbits
	.p2align	6, 0x0
	.amdhsa_kernel _ZL29rocblas_internal_gemmt_kernelIlLi16ELi32ELi8ELc78ELc67ELc85ELb0ELb0EffPKPKfPKPfEviT_T9_T10_S7_lS9_S7_lS8_T11_S7_li
		.amdhsa_group_segment_fixed_size 2048
		.amdhsa_private_segment_fixed_size 0
		.amdhsa_kernarg_size 108
		.amdhsa_user_sgpr_count 2
		.amdhsa_user_sgpr_dispatch_ptr 0
		.amdhsa_user_sgpr_queue_ptr 0
		.amdhsa_user_sgpr_kernarg_segment_ptr 1
		.amdhsa_user_sgpr_dispatch_id 0
		.amdhsa_user_sgpr_kernarg_preload_length 0
		.amdhsa_user_sgpr_kernarg_preload_offset 0
		.amdhsa_user_sgpr_private_segment_size 0
		.amdhsa_uses_dynamic_stack 0
		.amdhsa_enable_private_segment 0
		.amdhsa_system_sgpr_workgroup_id_x 1
		.amdhsa_system_sgpr_workgroup_id_y 1
		.amdhsa_system_sgpr_workgroup_id_z 1
		.amdhsa_system_sgpr_workgroup_info 0
		.amdhsa_system_vgpr_workitem_id 1
		.amdhsa_next_free_vgpr 50
		.amdhsa_next_free_sgpr 31
		.amdhsa_accum_offset 52
		.amdhsa_reserve_vcc 1
		.amdhsa_float_round_mode_32 0
		.amdhsa_float_round_mode_16_64 0
		.amdhsa_float_denorm_mode_32 3
		.amdhsa_float_denorm_mode_16_64 3
		.amdhsa_dx10_clamp 1
		.amdhsa_ieee_mode 1
		.amdhsa_fp16_overflow 0
		.amdhsa_tg_split 0
		.amdhsa_exception_fp_ieee_invalid_op 0
		.amdhsa_exception_fp_denorm_src 0
		.amdhsa_exception_fp_ieee_div_zero 0
		.amdhsa_exception_fp_ieee_overflow 0
		.amdhsa_exception_fp_ieee_underflow 0
		.amdhsa_exception_fp_ieee_inexact 0
		.amdhsa_exception_int_div_zero 0
	.end_amdhsa_kernel
	.section	.text._ZL29rocblas_internal_gemmt_kernelIlLi16ELi32ELi8ELc78ELc67ELc85ELb0ELb0EffPKPKfPKPfEviT_T9_T10_S7_lS9_S7_lS8_T11_S7_li,"axG",@progbits,_ZL29rocblas_internal_gemmt_kernelIlLi16ELi32ELi8ELc78ELc67ELc85ELb0ELb0EffPKPKfPKPfEviT_T9_T10_S7_lS9_S7_lS8_T11_S7_li,comdat
.Lfunc_end452:
	.size	_ZL29rocblas_internal_gemmt_kernelIlLi16ELi32ELi8ELc78ELc67ELc85ELb0ELb0EffPKPKfPKPfEviT_T9_T10_S7_lS9_S7_lS8_T11_S7_li, .Lfunc_end452-_ZL29rocblas_internal_gemmt_kernelIlLi16ELi32ELi8ELc78ELc67ELc85ELb0ELb0EffPKPKfPKPfEviT_T9_T10_S7_lS9_S7_lS8_T11_S7_li
                                        ; -- End function
	.set _ZL29rocblas_internal_gemmt_kernelIlLi16ELi32ELi8ELc78ELc67ELc85ELb0ELb0EffPKPKfPKPfEviT_T9_T10_S7_lS9_S7_lS8_T11_S7_li.num_vgpr, 50
	.set _ZL29rocblas_internal_gemmt_kernelIlLi16ELi32ELi8ELc78ELc67ELc85ELb0ELb0EffPKPKfPKPfEviT_T9_T10_S7_lS9_S7_lS8_T11_S7_li.num_agpr, 0
	.set _ZL29rocblas_internal_gemmt_kernelIlLi16ELi32ELi8ELc78ELc67ELc85ELb0ELb0EffPKPKfPKPfEviT_T9_T10_S7_lS9_S7_lS8_T11_S7_li.numbered_sgpr, 31
	.set _ZL29rocblas_internal_gemmt_kernelIlLi16ELi32ELi8ELc78ELc67ELc85ELb0ELb0EffPKPKfPKPfEviT_T9_T10_S7_lS9_S7_lS8_T11_S7_li.num_named_barrier, 0
	.set _ZL29rocblas_internal_gemmt_kernelIlLi16ELi32ELi8ELc78ELc67ELc85ELb0ELb0EffPKPKfPKPfEviT_T9_T10_S7_lS9_S7_lS8_T11_S7_li.private_seg_size, 0
	.set _ZL29rocblas_internal_gemmt_kernelIlLi16ELi32ELi8ELc78ELc67ELc85ELb0ELb0EffPKPKfPKPfEviT_T9_T10_S7_lS9_S7_lS8_T11_S7_li.uses_vcc, 1
	.set _ZL29rocblas_internal_gemmt_kernelIlLi16ELi32ELi8ELc78ELc67ELc85ELb0ELb0EffPKPKfPKPfEviT_T9_T10_S7_lS9_S7_lS8_T11_S7_li.uses_flat_scratch, 0
	.set _ZL29rocblas_internal_gemmt_kernelIlLi16ELi32ELi8ELc78ELc67ELc85ELb0ELb0EffPKPKfPKPfEviT_T9_T10_S7_lS9_S7_lS8_T11_S7_li.has_dyn_sized_stack, 0
	.set _ZL29rocblas_internal_gemmt_kernelIlLi16ELi32ELi8ELc78ELc67ELc85ELb0ELb0EffPKPKfPKPfEviT_T9_T10_S7_lS9_S7_lS8_T11_S7_li.has_recursion, 0
	.set _ZL29rocblas_internal_gemmt_kernelIlLi16ELi32ELi8ELc78ELc67ELc85ELb0ELb0EffPKPKfPKPfEviT_T9_T10_S7_lS9_S7_lS8_T11_S7_li.has_indirect_call, 0
	.section	.AMDGPU.csdata,"",@progbits
; Kernel info:
; codeLenInByte = 1328
; TotalNumSgprs: 37
; NumVgprs: 50
; NumAgprs: 0
; TotalNumVgprs: 50
; ScratchSize: 0
; MemoryBound: 0
; FloatMode: 240
; IeeeMode: 1
; LDSByteSize: 2048 bytes/workgroup (compile time only)
; SGPRBlocks: 4
; VGPRBlocks: 6
; NumSGPRsForWavesPerEU: 37
; NumVGPRsForWavesPerEU: 50
; AccumOffset: 52
; Occupancy: 8
; WaveLimiterHint : 1
; COMPUTE_PGM_RSRC2:SCRATCH_EN: 0
; COMPUTE_PGM_RSRC2:USER_SGPR: 2
; COMPUTE_PGM_RSRC2:TRAP_HANDLER: 0
; COMPUTE_PGM_RSRC2:TGID_X_EN: 1
; COMPUTE_PGM_RSRC2:TGID_Y_EN: 1
; COMPUTE_PGM_RSRC2:TGID_Z_EN: 1
; COMPUTE_PGM_RSRC2:TIDIG_COMP_CNT: 1
; COMPUTE_PGM_RSRC3_GFX90A:ACCUM_OFFSET: 12
; COMPUTE_PGM_RSRC3_GFX90A:TG_SPLIT: 0
	.section	.text._ZL29rocblas_internal_gemmt_kernelIlLi16ELi32ELi8ELc84ELc78ELc85ELb0ELb0EffPKPKfPKPfEviT_T9_T10_S7_lS9_S7_lS8_T11_S7_li,"axG",@progbits,_ZL29rocblas_internal_gemmt_kernelIlLi16ELi32ELi8ELc84ELc78ELc85ELb0ELb0EffPKPKfPKPfEviT_T9_T10_S7_lS9_S7_lS8_T11_S7_li,comdat
	.globl	_ZL29rocblas_internal_gemmt_kernelIlLi16ELi32ELi8ELc84ELc78ELc85ELb0ELb0EffPKPKfPKPfEviT_T9_T10_S7_lS9_S7_lS8_T11_S7_li ; -- Begin function _ZL29rocblas_internal_gemmt_kernelIlLi16ELi32ELi8ELc84ELc78ELc85ELb0ELb0EffPKPKfPKPfEviT_T9_T10_S7_lS9_S7_lS8_T11_S7_li
	.p2align	8
	.type	_ZL29rocblas_internal_gemmt_kernelIlLi16ELi32ELi8ELc84ELc78ELc85ELb0ELb0EffPKPKfPKPfEviT_T9_T10_S7_lS9_S7_lS8_T11_S7_li,@function
_ZL29rocblas_internal_gemmt_kernelIlLi16ELi32ELi8ELc84ELc78ELc85ELb0ELb0EffPKPKfPKPfEviT_T9_T10_S7_lS9_S7_lS8_T11_S7_li: ; @_ZL29rocblas_internal_gemmt_kernelIlLi16ELi32ELi8ELc84ELc78ELc85ELb0ELb0EffPKPKfPKPfEviT_T9_T10_S7_lS9_S7_lS8_T11_S7_li
; %bb.0:
	s_load_dword s26, s[0:1], 0x48
	s_load_dwordx2 s[20:21], s[0:1], 0x8
	s_load_dword s27, s[0:1], 0x10
	s_waitcnt lgkmcnt(0)
	v_cmp_neq_f32_e64 s[6:7], s26, 1.0
	s_and_b64 vcc, exec, s[6:7]
	s_cbranch_vccnz .LBB453_2
; %bb.1:
	s_cmp_lg_u64 s[20:21], 0
	s_cselect_b64 s[6:7], -1, 0
	v_cmp_neq_f32_e64 s[8:9], s27, 0
	s_and_b64 s[6:7], s[6:7], s[8:9]
.LBB453_2:
	s_andn2_b64 vcc, exec, s[6:7]
	s_cbranch_vccnz .LBB453_28
; %bb.3:
	s_load_dwordx2 s[22:23], s[0:1], 0x60
	s_load_dword s28, s[0:1], 0x0
	s_load_dwordx4 s[12:15], s[0:1], 0x50
	s_mov_b32 s5, 0
	s_lshl_b64 s[24:25], s[4:5], 3
	v_mov_b32_e32 v7, 0
	v_and_b32_e32 v3, 0x3ff, v0
	s_waitcnt lgkmcnt(0)
	s_add_u32 s4, s12, s24
	s_addc_u32 s5, s13, s25
	s_load_dwordx2 s[12:13], s[4:5], 0x0
	s_lshl_b32 s29, s2, 5
	s_lshl_b32 s30, s3, 5
	v_cmp_eq_f32_e64 s[2:3], s27, 0
	v_cmp_lt_i64_e64 s[4:5], s[20:21], 1
	s_or_b64 s[2:3], s[2:3], s[4:5]
	v_bfe_u32 v5, v0, 10, 10
	s_and_b64 vcc, exec, s[2:3]
	v_mov_b32_e32 v6, v7
	v_mov_b32_e32 v1, v7
	;; [unrolled: 1-line block ×3, first 2 shown]
	s_cbranch_vccnz .LBB453_12
; %bb.4:
	s_load_dwordx8 s[4:11], s[0:1], 0x18
	s_load_dwordx4 s[16:19], s[0:1], 0x38
	v_lshl_add_u32 v0, v5, 4, v3
	v_lshrrev_b32_e32 v4, 5, v0
	v_lshrrev_b32_e32 v6, 3, v0
	s_waitcnt lgkmcnt(0)
	s_add_u32 s0, s10, s24
	s_addc_u32 s1, s11, s25
	s_load_dwordx2 s[0:1], s[0:1], 0x0
	s_lshl_b64 s[2:3], s[18:19], 2
	v_and_b32_e32 v0, 31, v0
	v_or_b32_e32 v1, s29, v0
	v_lshlrev_b32_e32 v0, 2, v0
	s_waitcnt lgkmcnt(0)
	s_add_u32 s10, s0, s2
	s_addc_u32 s11, s1, s3
	s_add_u32 s0, s4, s24
	s_addc_u32 s1, s5, s25
	s_load_dwordx2 s[2:3], s[0:1], 0x0
	s_lshl_b64 s[4:5], s[8:9], 2
	v_cmp_gt_i32_e64 s[0:1], s28, v1
	v_lshl_or_b32 v14, v4, 7, v0
	v_mul_lo_u32 v8, s7, v1
	s_waitcnt lgkmcnt(0)
	s_add_u32 s2, s2, s4
	s_addc_u32 s3, s3, s5
	s_ashr_i32 s8, s29, 31
	v_mad_u64_u32 v[0:1], s[4:5], s6, v1, 0
	s_mul_i32 s4, s6, s8
	v_and_b32_e32 v2, 7, v3
	v_add3_u32 v1, v1, s4, v8
	v_lshl_add_u64 v[8:9], v[0:1], 2, s[2:3]
	v_lshlrev_b32_e32 v0, 2, v2
	v_add_u32_e32 v7, s30, v6
	v_lshl_or_b32 v0, v6, 5, v0
	v_add_u32_e32 v15, 0x400, v0
	v_ashrrev_i32_e32 v0, 31, v7
	v_mul_lo_u32 v6, s16, v0
	v_mul_lo_u32 v10, s17, v7
	v_mad_u64_u32 v[0:1], s[4:5], s16, v7, 0
	v_add3_u32 v1, v1, v6, v10
	v_lshl_add_u64 v[10:11], v[0:1], 2, s[10:11]
	v_mov_b32_e32 v0, 0x400
	v_mov_b32_e32 v13, 0
	v_cmp_gt_i32_e64 s[2:3], s28, v7
	v_lshlrev_b32_e32 v16, 2, v3
	v_lshl_add_u32 v17, v5, 5, v0
	s_mov_b64 s[4:5], 0
	v_mov_b32_e32 v0, v13
	v_mov_b32_e32 v1, v13
	;; [unrolled: 1-line block ×4, first 2 shown]
	s_branch .LBB453_6
.LBB453_5:                              ;   in Loop: Header=BB453_6 Depth=1
	s_or_b64 exec, exec, s[6:7]
	s_waitcnt vmcnt(0) lgkmcnt(0)
	ds_write_b32 v15, v18
	s_waitcnt lgkmcnt(0)
	s_barrier
	ds_read_b128 v[18:21], v17
	ds_read_b128 v[22:25], v17 offset:16
	ds_read2_b32 v[34:35], v16 offset1:16
	ds_read2_b32 v[36:37], v16 offset0:32 offset1:48
	ds_read2_b32 v[38:39], v16 offset0:64 offset1:80
	;; [unrolled: 1-line block ×4, first 2 shown]
	ds_read_b128 v[26:29], v17 offset:512
	ds_read_b128 v[30:33], v17 offset:528
	ds_read2_b32 v[44:45], v16 offset0:160 offset1:176
	ds_read2_b32 v[46:47], v16 offset0:192 offset1:208
	;; [unrolled: 1-line block ×3, first 2 shown]
	s_waitcnt lgkmcnt(9)
	v_pk_fma_f32 v[6:7], v[34:35], v[18:19], v[6:7] op_sel_hi:[1,0,1]
	v_mov_b32_e32 v12, v21
	s_waitcnt lgkmcnt(8)
	v_pk_fma_f32 v[6:7], v[36:37], v[18:19], v[6:7] op_sel:[0,1,0]
	s_waitcnt lgkmcnt(4)
	v_pk_fma_f32 v[0:1], v[34:35], v[26:27], v[0:1] op_sel_hi:[1,0,1]
	v_pk_fma_f32 v[6:7], v[38:39], v[20:21], v[6:7] op_sel_hi:[1,0,1]
	v_pk_fma_f32 v[0:1], v[36:37], v[26:27], v[0:1] op_sel:[0,1,0]
	v_pk_fma_f32 v[6:7], v[40:41], v[12:13], v[6:7] op_sel_hi:[1,0,1]
	v_mov_b32_e32 v12, v25
	v_pk_fma_f32 v[6:7], v[42:43], v[22:23], v[6:7] op_sel_hi:[1,0,1]
	v_pk_fma_f32 v[0:1], v[38:39], v[28:29], v[0:1] op_sel_hi:[1,0,1]
	s_waitcnt lgkmcnt(2)
	v_pk_fma_f32 v[6:7], v[44:45], v[22:23], v[6:7] op_sel:[0,1,0]
	s_add_u32 s4, s4, 8
	s_waitcnt lgkmcnt(1)
	v_pk_fma_f32 v[6:7], v[46:47], v[24:25], v[6:7] op_sel_hi:[1,0,1]
	s_addc_u32 s5, s5, 0
	s_waitcnt lgkmcnt(0)
	v_pk_fma_f32 v[6:7], v[48:49], v[12:13], v[6:7] op_sel_hi:[1,0,1]
	v_mov_b32_e32 v12, v29
	v_pk_fma_f32 v[0:1], v[40:41], v[12:13], v[0:1] op_sel_hi:[1,0,1]
	v_mov_b64_e32 v[18:19], s[4:5]
	v_pk_fma_f32 v[0:1], v[42:43], v[30:31], v[0:1] op_sel_hi:[1,0,1]
	v_mov_b32_e32 v12, v33
	v_pk_fma_f32 v[0:1], v[44:45], v[30:31], v[0:1] op_sel:[0,1,0]
	v_cmp_gt_i64_e32 vcc, s[20:21], v[18:19]
	v_pk_fma_f32 v[0:1], v[46:47], v[32:33], v[0:1] op_sel_hi:[1,0,1]
	s_nop 0
	v_pk_fma_f32 v[0:1], v[48:49], v[12:13], v[0:1] op_sel_hi:[1,0,1]
	s_barrier
	s_cbranch_vccz .LBB453_12
.LBB453_6:                              ; =>This Inner Loop Header: Depth=1
	v_mov_b32_e32 v18, 0
	s_and_saveexec_b64 s[6:7], s[0:1]
	s_cbranch_execz .LBB453_10
; %bb.7:                                ;   in Loop: Header=BB453_6 Depth=1
	v_add_u32_e32 v12, s4, v4
	v_cmp_gt_u64_e32 vcc, s[20:21], v[12:13]
	v_mov_b32_e32 v18, 0
	s_and_saveexec_b64 s[8:9], vcc
	s_cbranch_execz .LBB453_9
; %bb.8:                                ;   in Loop: Header=BB453_6 Depth=1
	v_lshl_add_u64 v[18:19], v[12:13], 2, v[8:9]
	flat_load_dword v18, v[18:19]
.LBB453_9:                              ;   in Loop: Header=BB453_6 Depth=1
	s_or_b64 exec, exec, s[8:9]
.LBB453_10:                             ;   in Loop: Header=BB453_6 Depth=1
	s_or_b64 exec, exec, s[6:7]
	v_add_u32_e32 v12, s4, v2
	v_cmp_gt_u64_e32 vcc, s[20:21], v[12:13]
	s_waitcnt vmcnt(0) lgkmcnt(0)
	ds_write_b32 v14, v18
	s_and_b64 s[8:9], vcc, s[2:3]
	v_mov_b32_e32 v18, 0
	s_and_saveexec_b64 s[6:7], s[8:9]
	s_cbranch_execz .LBB453_5
; %bb.11:                               ;   in Loop: Header=BB453_6 Depth=1
	v_lshl_add_u64 v[18:19], v[12:13], 2, v[10:11]
	flat_load_dword v18, v[18:19]
	s_branch .LBB453_5
.LBB453_12:
	s_lshl_b64 s[0:1], s[22:23], 2
	v_add_u32_e32 v10, s30, v5
	s_waitcnt lgkmcnt(0)
	s_add_u32 s4, s12, s0
	v_add_u32_e32 v2, s29, v3
	v_ashrrev_i32_e32 v3, 31, v10
	s_addc_u32 s5, s13, s1
	v_mul_lo_u32 v3, s14, v3
	v_mul_lo_u32 v8, s15, v10
	v_mad_u64_u32 v[4:5], s[0:1], s14, v10, 0
	v_add3_u32 v5, v5, v3, v8
	v_cmp_neq_f32_e64 s[0:1], s26, 0
	v_cmp_gt_i32_e64 s[2:3], s28, v10
	v_lshl_add_u64 v[8:9], v[4:5], 2, s[4:5]
	v_cmp_le_i32_e32 vcc, v2, v10
	v_cndmask_b32_e64 v4, 0, 1, s[0:1]
	s_and_b64 s[8:9], s[2:3], vcc
	v_ashrrev_i32_e32 v3, 31, v2
	v_cmp_ne_u32_e64 s[0:1], 1, v4
	s_and_saveexec_b64 s[6:7], s[8:9]
	s_cbranch_execz .LBB453_16
; %bb.13:
	v_mul_f32_e32 v6, s27, v6
	s_and_b64 vcc, exec, s[0:1]
	v_lshl_add_u64 v[4:5], v[2:3], 2, v[8:9]
	s_cbranch_vccnz .LBB453_15
; %bb.14:
	flat_load_dword v11, v[4:5]
	s_waitcnt vmcnt(0) lgkmcnt(0)
	v_fmac_f32_e32 v6, s26, v11
.LBB453_15:
	flat_store_dword v[4:5], v6
.LBB453_16:
	s_or_b64 exec, exec, s[6:7]
	v_add_u32_e32 v4, 16, v2
	v_cmp_le_i32_e32 vcc, v4, v10
	s_and_b64 s[6:7], s[2:3], vcc
	v_ashrrev_i32_e32 v5, 31, v4
	s_and_saveexec_b64 s[2:3], s[6:7]
	s_cbranch_execz .LBB453_20
; %bb.17:
	v_mul_f32_e32 v11, s27, v7
	s_and_b64 vcc, exec, s[0:1]
	v_lshl_add_u64 v[6:7], v[4:5], 2, v[8:9]
	s_cbranch_vccnz .LBB453_19
; %bb.18:
	flat_load_dword v8, v[6:7]
	s_waitcnt vmcnt(0) lgkmcnt(0)
	v_fmac_f32_e32 v11, s26, v8
.LBB453_19:
	flat_store_dword v[6:7], v11
.LBB453_20:
	s_or_b64 exec, exec, s[2:3]
	v_add_u32_e32 v8, 16, v10
	v_ashrrev_i32_e32 v6, 31, v8
	v_mul_lo_u32 v9, s14, v6
	v_mul_lo_u32 v10, s15, v8
	v_mad_u64_u32 v[6:7], s[6:7], s14, v8, 0
	v_cmp_gt_i32_e64 s[2:3], s28, v8
	v_add3_u32 v7, v7, v9, v10
	v_cmp_le_i32_e32 vcc, v2, v8
	v_lshl_add_u64 v[6:7], v[6:7], 2, s[4:5]
	s_and_b64 s[6:7], s[2:3], vcc
	s_and_saveexec_b64 s[4:5], s[6:7]
	s_cbranch_execz .LBB453_24
; %bb.21:
	v_mul_f32_e32 v0, s27, v0
	s_and_b64 vcc, exec, s[0:1]
	v_lshl_add_u64 v[2:3], v[2:3], 2, v[6:7]
	s_cbranch_vccnz .LBB453_23
; %bb.22:
	flat_load_dword v9, v[2:3]
	s_waitcnt vmcnt(0) lgkmcnt(0)
	v_fmac_f32_e32 v0, s26, v9
.LBB453_23:
	flat_store_dword v[2:3], v0
.LBB453_24:
	s_or_b64 exec, exec, s[4:5]
	v_cmp_le_i32_e32 vcc, v4, v8
	s_and_b64 s[2:3], s[2:3], vcc
	s_and_saveexec_b64 s[4:5], s[2:3]
	s_cbranch_execz .LBB453_28
; %bb.25:
	v_mul_f32_e32 v2, s27, v1
	s_and_b64 vcc, exec, s[0:1]
	v_lshl_add_u64 v[0:1], v[4:5], 2, v[6:7]
	s_cbranch_vccnz .LBB453_27
; %bb.26:
	flat_load_dword v3, v[0:1]
	s_waitcnt vmcnt(0) lgkmcnt(0)
	v_fmac_f32_e32 v2, s26, v3
.LBB453_27:
	flat_store_dword v[0:1], v2
.LBB453_28:
	s_endpgm
	.section	.rodata,"a",@progbits
	.p2align	6, 0x0
	.amdhsa_kernel _ZL29rocblas_internal_gemmt_kernelIlLi16ELi32ELi8ELc84ELc78ELc85ELb0ELb0EffPKPKfPKPfEviT_T9_T10_S7_lS9_S7_lS8_T11_S7_li
		.amdhsa_group_segment_fixed_size 2048
		.amdhsa_private_segment_fixed_size 0
		.amdhsa_kernarg_size 108
		.amdhsa_user_sgpr_count 2
		.amdhsa_user_sgpr_dispatch_ptr 0
		.amdhsa_user_sgpr_queue_ptr 0
		.amdhsa_user_sgpr_kernarg_segment_ptr 1
		.amdhsa_user_sgpr_dispatch_id 0
		.amdhsa_user_sgpr_kernarg_preload_length 0
		.amdhsa_user_sgpr_kernarg_preload_offset 0
		.amdhsa_user_sgpr_private_segment_size 0
		.amdhsa_uses_dynamic_stack 0
		.amdhsa_enable_private_segment 0
		.amdhsa_system_sgpr_workgroup_id_x 1
		.amdhsa_system_sgpr_workgroup_id_y 1
		.amdhsa_system_sgpr_workgroup_id_z 1
		.amdhsa_system_sgpr_workgroup_info 0
		.amdhsa_system_vgpr_workitem_id 1
		.amdhsa_next_free_vgpr 50
		.amdhsa_next_free_sgpr 31
		.amdhsa_accum_offset 52
		.amdhsa_reserve_vcc 1
		.amdhsa_float_round_mode_32 0
		.amdhsa_float_round_mode_16_64 0
		.amdhsa_float_denorm_mode_32 3
		.amdhsa_float_denorm_mode_16_64 3
		.amdhsa_dx10_clamp 1
		.amdhsa_ieee_mode 1
		.amdhsa_fp16_overflow 0
		.amdhsa_tg_split 0
		.amdhsa_exception_fp_ieee_invalid_op 0
		.amdhsa_exception_fp_denorm_src 0
		.amdhsa_exception_fp_ieee_div_zero 0
		.amdhsa_exception_fp_ieee_overflow 0
		.amdhsa_exception_fp_ieee_underflow 0
		.amdhsa_exception_fp_ieee_inexact 0
		.amdhsa_exception_int_div_zero 0
	.end_amdhsa_kernel
	.section	.text._ZL29rocblas_internal_gemmt_kernelIlLi16ELi32ELi8ELc84ELc78ELc85ELb0ELb0EffPKPKfPKPfEviT_T9_T10_S7_lS9_S7_lS8_T11_S7_li,"axG",@progbits,_ZL29rocblas_internal_gemmt_kernelIlLi16ELi32ELi8ELc84ELc78ELc85ELb0ELb0EffPKPKfPKPfEviT_T9_T10_S7_lS9_S7_lS8_T11_S7_li,comdat
.Lfunc_end453:
	.size	_ZL29rocblas_internal_gemmt_kernelIlLi16ELi32ELi8ELc84ELc78ELc85ELb0ELb0EffPKPKfPKPfEviT_T9_T10_S7_lS9_S7_lS8_T11_S7_li, .Lfunc_end453-_ZL29rocblas_internal_gemmt_kernelIlLi16ELi32ELi8ELc84ELc78ELc85ELb0ELb0EffPKPKfPKPfEviT_T9_T10_S7_lS9_S7_lS8_T11_S7_li
                                        ; -- End function
	.set _ZL29rocblas_internal_gemmt_kernelIlLi16ELi32ELi8ELc84ELc78ELc85ELb0ELb0EffPKPKfPKPfEviT_T9_T10_S7_lS9_S7_lS8_T11_S7_li.num_vgpr, 50
	.set _ZL29rocblas_internal_gemmt_kernelIlLi16ELi32ELi8ELc84ELc78ELc85ELb0ELb0EffPKPKfPKPfEviT_T9_T10_S7_lS9_S7_lS8_T11_S7_li.num_agpr, 0
	.set _ZL29rocblas_internal_gemmt_kernelIlLi16ELi32ELi8ELc84ELc78ELc85ELb0ELb0EffPKPKfPKPfEviT_T9_T10_S7_lS9_S7_lS8_T11_S7_li.numbered_sgpr, 31
	.set _ZL29rocblas_internal_gemmt_kernelIlLi16ELi32ELi8ELc84ELc78ELc85ELb0ELb0EffPKPKfPKPfEviT_T9_T10_S7_lS9_S7_lS8_T11_S7_li.num_named_barrier, 0
	.set _ZL29rocblas_internal_gemmt_kernelIlLi16ELi32ELi8ELc84ELc78ELc85ELb0ELb0EffPKPKfPKPfEviT_T9_T10_S7_lS9_S7_lS8_T11_S7_li.private_seg_size, 0
	.set _ZL29rocblas_internal_gemmt_kernelIlLi16ELi32ELi8ELc84ELc78ELc85ELb0ELb0EffPKPKfPKPfEviT_T9_T10_S7_lS9_S7_lS8_T11_S7_li.uses_vcc, 1
	.set _ZL29rocblas_internal_gemmt_kernelIlLi16ELi32ELi8ELc84ELc78ELc85ELb0ELb0EffPKPKfPKPfEviT_T9_T10_S7_lS9_S7_lS8_T11_S7_li.uses_flat_scratch, 0
	.set _ZL29rocblas_internal_gemmt_kernelIlLi16ELi32ELi8ELc84ELc78ELc85ELb0ELb0EffPKPKfPKPfEviT_T9_T10_S7_lS9_S7_lS8_T11_S7_li.has_dyn_sized_stack, 0
	.set _ZL29rocblas_internal_gemmt_kernelIlLi16ELi32ELi8ELc84ELc78ELc85ELb0ELb0EffPKPKfPKPfEviT_T9_T10_S7_lS9_S7_lS8_T11_S7_li.has_recursion, 0
	.set _ZL29rocblas_internal_gemmt_kernelIlLi16ELi32ELi8ELc84ELc78ELc85ELb0ELb0EffPKPKfPKPfEviT_T9_T10_S7_lS9_S7_lS8_T11_S7_li.has_indirect_call, 0
	.section	.AMDGPU.csdata,"",@progbits
; Kernel info:
; codeLenInByte = 1340
; TotalNumSgprs: 37
; NumVgprs: 50
; NumAgprs: 0
; TotalNumVgprs: 50
; ScratchSize: 0
; MemoryBound: 0
; FloatMode: 240
; IeeeMode: 1
; LDSByteSize: 2048 bytes/workgroup (compile time only)
; SGPRBlocks: 4
; VGPRBlocks: 6
; NumSGPRsForWavesPerEU: 37
; NumVGPRsForWavesPerEU: 50
; AccumOffset: 52
; Occupancy: 8
; WaveLimiterHint : 1
; COMPUTE_PGM_RSRC2:SCRATCH_EN: 0
; COMPUTE_PGM_RSRC2:USER_SGPR: 2
; COMPUTE_PGM_RSRC2:TRAP_HANDLER: 0
; COMPUTE_PGM_RSRC2:TGID_X_EN: 1
; COMPUTE_PGM_RSRC2:TGID_Y_EN: 1
; COMPUTE_PGM_RSRC2:TGID_Z_EN: 1
; COMPUTE_PGM_RSRC2:TIDIG_COMP_CNT: 1
; COMPUTE_PGM_RSRC3_GFX90A:ACCUM_OFFSET: 12
; COMPUTE_PGM_RSRC3_GFX90A:TG_SPLIT: 0
	.section	.text._ZL29rocblas_internal_gemmt_kernelIlLi16ELi32ELi8ELc84ELc84ELc85ELb0ELb0EffPKPKfPKPfEviT_T9_T10_S7_lS9_S7_lS8_T11_S7_li,"axG",@progbits,_ZL29rocblas_internal_gemmt_kernelIlLi16ELi32ELi8ELc84ELc84ELc85ELb0ELb0EffPKPKfPKPfEviT_T9_T10_S7_lS9_S7_lS8_T11_S7_li,comdat
	.globl	_ZL29rocblas_internal_gemmt_kernelIlLi16ELi32ELi8ELc84ELc84ELc85ELb0ELb0EffPKPKfPKPfEviT_T9_T10_S7_lS9_S7_lS8_T11_S7_li ; -- Begin function _ZL29rocblas_internal_gemmt_kernelIlLi16ELi32ELi8ELc84ELc84ELc85ELb0ELb0EffPKPKfPKPfEviT_T9_T10_S7_lS9_S7_lS8_T11_S7_li
	.p2align	8
	.type	_ZL29rocblas_internal_gemmt_kernelIlLi16ELi32ELi8ELc84ELc84ELc85ELb0ELb0EffPKPKfPKPfEviT_T9_T10_S7_lS9_S7_lS8_T11_S7_li,@function
_ZL29rocblas_internal_gemmt_kernelIlLi16ELi32ELi8ELc84ELc84ELc85ELb0ELb0EffPKPKfPKPfEviT_T9_T10_S7_lS9_S7_lS8_T11_S7_li: ; @_ZL29rocblas_internal_gemmt_kernelIlLi16ELi32ELi8ELc84ELc84ELc85ELb0ELb0EffPKPKfPKPfEviT_T9_T10_S7_lS9_S7_lS8_T11_S7_li
; %bb.0:
	s_load_dword s26, s[0:1], 0x48
	s_load_dwordx2 s[20:21], s[0:1], 0x8
	s_load_dword s27, s[0:1], 0x10
	s_waitcnt lgkmcnt(0)
	v_cmp_neq_f32_e64 s[6:7], s26, 1.0
	s_and_b64 vcc, exec, s[6:7]
	s_cbranch_vccnz .LBB454_2
; %bb.1:
	s_cmp_lg_u64 s[20:21], 0
	s_cselect_b64 s[6:7], -1, 0
	v_cmp_neq_f32_e64 s[8:9], s27, 0
	s_and_b64 s[6:7], s[6:7], s[8:9]
.LBB454_2:
	s_andn2_b64 vcc, exec, s[6:7]
	s_cbranch_vccnz .LBB454_28
; %bb.3:
	s_load_dwordx2 s[22:23], s[0:1], 0x60
	s_load_dword s28, s[0:1], 0x0
	s_load_dwordx4 s[12:15], s[0:1], 0x50
	s_mov_b32 s5, 0
	s_lshl_b64 s[24:25], s[4:5], 3
	v_mov_b32_e32 v7, 0
	v_and_b32_e32 v3, 0x3ff, v0
	s_waitcnt lgkmcnt(0)
	s_add_u32 s4, s12, s24
	s_addc_u32 s5, s13, s25
	s_load_dwordx2 s[12:13], s[4:5], 0x0
	s_lshl_b32 s29, s2, 5
	s_lshl_b32 s30, s3, 5
	v_cmp_eq_f32_e64 s[2:3], s27, 0
	v_cmp_lt_i64_e64 s[4:5], s[20:21], 1
	s_or_b64 s[2:3], s[2:3], s[4:5]
	v_bfe_u32 v5, v0, 10, 10
	s_and_b64 vcc, exec, s[2:3]
	v_mov_b32_e32 v6, v7
	v_mov_b32_e32 v1, v7
	;; [unrolled: 1-line block ×3, first 2 shown]
	s_cbranch_vccnz .LBB454_12
; %bb.4:
	s_load_dwordx8 s[4:11], s[0:1], 0x18
	s_load_dwordx4 s[16:19], s[0:1], 0x38
	v_lshl_add_u32 v0, v5, 4, v3
	v_and_b32_e32 v6, 31, v0
	v_lshrrev_b32_e32 v4, 5, v0
	s_waitcnt lgkmcnt(0)
	s_add_u32 s0, s10, s24
	s_addc_u32 s1, s11, s25
	s_load_dwordx2 s[0:1], s[0:1], 0x0
	s_lshl_b64 s[2:3], s[18:19], 2
	v_or_b32_e32 v7, s29, v6
	v_lshlrev_b32_e32 v6, 2, v6
	v_lshl_or_b32 v14, v4, 7, v6
	s_waitcnt lgkmcnt(0)
	s_add_u32 s10, s0, s2
	s_addc_u32 s11, s1, s3
	s_add_u32 s0, s4, s24
	s_addc_u32 s1, s5, s25
	s_load_dwordx2 s[2:3], s[0:1], 0x0
	s_lshl_b64 s[4:5], s[8:9], 2
	v_cmp_gt_i32_e64 s[0:1], s28, v7
	v_mul_lo_u32 v8, s7, v7
	v_and_b32_e32 v2, 7, v3
	s_waitcnt lgkmcnt(0)
	s_add_u32 s2, s2, s4
	s_addc_u32 s3, s3, s5
	s_ashr_i32 s8, s29, 31
	v_mad_u64_u32 v[6:7], s[4:5], s6, v7, 0
	s_mul_i32 s4, s6, s8
	s_nop 0
	v_add3_u32 v7, v7, s4, v8
	v_lshrrev_b32_e32 v1, 3, v0
	v_lshl_add_u64 v[8:9], v[6:7], 2, s[2:3]
	v_lshlrev_b32_e32 v6, 2, v2
	v_add_u32_e32 v0, s30, v1
	v_lshl_or_b32 v1, v1, 5, v6
	v_add_u32_e32 v15, 0x400, v1
	v_ashrrev_i32_e32 v1, 31, v0
	v_cmp_gt_i32_e64 s[2:3], s28, v0
	v_lshl_add_u64 v[10:11], v[0:1], 2, s[10:11]
	v_mov_b32_e32 v0, 0x400
	v_mov_b32_e32 v13, 0
	v_lshlrev_b32_e32 v16, 2, v3
	v_lshl_add_u32 v17, v5, 5, v0
	s_mov_b64 s[4:5], 0
	v_mov_b32_e32 v0, v13
	v_mov_b32_e32 v1, v13
	;; [unrolled: 1-line block ×4, first 2 shown]
	s_branch .LBB454_6
.LBB454_5:                              ;   in Loop: Header=BB454_6 Depth=1
	s_or_b64 exec, exec, s[6:7]
	s_waitcnt vmcnt(0) lgkmcnt(0)
	ds_write_b32 v15, v18
	s_waitcnt lgkmcnt(0)
	s_barrier
	ds_read_b128 v[18:21], v17
	ds_read_b128 v[22:25], v17 offset:16
	ds_read2_b32 v[34:35], v16 offset1:16
	ds_read2_b32 v[36:37], v16 offset0:32 offset1:48
	ds_read2_b32 v[38:39], v16 offset0:64 offset1:80
	;; [unrolled: 1-line block ×4, first 2 shown]
	ds_read_b128 v[26:29], v17 offset:512
	ds_read_b128 v[30:33], v17 offset:528
	ds_read2_b32 v[44:45], v16 offset0:160 offset1:176
	ds_read2_b32 v[46:47], v16 offset0:192 offset1:208
	;; [unrolled: 1-line block ×3, first 2 shown]
	s_waitcnt lgkmcnt(9)
	v_pk_fma_f32 v[6:7], v[34:35], v[18:19], v[6:7] op_sel_hi:[1,0,1]
	v_mov_b32_e32 v12, v21
	s_waitcnt lgkmcnt(8)
	v_pk_fma_f32 v[6:7], v[36:37], v[18:19], v[6:7] op_sel:[0,1,0]
	s_waitcnt lgkmcnt(4)
	v_pk_fma_f32 v[0:1], v[34:35], v[26:27], v[0:1] op_sel_hi:[1,0,1]
	v_pk_fma_f32 v[6:7], v[38:39], v[20:21], v[6:7] op_sel_hi:[1,0,1]
	v_pk_fma_f32 v[0:1], v[36:37], v[26:27], v[0:1] op_sel:[0,1,0]
	v_pk_fma_f32 v[6:7], v[40:41], v[12:13], v[6:7] op_sel_hi:[1,0,1]
	v_mov_b32_e32 v12, v25
	v_pk_fma_f32 v[6:7], v[42:43], v[22:23], v[6:7] op_sel_hi:[1,0,1]
	v_pk_fma_f32 v[0:1], v[38:39], v[28:29], v[0:1] op_sel_hi:[1,0,1]
	s_waitcnt lgkmcnt(2)
	v_pk_fma_f32 v[6:7], v[44:45], v[22:23], v[6:7] op_sel:[0,1,0]
	s_add_u32 s4, s4, 8
	s_waitcnt lgkmcnt(1)
	v_pk_fma_f32 v[6:7], v[46:47], v[24:25], v[6:7] op_sel_hi:[1,0,1]
	s_addc_u32 s5, s5, 0
	s_waitcnt lgkmcnt(0)
	v_pk_fma_f32 v[6:7], v[48:49], v[12:13], v[6:7] op_sel_hi:[1,0,1]
	v_mov_b32_e32 v12, v29
	v_pk_fma_f32 v[0:1], v[40:41], v[12:13], v[0:1] op_sel_hi:[1,0,1]
	v_mov_b64_e32 v[18:19], s[4:5]
	v_pk_fma_f32 v[0:1], v[42:43], v[30:31], v[0:1] op_sel_hi:[1,0,1]
	v_mov_b32_e32 v12, v33
	v_pk_fma_f32 v[0:1], v[44:45], v[30:31], v[0:1] op_sel:[0,1,0]
	v_cmp_gt_i64_e32 vcc, s[20:21], v[18:19]
	v_pk_fma_f32 v[0:1], v[46:47], v[32:33], v[0:1] op_sel_hi:[1,0,1]
	s_nop 0
	v_pk_fma_f32 v[0:1], v[48:49], v[12:13], v[0:1] op_sel_hi:[1,0,1]
	s_barrier
	s_cbranch_vccz .LBB454_12
.LBB454_6:                              ; =>This Inner Loop Header: Depth=1
	v_mov_b32_e32 v18, 0
	s_and_saveexec_b64 s[6:7], s[0:1]
	s_cbranch_execz .LBB454_10
; %bb.7:                                ;   in Loop: Header=BB454_6 Depth=1
	v_add_u32_e32 v12, s4, v4
	v_cmp_gt_u64_e32 vcc, s[20:21], v[12:13]
	v_mov_b32_e32 v18, 0
	s_and_saveexec_b64 s[8:9], vcc
	s_cbranch_execz .LBB454_9
; %bb.8:                                ;   in Loop: Header=BB454_6 Depth=1
	v_lshl_add_u64 v[18:19], v[12:13], 2, v[8:9]
	flat_load_dword v18, v[18:19]
.LBB454_9:                              ;   in Loop: Header=BB454_6 Depth=1
	s_or_b64 exec, exec, s[8:9]
.LBB454_10:                             ;   in Loop: Header=BB454_6 Depth=1
	s_or_b64 exec, exec, s[6:7]
	v_add_u32_e32 v12, s4, v2
	v_cmp_gt_u64_e32 vcc, s[20:21], v[12:13]
	s_waitcnt vmcnt(0) lgkmcnt(0)
	ds_write_b32 v14, v18
	s_and_b64 s[8:9], vcc, s[2:3]
	v_mov_b32_e32 v18, 0
	s_and_saveexec_b64 s[6:7], s[8:9]
	s_cbranch_execz .LBB454_5
; %bb.11:                               ;   in Loop: Header=BB454_6 Depth=1
	v_mad_u64_u32 v[18:19], s[8:9], s16, v12, 0
	v_mov_b32_e32 v20, v19
	v_mad_u64_u32 v[20:21], s[8:9], s17, v12, v[20:21]
	v_mov_b32_e32 v19, v20
	v_lshl_add_u64 v[18:19], v[18:19], 2, v[10:11]
	flat_load_dword v18, v[18:19]
	s_branch .LBB454_5
.LBB454_12:
	s_lshl_b64 s[0:1], s[22:23], 2
	v_add_u32_e32 v10, s30, v5
	s_waitcnt lgkmcnt(0)
	s_add_u32 s4, s12, s0
	v_add_u32_e32 v2, s29, v3
	v_ashrrev_i32_e32 v3, 31, v10
	s_addc_u32 s5, s13, s1
	v_mul_lo_u32 v3, s14, v3
	v_mul_lo_u32 v8, s15, v10
	v_mad_u64_u32 v[4:5], s[0:1], s14, v10, 0
	v_add3_u32 v5, v5, v3, v8
	v_cmp_neq_f32_e64 s[0:1], s26, 0
	v_cmp_gt_i32_e64 s[2:3], s28, v10
	v_lshl_add_u64 v[8:9], v[4:5], 2, s[4:5]
	v_cmp_le_i32_e32 vcc, v2, v10
	v_cndmask_b32_e64 v4, 0, 1, s[0:1]
	s_and_b64 s[8:9], s[2:3], vcc
	v_ashrrev_i32_e32 v3, 31, v2
	v_cmp_ne_u32_e64 s[0:1], 1, v4
	s_and_saveexec_b64 s[6:7], s[8:9]
	s_cbranch_execz .LBB454_16
; %bb.13:
	v_mul_f32_e32 v6, s27, v6
	s_and_b64 vcc, exec, s[0:1]
	v_lshl_add_u64 v[4:5], v[2:3], 2, v[8:9]
	s_cbranch_vccnz .LBB454_15
; %bb.14:
	flat_load_dword v11, v[4:5]
	s_waitcnt vmcnt(0) lgkmcnt(0)
	v_fmac_f32_e32 v6, s26, v11
.LBB454_15:
	flat_store_dword v[4:5], v6
.LBB454_16:
	s_or_b64 exec, exec, s[6:7]
	v_add_u32_e32 v4, 16, v2
	v_cmp_le_i32_e32 vcc, v4, v10
	s_and_b64 s[6:7], s[2:3], vcc
	v_ashrrev_i32_e32 v5, 31, v4
	s_and_saveexec_b64 s[2:3], s[6:7]
	s_cbranch_execz .LBB454_20
; %bb.17:
	v_mul_f32_e32 v11, s27, v7
	s_and_b64 vcc, exec, s[0:1]
	v_lshl_add_u64 v[6:7], v[4:5], 2, v[8:9]
	s_cbranch_vccnz .LBB454_19
; %bb.18:
	flat_load_dword v8, v[6:7]
	s_waitcnt vmcnt(0) lgkmcnt(0)
	v_fmac_f32_e32 v11, s26, v8
.LBB454_19:
	flat_store_dword v[6:7], v11
.LBB454_20:
	s_or_b64 exec, exec, s[2:3]
	v_add_u32_e32 v8, 16, v10
	v_ashrrev_i32_e32 v6, 31, v8
	v_mul_lo_u32 v9, s14, v6
	v_mul_lo_u32 v10, s15, v8
	v_mad_u64_u32 v[6:7], s[6:7], s14, v8, 0
	v_cmp_gt_i32_e64 s[2:3], s28, v8
	v_add3_u32 v7, v7, v9, v10
	v_cmp_le_i32_e32 vcc, v2, v8
	v_lshl_add_u64 v[6:7], v[6:7], 2, s[4:5]
	s_and_b64 s[6:7], s[2:3], vcc
	s_and_saveexec_b64 s[4:5], s[6:7]
	s_cbranch_execz .LBB454_24
; %bb.21:
	v_mul_f32_e32 v0, s27, v0
	s_and_b64 vcc, exec, s[0:1]
	v_lshl_add_u64 v[2:3], v[2:3], 2, v[6:7]
	s_cbranch_vccnz .LBB454_23
; %bb.22:
	flat_load_dword v9, v[2:3]
	s_waitcnt vmcnt(0) lgkmcnt(0)
	v_fmac_f32_e32 v0, s26, v9
.LBB454_23:
	flat_store_dword v[2:3], v0
.LBB454_24:
	s_or_b64 exec, exec, s[4:5]
	v_cmp_le_i32_e32 vcc, v4, v8
	s_and_b64 s[2:3], s[2:3], vcc
	s_and_saveexec_b64 s[4:5], s[2:3]
	s_cbranch_execz .LBB454_28
; %bb.25:
	v_mul_f32_e32 v2, s27, v1
	s_and_b64 vcc, exec, s[0:1]
	v_lshl_add_u64 v[0:1], v[4:5], 2, v[6:7]
	s_cbranch_vccnz .LBB454_27
; %bb.26:
	flat_load_dword v3, v[0:1]
	s_waitcnt vmcnt(0) lgkmcnt(0)
	v_fmac_f32_e32 v2, s26, v3
.LBB454_27:
	flat_store_dword v[0:1], v2
.LBB454_28:
	s_endpgm
	.section	.rodata,"a",@progbits
	.p2align	6, 0x0
	.amdhsa_kernel _ZL29rocblas_internal_gemmt_kernelIlLi16ELi32ELi8ELc84ELc84ELc85ELb0ELb0EffPKPKfPKPfEviT_T9_T10_S7_lS9_S7_lS8_T11_S7_li
		.amdhsa_group_segment_fixed_size 2048
		.amdhsa_private_segment_fixed_size 0
		.amdhsa_kernarg_size 108
		.amdhsa_user_sgpr_count 2
		.amdhsa_user_sgpr_dispatch_ptr 0
		.amdhsa_user_sgpr_queue_ptr 0
		.amdhsa_user_sgpr_kernarg_segment_ptr 1
		.amdhsa_user_sgpr_dispatch_id 0
		.amdhsa_user_sgpr_kernarg_preload_length 0
		.amdhsa_user_sgpr_kernarg_preload_offset 0
		.amdhsa_user_sgpr_private_segment_size 0
		.amdhsa_uses_dynamic_stack 0
		.amdhsa_enable_private_segment 0
		.amdhsa_system_sgpr_workgroup_id_x 1
		.amdhsa_system_sgpr_workgroup_id_y 1
		.amdhsa_system_sgpr_workgroup_id_z 1
		.amdhsa_system_sgpr_workgroup_info 0
		.amdhsa_system_vgpr_workitem_id 1
		.amdhsa_next_free_vgpr 50
		.amdhsa_next_free_sgpr 31
		.amdhsa_accum_offset 52
		.amdhsa_reserve_vcc 1
		.amdhsa_float_round_mode_32 0
		.amdhsa_float_round_mode_16_64 0
		.amdhsa_float_denorm_mode_32 3
		.amdhsa_float_denorm_mode_16_64 3
		.amdhsa_dx10_clamp 1
		.amdhsa_ieee_mode 1
		.amdhsa_fp16_overflow 0
		.amdhsa_tg_split 0
		.amdhsa_exception_fp_ieee_invalid_op 0
		.amdhsa_exception_fp_denorm_src 0
		.amdhsa_exception_fp_ieee_div_zero 0
		.amdhsa_exception_fp_ieee_overflow 0
		.amdhsa_exception_fp_ieee_underflow 0
		.amdhsa_exception_fp_ieee_inexact 0
		.amdhsa_exception_int_div_zero 0
	.end_amdhsa_kernel
	.section	.text._ZL29rocblas_internal_gemmt_kernelIlLi16ELi32ELi8ELc84ELc84ELc85ELb0ELb0EffPKPKfPKPfEviT_T9_T10_S7_lS9_S7_lS8_T11_S7_li,"axG",@progbits,_ZL29rocblas_internal_gemmt_kernelIlLi16ELi32ELi8ELc84ELc84ELc85ELb0ELb0EffPKPKfPKPfEviT_T9_T10_S7_lS9_S7_lS8_T11_S7_li,comdat
.Lfunc_end454:
	.size	_ZL29rocblas_internal_gemmt_kernelIlLi16ELi32ELi8ELc84ELc84ELc85ELb0ELb0EffPKPKfPKPfEviT_T9_T10_S7_lS9_S7_lS8_T11_S7_li, .Lfunc_end454-_ZL29rocblas_internal_gemmt_kernelIlLi16ELi32ELi8ELc84ELc84ELc85ELb0ELb0EffPKPKfPKPfEviT_T9_T10_S7_lS9_S7_lS8_T11_S7_li
                                        ; -- End function
	.set _ZL29rocblas_internal_gemmt_kernelIlLi16ELi32ELi8ELc84ELc84ELc85ELb0ELb0EffPKPKfPKPfEviT_T9_T10_S7_lS9_S7_lS8_T11_S7_li.num_vgpr, 50
	.set _ZL29rocblas_internal_gemmt_kernelIlLi16ELi32ELi8ELc84ELc84ELc85ELb0ELb0EffPKPKfPKPfEviT_T9_T10_S7_lS9_S7_lS8_T11_S7_li.num_agpr, 0
	.set _ZL29rocblas_internal_gemmt_kernelIlLi16ELi32ELi8ELc84ELc84ELc85ELb0ELb0EffPKPKfPKPfEviT_T9_T10_S7_lS9_S7_lS8_T11_S7_li.numbered_sgpr, 31
	.set _ZL29rocblas_internal_gemmt_kernelIlLi16ELi32ELi8ELc84ELc84ELc85ELb0ELb0EffPKPKfPKPfEviT_T9_T10_S7_lS9_S7_lS8_T11_S7_li.num_named_barrier, 0
	.set _ZL29rocblas_internal_gemmt_kernelIlLi16ELi32ELi8ELc84ELc84ELc85ELb0ELb0EffPKPKfPKPfEviT_T9_T10_S7_lS9_S7_lS8_T11_S7_li.private_seg_size, 0
	.set _ZL29rocblas_internal_gemmt_kernelIlLi16ELi32ELi8ELc84ELc84ELc85ELb0ELb0EffPKPKfPKPfEviT_T9_T10_S7_lS9_S7_lS8_T11_S7_li.uses_vcc, 1
	.set _ZL29rocblas_internal_gemmt_kernelIlLi16ELi32ELi8ELc84ELc84ELc85ELb0ELb0EffPKPKfPKPfEviT_T9_T10_S7_lS9_S7_lS8_T11_S7_li.uses_flat_scratch, 0
	.set _ZL29rocblas_internal_gemmt_kernelIlLi16ELi32ELi8ELc84ELc84ELc85ELb0ELb0EffPKPKfPKPfEviT_T9_T10_S7_lS9_S7_lS8_T11_S7_li.has_dyn_sized_stack, 0
	.set _ZL29rocblas_internal_gemmt_kernelIlLi16ELi32ELi8ELc84ELc84ELc85ELb0ELb0EffPKPKfPKPfEviT_T9_T10_S7_lS9_S7_lS8_T11_S7_li.has_recursion, 0
	.set _ZL29rocblas_internal_gemmt_kernelIlLi16ELi32ELi8ELc84ELc84ELc85ELb0ELb0EffPKPKfPKPfEviT_T9_T10_S7_lS9_S7_lS8_T11_S7_li.has_indirect_call, 0
	.section	.AMDGPU.csdata,"",@progbits
; Kernel info:
; codeLenInByte = 1336
; TotalNumSgprs: 37
; NumVgprs: 50
; NumAgprs: 0
; TotalNumVgprs: 50
; ScratchSize: 0
; MemoryBound: 0
; FloatMode: 240
; IeeeMode: 1
; LDSByteSize: 2048 bytes/workgroup (compile time only)
; SGPRBlocks: 4
; VGPRBlocks: 6
; NumSGPRsForWavesPerEU: 37
; NumVGPRsForWavesPerEU: 50
; AccumOffset: 52
; Occupancy: 8
; WaveLimiterHint : 1
; COMPUTE_PGM_RSRC2:SCRATCH_EN: 0
; COMPUTE_PGM_RSRC2:USER_SGPR: 2
; COMPUTE_PGM_RSRC2:TRAP_HANDLER: 0
; COMPUTE_PGM_RSRC2:TGID_X_EN: 1
; COMPUTE_PGM_RSRC2:TGID_Y_EN: 1
; COMPUTE_PGM_RSRC2:TGID_Z_EN: 1
; COMPUTE_PGM_RSRC2:TIDIG_COMP_CNT: 1
; COMPUTE_PGM_RSRC3_GFX90A:ACCUM_OFFSET: 12
; COMPUTE_PGM_RSRC3_GFX90A:TG_SPLIT: 0
	.section	.text._ZL29rocblas_internal_gemmt_kernelIlLi16ELi32ELi8ELc84ELc67ELc85ELb0ELb0EffPKPKfPKPfEviT_T9_T10_S7_lS9_S7_lS8_T11_S7_li,"axG",@progbits,_ZL29rocblas_internal_gemmt_kernelIlLi16ELi32ELi8ELc84ELc67ELc85ELb0ELb0EffPKPKfPKPfEviT_T9_T10_S7_lS9_S7_lS8_T11_S7_li,comdat
	.globl	_ZL29rocblas_internal_gemmt_kernelIlLi16ELi32ELi8ELc84ELc67ELc85ELb0ELb0EffPKPKfPKPfEviT_T9_T10_S7_lS9_S7_lS8_T11_S7_li ; -- Begin function _ZL29rocblas_internal_gemmt_kernelIlLi16ELi32ELi8ELc84ELc67ELc85ELb0ELb0EffPKPKfPKPfEviT_T9_T10_S7_lS9_S7_lS8_T11_S7_li
	.p2align	8
	.type	_ZL29rocblas_internal_gemmt_kernelIlLi16ELi32ELi8ELc84ELc67ELc85ELb0ELb0EffPKPKfPKPfEviT_T9_T10_S7_lS9_S7_lS8_T11_S7_li,@function
_ZL29rocblas_internal_gemmt_kernelIlLi16ELi32ELi8ELc84ELc67ELc85ELb0ELb0EffPKPKfPKPfEviT_T9_T10_S7_lS9_S7_lS8_T11_S7_li: ; @_ZL29rocblas_internal_gemmt_kernelIlLi16ELi32ELi8ELc84ELc67ELc85ELb0ELb0EffPKPKfPKPfEviT_T9_T10_S7_lS9_S7_lS8_T11_S7_li
; %bb.0:
	s_load_dword s26, s[0:1], 0x48
	s_load_dwordx2 s[20:21], s[0:1], 0x8
	s_load_dword s27, s[0:1], 0x10
	s_waitcnt lgkmcnt(0)
	v_cmp_neq_f32_e64 s[6:7], s26, 1.0
	s_and_b64 vcc, exec, s[6:7]
	s_cbranch_vccnz .LBB455_2
; %bb.1:
	s_cmp_lg_u64 s[20:21], 0
	s_cselect_b64 s[6:7], -1, 0
	v_cmp_neq_f32_e64 s[8:9], s27, 0
	s_and_b64 s[6:7], s[6:7], s[8:9]
.LBB455_2:
	s_andn2_b64 vcc, exec, s[6:7]
	s_cbranch_vccnz .LBB455_28
; %bb.3:
	s_load_dwordx2 s[22:23], s[0:1], 0x60
	s_load_dword s28, s[0:1], 0x0
	s_load_dwordx4 s[12:15], s[0:1], 0x50
	s_mov_b32 s5, 0
	s_lshl_b64 s[24:25], s[4:5], 3
	v_mov_b32_e32 v7, 0
	v_and_b32_e32 v3, 0x3ff, v0
	s_waitcnt lgkmcnt(0)
	s_add_u32 s4, s12, s24
	s_addc_u32 s5, s13, s25
	s_load_dwordx2 s[12:13], s[4:5], 0x0
	s_lshl_b32 s29, s2, 5
	s_lshl_b32 s30, s3, 5
	v_cmp_eq_f32_e64 s[2:3], s27, 0
	v_cmp_lt_i64_e64 s[4:5], s[20:21], 1
	s_or_b64 s[2:3], s[2:3], s[4:5]
	v_bfe_u32 v5, v0, 10, 10
	s_and_b64 vcc, exec, s[2:3]
	v_mov_b32_e32 v6, v7
	v_mov_b32_e32 v1, v7
	;; [unrolled: 1-line block ×3, first 2 shown]
	s_cbranch_vccnz .LBB455_12
; %bb.4:
	s_load_dwordx8 s[4:11], s[0:1], 0x18
	s_load_dwordx4 s[16:19], s[0:1], 0x38
	v_lshl_add_u32 v0, v5, 4, v3
	v_and_b32_e32 v6, 31, v0
	v_lshrrev_b32_e32 v4, 5, v0
	s_waitcnt lgkmcnt(0)
	s_add_u32 s0, s10, s24
	s_addc_u32 s1, s11, s25
	s_load_dwordx2 s[0:1], s[0:1], 0x0
	s_lshl_b64 s[2:3], s[18:19], 2
	v_or_b32_e32 v7, s29, v6
	v_lshlrev_b32_e32 v6, 2, v6
	v_lshl_or_b32 v14, v4, 7, v6
	s_waitcnt lgkmcnt(0)
	s_add_u32 s10, s0, s2
	s_addc_u32 s11, s1, s3
	s_add_u32 s0, s4, s24
	s_addc_u32 s1, s5, s25
	s_load_dwordx2 s[2:3], s[0:1], 0x0
	s_lshl_b64 s[4:5], s[8:9], 2
	v_cmp_gt_i32_e64 s[0:1], s28, v7
	v_mul_lo_u32 v8, s7, v7
	v_and_b32_e32 v2, 7, v3
	s_waitcnt lgkmcnt(0)
	s_add_u32 s2, s2, s4
	s_addc_u32 s3, s3, s5
	s_ashr_i32 s8, s29, 31
	v_mad_u64_u32 v[6:7], s[4:5], s6, v7, 0
	s_mul_i32 s4, s6, s8
	s_nop 0
	v_add3_u32 v7, v7, s4, v8
	v_lshrrev_b32_e32 v1, 3, v0
	v_lshl_add_u64 v[8:9], v[6:7], 2, s[2:3]
	v_lshlrev_b32_e32 v6, 2, v2
	v_add_u32_e32 v0, s30, v1
	v_lshl_or_b32 v1, v1, 5, v6
	v_add_u32_e32 v15, 0x400, v1
	v_ashrrev_i32_e32 v1, 31, v0
	v_cmp_gt_i32_e64 s[2:3], s28, v0
	v_lshl_add_u64 v[10:11], v[0:1], 2, s[10:11]
	v_mov_b32_e32 v0, 0x400
	v_mov_b32_e32 v13, 0
	v_lshlrev_b32_e32 v16, 2, v3
	v_lshl_add_u32 v17, v5, 5, v0
	s_mov_b64 s[4:5], 0
	v_mov_b32_e32 v0, v13
	v_mov_b32_e32 v1, v13
	;; [unrolled: 1-line block ×4, first 2 shown]
	s_branch .LBB455_6
.LBB455_5:                              ;   in Loop: Header=BB455_6 Depth=1
	s_or_b64 exec, exec, s[6:7]
	s_waitcnt vmcnt(0) lgkmcnt(0)
	ds_write_b32 v15, v18
	s_waitcnt lgkmcnt(0)
	s_barrier
	ds_read_b128 v[18:21], v17
	ds_read_b128 v[22:25], v17 offset:16
	ds_read2_b32 v[34:35], v16 offset1:16
	ds_read2_b32 v[36:37], v16 offset0:32 offset1:48
	ds_read2_b32 v[38:39], v16 offset0:64 offset1:80
	;; [unrolled: 1-line block ×4, first 2 shown]
	ds_read_b128 v[26:29], v17 offset:512
	ds_read_b128 v[30:33], v17 offset:528
	ds_read2_b32 v[44:45], v16 offset0:160 offset1:176
	ds_read2_b32 v[46:47], v16 offset0:192 offset1:208
	;; [unrolled: 1-line block ×3, first 2 shown]
	s_waitcnt lgkmcnt(9)
	v_pk_fma_f32 v[6:7], v[34:35], v[18:19], v[6:7] op_sel_hi:[1,0,1]
	v_mov_b32_e32 v12, v21
	s_waitcnt lgkmcnt(8)
	v_pk_fma_f32 v[6:7], v[36:37], v[18:19], v[6:7] op_sel:[0,1,0]
	s_waitcnt lgkmcnt(4)
	v_pk_fma_f32 v[0:1], v[34:35], v[26:27], v[0:1] op_sel_hi:[1,0,1]
	v_pk_fma_f32 v[6:7], v[38:39], v[20:21], v[6:7] op_sel_hi:[1,0,1]
	v_pk_fma_f32 v[0:1], v[36:37], v[26:27], v[0:1] op_sel:[0,1,0]
	v_pk_fma_f32 v[6:7], v[40:41], v[12:13], v[6:7] op_sel_hi:[1,0,1]
	v_mov_b32_e32 v12, v25
	v_pk_fma_f32 v[6:7], v[42:43], v[22:23], v[6:7] op_sel_hi:[1,0,1]
	v_pk_fma_f32 v[0:1], v[38:39], v[28:29], v[0:1] op_sel_hi:[1,0,1]
	s_waitcnt lgkmcnt(2)
	v_pk_fma_f32 v[6:7], v[44:45], v[22:23], v[6:7] op_sel:[0,1,0]
	s_add_u32 s4, s4, 8
	s_waitcnt lgkmcnt(1)
	v_pk_fma_f32 v[6:7], v[46:47], v[24:25], v[6:7] op_sel_hi:[1,0,1]
	s_addc_u32 s5, s5, 0
	s_waitcnt lgkmcnt(0)
	v_pk_fma_f32 v[6:7], v[48:49], v[12:13], v[6:7] op_sel_hi:[1,0,1]
	v_mov_b32_e32 v12, v29
	v_pk_fma_f32 v[0:1], v[40:41], v[12:13], v[0:1] op_sel_hi:[1,0,1]
	v_mov_b64_e32 v[18:19], s[4:5]
	v_pk_fma_f32 v[0:1], v[42:43], v[30:31], v[0:1] op_sel_hi:[1,0,1]
	v_mov_b32_e32 v12, v33
	v_pk_fma_f32 v[0:1], v[44:45], v[30:31], v[0:1] op_sel:[0,1,0]
	v_cmp_gt_i64_e32 vcc, s[20:21], v[18:19]
	v_pk_fma_f32 v[0:1], v[46:47], v[32:33], v[0:1] op_sel_hi:[1,0,1]
	s_nop 0
	v_pk_fma_f32 v[0:1], v[48:49], v[12:13], v[0:1] op_sel_hi:[1,0,1]
	s_barrier
	s_cbranch_vccz .LBB455_12
.LBB455_6:                              ; =>This Inner Loop Header: Depth=1
	v_mov_b32_e32 v18, 0
	s_and_saveexec_b64 s[6:7], s[0:1]
	s_cbranch_execz .LBB455_10
; %bb.7:                                ;   in Loop: Header=BB455_6 Depth=1
	v_add_u32_e32 v12, s4, v4
	v_cmp_gt_u64_e32 vcc, s[20:21], v[12:13]
	v_mov_b32_e32 v18, 0
	s_and_saveexec_b64 s[8:9], vcc
	s_cbranch_execz .LBB455_9
; %bb.8:                                ;   in Loop: Header=BB455_6 Depth=1
	v_lshl_add_u64 v[18:19], v[12:13], 2, v[8:9]
	flat_load_dword v18, v[18:19]
.LBB455_9:                              ;   in Loop: Header=BB455_6 Depth=1
	s_or_b64 exec, exec, s[8:9]
.LBB455_10:                             ;   in Loop: Header=BB455_6 Depth=1
	s_or_b64 exec, exec, s[6:7]
	v_add_u32_e32 v12, s4, v2
	v_cmp_gt_u64_e32 vcc, s[20:21], v[12:13]
	s_waitcnt vmcnt(0) lgkmcnt(0)
	ds_write_b32 v14, v18
	s_and_b64 s[8:9], vcc, s[2:3]
	v_mov_b32_e32 v18, 0
	s_and_saveexec_b64 s[6:7], s[8:9]
	s_cbranch_execz .LBB455_5
; %bb.11:                               ;   in Loop: Header=BB455_6 Depth=1
	v_mad_u64_u32 v[18:19], s[8:9], s16, v12, 0
	v_mov_b32_e32 v20, v19
	v_mad_u64_u32 v[20:21], s[8:9], s17, v12, v[20:21]
	v_mov_b32_e32 v19, v20
	v_lshl_add_u64 v[18:19], v[18:19], 2, v[10:11]
	flat_load_dword v18, v[18:19]
	s_branch .LBB455_5
.LBB455_12:
	s_lshl_b64 s[0:1], s[22:23], 2
	v_add_u32_e32 v10, s30, v5
	s_waitcnt lgkmcnt(0)
	s_add_u32 s4, s12, s0
	v_add_u32_e32 v2, s29, v3
	v_ashrrev_i32_e32 v3, 31, v10
	s_addc_u32 s5, s13, s1
	v_mul_lo_u32 v3, s14, v3
	v_mul_lo_u32 v8, s15, v10
	v_mad_u64_u32 v[4:5], s[0:1], s14, v10, 0
	v_add3_u32 v5, v5, v3, v8
	v_cmp_neq_f32_e64 s[0:1], s26, 0
	v_cmp_gt_i32_e64 s[2:3], s28, v10
	v_lshl_add_u64 v[8:9], v[4:5], 2, s[4:5]
	v_cmp_le_i32_e32 vcc, v2, v10
	v_cndmask_b32_e64 v4, 0, 1, s[0:1]
	s_and_b64 s[8:9], s[2:3], vcc
	v_ashrrev_i32_e32 v3, 31, v2
	v_cmp_ne_u32_e64 s[0:1], 1, v4
	s_and_saveexec_b64 s[6:7], s[8:9]
	s_cbranch_execz .LBB455_16
; %bb.13:
	v_mul_f32_e32 v6, s27, v6
	s_and_b64 vcc, exec, s[0:1]
	v_lshl_add_u64 v[4:5], v[2:3], 2, v[8:9]
	s_cbranch_vccnz .LBB455_15
; %bb.14:
	flat_load_dword v11, v[4:5]
	s_waitcnt vmcnt(0) lgkmcnt(0)
	v_fmac_f32_e32 v6, s26, v11
.LBB455_15:
	flat_store_dword v[4:5], v6
.LBB455_16:
	s_or_b64 exec, exec, s[6:7]
	v_add_u32_e32 v4, 16, v2
	v_cmp_le_i32_e32 vcc, v4, v10
	s_and_b64 s[6:7], s[2:3], vcc
	v_ashrrev_i32_e32 v5, 31, v4
	s_and_saveexec_b64 s[2:3], s[6:7]
	s_cbranch_execz .LBB455_20
; %bb.17:
	v_mul_f32_e32 v11, s27, v7
	s_and_b64 vcc, exec, s[0:1]
	v_lshl_add_u64 v[6:7], v[4:5], 2, v[8:9]
	s_cbranch_vccnz .LBB455_19
; %bb.18:
	flat_load_dword v8, v[6:7]
	s_waitcnt vmcnt(0) lgkmcnt(0)
	v_fmac_f32_e32 v11, s26, v8
.LBB455_19:
	flat_store_dword v[6:7], v11
.LBB455_20:
	s_or_b64 exec, exec, s[2:3]
	v_add_u32_e32 v8, 16, v10
	v_ashrrev_i32_e32 v6, 31, v8
	v_mul_lo_u32 v9, s14, v6
	v_mul_lo_u32 v10, s15, v8
	v_mad_u64_u32 v[6:7], s[6:7], s14, v8, 0
	v_cmp_gt_i32_e64 s[2:3], s28, v8
	v_add3_u32 v7, v7, v9, v10
	v_cmp_le_i32_e32 vcc, v2, v8
	v_lshl_add_u64 v[6:7], v[6:7], 2, s[4:5]
	s_and_b64 s[6:7], s[2:3], vcc
	s_and_saveexec_b64 s[4:5], s[6:7]
	s_cbranch_execz .LBB455_24
; %bb.21:
	v_mul_f32_e32 v0, s27, v0
	s_and_b64 vcc, exec, s[0:1]
	v_lshl_add_u64 v[2:3], v[2:3], 2, v[6:7]
	s_cbranch_vccnz .LBB455_23
; %bb.22:
	flat_load_dword v9, v[2:3]
	s_waitcnt vmcnt(0) lgkmcnt(0)
	v_fmac_f32_e32 v0, s26, v9
.LBB455_23:
	flat_store_dword v[2:3], v0
.LBB455_24:
	s_or_b64 exec, exec, s[4:5]
	v_cmp_le_i32_e32 vcc, v4, v8
	s_and_b64 s[2:3], s[2:3], vcc
	s_and_saveexec_b64 s[4:5], s[2:3]
	s_cbranch_execz .LBB455_28
; %bb.25:
	v_mul_f32_e32 v2, s27, v1
	s_and_b64 vcc, exec, s[0:1]
	v_lshl_add_u64 v[0:1], v[4:5], 2, v[6:7]
	s_cbranch_vccnz .LBB455_27
; %bb.26:
	flat_load_dword v3, v[0:1]
	s_waitcnt vmcnt(0) lgkmcnt(0)
	v_fmac_f32_e32 v2, s26, v3
.LBB455_27:
	flat_store_dword v[0:1], v2
.LBB455_28:
	s_endpgm
	.section	.rodata,"a",@progbits
	.p2align	6, 0x0
	.amdhsa_kernel _ZL29rocblas_internal_gemmt_kernelIlLi16ELi32ELi8ELc84ELc67ELc85ELb0ELb0EffPKPKfPKPfEviT_T9_T10_S7_lS9_S7_lS8_T11_S7_li
		.amdhsa_group_segment_fixed_size 2048
		.amdhsa_private_segment_fixed_size 0
		.amdhsa_kernarg_size 108
		.amdhsa_user_sgpr_count 2
		.amdhsa_user_sgpr_dispatch_ptr 0
		.amdhsa_user_sgpr_queue_ptr 0
		.amdhsa_user_sgpr_kernarg_segment_ptr 1
		.amdhsa_user_sgpr_dispatch_id 0
		.amdhsa_user_sgpr_kernarg_preload_length 0
		.amdhsa_user_sgpr_kernarg_preload_offset 0
		.amdhsa_user_sgpr_private_segment_size 0
		.amdhsa_uses_dynamic_stack 0
		.amdhsa_enable_private_segment 0
		.amdhsa_system_sgpr_workgroup_id_x 1
		.amdhsa_system_sgpr_workgroup_id_y 1
		.amdhsa_system_sgpr_workgroup_id_z 1
		.amdhsa_system_sgpr_workgroup_info 0
		.amdhsa_system_vgpr_workitem_id 1
		.amdhsa_next_free_vgpr 50
		.amdhsa_next_free_sgpr 31
		.amdhsa_accum_offset 52
		.amdhsa_reserve_vcc 1
		.amdhsa_float_round_mode_32 0
		.amdhsa_float_round_mode_16_64 0
		.amdhsa_float_denorm_mode_32 3
		.amdhsa_float_denorm_mode_16_64 3
		.amdhsa_dx10_clamp 1
		.amdhsa_ieee_mode 1
		.amdhsa_fp16_overflow 0
		.amdhsa_tg_split 0
		.amdhsa_exception_fp_ieee_invalid_op 0
		.amdhsa_exception_fp_denorm_src 0
		.amdhsa_exception_fp_ieee_div_zero 0
		.amdhsa_exception_fp_ieee_overflow 0
		.amdhsa_exception_fp_ieee_underflow 0
		.amdhsa_exception_fp_ieee_inexact 0
		.amdhsa_exception_int_div_zero 0
	.end_amdhsa_kernel
	.section	.text._ZL29rocblas_internal_gemmt_kernelIlLi16ELi32ELi8ELc84ELc67ELc85ELb0ELb0EffPKPKfPKPfEviT_T9_T10_S7_lS9_S7_lS8_T11_S7_li,"axG",@progbits,_ZL29rocblas_internal_gemmt_kernelIlLi16ELi32ELi8ELc84ELc67ELc85ELb0ELb0EffPKPKfPKPfEviT_T9_T10_S7_lS9_S7_lS8_T11_S7_li,comdat
.Lfunc_end455:
	.size	_ZL29rocblas_internal_gemmt_kernelIlLi16ELi32ELi8ELc84ELc67ELc85ELb0ELb0EffPKPKfPKPfEviT_T9_T10_S7_lS9_S7_lS8_T11_S7_li, .Lfunc_end455-_ZL29rocblas_internal_gemmt_kernelIlLi16ELi32ELi8ELc84ELc67ELc85ELb0ELb0EffPKPKfPKPfEviT_T9_T10_S7_lS9_S7_lS8_T11_S7_li
                                        ; -- End function
	.set _ZL29rocblas_internal_gemmt_kernelIlLi16ELi32ELi8ELc84ELc67ELc85ELb0ELb0EffPKPKfPKPfEviT_T9_T10_S7_lS9_S7_lS8_T11_S7_li.num_vgpr, 50
	.set _ZL29rocblas_internal_gemmt_kernelIlLi16ELi32ELi8ELc84ELc67ELc85ELb0ELb0EffPKPKfPKPfEviT_T9_T10_S7_lS9_S7_lS8_T11_S7_li.num_agpr, 0
	.set _ZL29rocblas_internal_gemmt_kernelIlLi16ELi32ELi8ELc84ELc67ELc85ELb0ELb0EffPKPKfPKPfEviT_T9_T10_S7_lS9_S7_lS8_T11_S7_li.numbered_sgpr, 31
	.set _ZL29rocblas_internal_gemmt_kernelIlLi16ELi32ELi8ELc84ELc67ELc85ELb0ELb0EffPKPKfPKPfEviT_T9_T10_S7_lS9_S7_lS8_T11_S7_li.num_named_barrier, 0
	.set _ZL29rocblas_internal_gemmt_kernelIlLi16ELi32ELi8ELc84ELc67ELc85ELb0ELb0EffPKPKfPKPfEviT_T9_T10_S7_lS9_S7_lS8_T11_S7_li.private_seg_size, 0
	.set _ZL29rocblas_internal_gemmt_kernelIlLi16ELi32ELi8ELc84ELc67ELc85ELb0ELb0EffPKPKfPKPfEviT_T9_T10_S7_lS9_S7_lS8_T11_S7_li.uses_vcc, 1
	.set _ZL29rocblas_internal_gemmt_kernelIlLi16ELi32ELi8ELc84ELc67ELc85ELb0ELb0EffPKPKfPKPfEviT_T9_T10_S7_lS9_S7_lS8_T11_S7_li.uses_flat_scratch, 0
	.set _ZL29rocblas_internal_gemmt_kernelIlLi16ELi32ELi8ELc84ELc67ELc85ELb0ELb0EffPKPKfPKPfEviT_T9_T10_S7_lS9_S7_lS8_T11_S7_li.has_dyn_sized_stack, 0
	.set _ZL29rocblas_internal_gemmt_kernelIlLi16ELi32ELi8ELc84ELc67ELc85ELb0ELb0EffPKPKfPKPfEviT_T9_T10_S7_lS9_S7_lS8_T11_S7_li.has_recursion, 0
	.set _ZL29rocblas_internal_gemmt_kernelIlLi16ELi32ELi8ELc84ELc67ELc85ELb0ELb0EffPKPKfPKPfEviT_T9_T10_S7_lS9_S7_lS8_T11_S7_li.has_indirect_call, 0
	.section	.AMDGPU.csdata,"",@progbits
; Kernel info:
; codeLenInByte = 1336
; TotalNumSgprs: 37
; NumVgprs: 50
; NumAgprs: 0
; TotalNumVgprs: 50
; ScratchSize: 0
; MemoryBound: 0
; FloatMode: 240
; IeeeMode: 1
; LDSByteSize: 2048 bytes/workgroup (compile time only)
; SGPRBlocks: 4
; VGPRBlocks: 6
; NumSGPRsForWavesPerEU: 37
; NumVGPRsForWavesPerEU: 50
; AccumOffset: 52
; Occupancy: 8
; WaveLimiterHint : 1
; COMPUTE_PGM_RSRC2:SCRATCH_EN: 0
; COMPUTE_PGM_RSRC2:USER_SGPR: 2
; COMPUTE_PGM_RSRC2:TRAP_HANDLER: 0
; COMPUTE_PGM_RSRC2:TGID_X_EN: 1
; COMPUTE_PGM_RSRC2:TGID_Y_EN: 1
; COMPUTE_PGM_RSRC2:TGID_Z_EN: 1
; COMPUTE_PGM_RSRC2:TIDIG_COMP_CNT: 1
; COMPUTE_PGM_RSRC3_GFX90A:ACCUM_OFFSET: 12
; COMPUTE_PGM_RSRC3_GFX90A:TG_SPLIT: 0
	.section	.text._ZL29rocblas_internal_gemmt_kernelIlLi16ELi32ELi8ELc67ELc78ELc85ELb0ELb0EffPKPKfPKPfEviT_T9_T10_S7_lS9_S7_lS8_T11_S7_li,"axG",@progbits,_ZL29rocblas_internal_gemmt_kernelIlLi16ELi32ELi8ELc67ELc78ELc85ELb0ELb0EffPKPKfPKPfEviT_T9_T10_S7_lS9_S7_lS8_T11_S7_li,comdat
	.globl	_ZL29rocblas_internal_gemmt_kernelIlLi16ELi32ELi8ELc67ELc78ELc85ELb0ELb0EffPKPKfPKPfEviT_T9_T10_S7_lS9_S7_lS8_T11_S7_li ; -- Begin function _ZL29rocblas_internal_gemmt_kernelIlLi16ELi32ELi8ELc67ELc78ELc85ELb0ELb0EffPKPKfPKPfEviT_T9_T10_S7_lS9_S7_lS8_T11_S7_li
	.p2align	8
	.type	_ZL29rocblas_internal_gemmt_kernelIlLi16ELi32ELi8ELc67ELc78ELc85ELb0ELb0EffPKPKfPKPfEviT_T9_T10_S7_lS9_S7_lS8_T11_S7_li,@function
_ZL29rocblas_internal_gemmt_kernelIlLi16ELi32ELi8ELc67ELc78ELc85ELb0ELb0EffPKPKfPKPfEviT_T9_T10_S7_lS9_S7_lS8_T11_S7_li: ; @_ZL29rocblas_internal_gemmt_kernelIlLi16ELi32ELi8ELc67ELc78ELc85ELb0ELb0EffPKPKfPKPfEviT_T9_T10_S7_lS9_S7_lS8_T11_S7_li
; %bb.0:
	s_load_dword s26, s[0:1], 0x48
	s_load_dwordx2 s[20:21], s[0:1], 0x8
	s_load_dword s27, s[0:1], 0x10
	s_waitcnt lgkmcnt(0)
	v_cmp_neq_f32_e64 s[6:7], s26, 1.0
	s_and_b64 vcc, exec, s[6:7]
	s_cbranch_vccnz .LBB456_2
; %bb.1:
	s_cmp_lg_u64 s[20:21], 0
	s_cselect_b64 s[6:7], -1, 0
	v_cmp_neq_f32_e64 s[8:9], s27, 0
	s_and_b64 s[6:7], s[6:7], s[8:9]
.LBB456_2:
	s_andn2_b64 vcc, exec, s[6:7]
	s_cbranch_vccnz .LBB456_28
; %bb.3:
	s_load_dwordx2 s[22:23], s[0:1], 0x60
	s_load_dword s28, s[0:1], 0x0
	s_load_dwordx4 s[12:15], s[0:1], 0x50
	s_mov_b32 s5, 0
	s_lshl_b64 s[24:25], s[4:5], 3
	v_mov_b32_e32 v7, 0
	v_and_b32_e32 v3, 0x3ff, v0
	s_waitcnt lgkmcnt(0)
	s_add_u32 s4, s12, s24
	s_addc_u32 s5, s13, s25
	s_load_dwordx2 s[12:13], s[4:5], 0x0
	s_lshl_b32 s29, s2, 5
	s_lshl_b32 s30, s3, 5
	v_cmp_eq_f32_e64 s[2:3], s27, 0
	v_cmp_lt_i64_e64 s[4:5], s[20:21], 1
	s_or_b64 s[2:3], s[2:3], s[4:5]
	v_bfe_u32 v5, v0, 10, 10
	s_and_b64 vcc, exec, s[2:3]
	v_mov_b32_e32 v6, v7
	v_mov_b32_e32 v1, v7
	;; [unrolled: 1-line block ×3, first 2 shown]
	s_cbranch_vccnz .LBB456_12
; %bb.4:
	s_load_dwordx8 s[4:11], s[0:1], 0x18
	s_load_dwordx4 s[16:19], s[0:1], 0x38
	v_lshl_add_u32 v0, v5, 4, v3
	v_lshrrev_b32_e32 v4, 5, v0
	v_lshrrev_b32_e32 v6, 3, v0
	s_waitcnt lgkmcnt(0)
	s_add_u32 s0, s10, s24
	s_addc_u32 s1, s11, s25
	s_load_dwordx2 s[0:1], s[0:1], 0x0
	s_lshl_b64 s[2:3], s[18:19], 2
	v_and_b32_e32 v0, 31, v0
	v_or_b32_e32 v1, s29, v0
	v_lshlrev_b32_e32 v0, 2, v0
	s_waitcnt lgkmcnt(0)
	s_add_u32 s10, s0, s2
	s_addc_u32 s11, s1, s3
	s_add_u32 s0, s4, s24
	s_addc_u32 s1, s5, s25
	s_load_dwordx2 s[2:3], s[0:1], 0x0
	s_lshl_b64 s[4:5], s[8:9], 2
	v_cmp_gt_i32_e64 s[0:1], s28, v1
	v_lshl_or_b32 v14, v4, 7, v0
	v_mul_lo_u32 v8, s7, v1
	s_waitcnt lgkmcnt(0)
	s_add_u32 s2, s2, s4
	s_addc_u32 s3, s3, s5
	s_ashr_i32 s8, s29, 31
	v_mad_u64_u32 v[0:1], s[4:5], s6, v1, 0
	s_mul_i32 s4, s6, s8
	v_and_b32_e32 v2, 7, v3
	v_add3_u32 v1, v1, s4, v8
	v_lshl_add_u64 v[8:9], v[0:1], 2, s[2:3]
	v_lshlrev_b32_e32 v0, 2, v2
	v_add_u32_e32 v7, s30, v6
	v_lshl_or_b32 v0, v6, 5, v0
	v_add_u32_e32 v15, 0x400, v0
	v_ashrrev_i32_e32 v0, 31, v7
	v_mul_lo_u32 v6, s16, v0
	v_mul_lo_u32 v10, s17, v7
	v_mad_u64_u32 v[0:1], s[4:5], s16, v7, 0
	v_add3_u32 v1, v1, v6, v10
	v_lshl_add_u64 v[10:11], v[0:1], 2, s[10:11]
	v_mov_b32_e32 v0, 0x400
	v_mov_b32_e32 v13, 0
	v_cmp_gt_i32_e64 s[2:3], s28, v7
	v_lshlrev_b32_e32 v16, 2, v3
	v_lshl_add_u32 v17, v5, 5, v0
	s_mov_b64 s[4:5], 0
	v_mov_b32_e32 v0, v13
	v_mov_b32_e32 v1, v13
	;; [unrolled: 1-line block ×4, first 2 shown]
	s_branch .LBB456_6
.LBB456_5:                              ;   in Loop: Header=BB456_6 Depth=1
	s_or_b64 exec, exec, s[6:7]
	s_waitcnt vmcnt(0) lgkmcnt(0)
	ds_write_b32 v15, v18
	s_waitcnt lgkmcnt(0)
	s_barrier
	ds_read_b128 v[18:21], v17
	ds_read_b128 v[22:25], v17 offset:16
	ds_read2_b32 v[34:35], v16 offset1:16
	ds_read2_b32 v[36:37], v16 offset0:32 offset1:48
	ds_read2_b32 v[38:39], v16 offset0:64 offset1:80
	;; [unrolled: 1-line block ×4, first 2 shown]
	ds_read_b128 v[26:29], v17 offset:512
	ds_read_b128 v[30:33], v17 offset:528
	ds_read2_b32 v[44:45], v16 offset0:160 offset1:176
	ds_read2_b32 v[46:47], v16 offset0:192 offset1:208
	;; [unrolled: 1-line block ×3, first 2 shown]
	s_waitcnt lgkmcnt(9)
	v_pk_fma_f32 v[6:7], v[34:35], v[18:19], v[6:7] op_sel_hi:[1,0,1]
	v_mov_b32_e32 v12, v21
	s_waitcnt lgkmcnt(8)
	v_pk_fma_f32 v[6:7], v[36:37], v[18:19], v[6:7] op_sel:[0,1,0]
	s_waitcnt lgkmcnt(4)
	v_pk_fma_f32 v[0:1], v[34:35], v[26:27], v[0:1] op_sel_hi:[1,0,1]
	v_pk_fma_f32 v[6:7], v[38:39], v[20:21], v[6:7] op_sel_hi:[1,0,1]
	v_pk_fma_f32 v[0:1], v[36:37], v[26:27], v[0:1] op_sel:[0,1,0]
	v_pk_fma_f32 v[6:7], v[40:41], v[12:13], v[6:7] op_sel_hi:[1,0,1]
	v_mov_b32_e32 v12, v25
	v_pk_fma_f32 v[6:7], v[42:43], v[22:23], v[6:7] op_sel_hi:[1,0,1]
	v_pk_fma_f32 v[0:1], v[38:39], v[28:29], v[0:1] op_sel_hi:[1,0,1]
	s_waitcnt lgkmcnt(2)
	v_pk_fma_f32 v[6:7], v[44:45], v[22:23], v[6:7] op_sel:[0,1,0]
	s_add_u32 s4, s4, 8
	s_waitcnt lgkmcnt(1)
	v_pk_fma_f32 v[6:7], v[46:47], v[24:25], v[6:7] op_sel_hi:[1,0,1]
	s_addc_u32 s5, s5, 0
	s_waitcnt lgkmcnt(0)
	v_pk_fma_f32 v[6:7], v[48:49], v[12:13], v[6:7] op_sel_hi:[1,0,1]
	v_mov_b32_e32 v12, v29
	v_pk_fma_f32 v[0:1], v[40:41], v[12:13], v[0:1] op_sel_hi:[1,0,1]
	v_mov_b64_e32 v[18:19], s[4:5]
	v_pk_fma_f32 v[0:1], v[42:43], v[30:31], v[0:1] op_sel_hi:[1,0,1]
	v_mov_b32_e32 v12, v33
	v_pk_fma_f32 v[0:1], v[44:45], v[30:31], v[0:1] op_sel:[0,1,0]
	v_cmp_gt_i64_e32 vcc, s[20:21], v[18:19]
	v_pk_fma_f32 v[0:1], v[46:47], v[32:33], v[0:1] op_sel_hi:[1,0,1]
	s_nop 0
	v_pk_fma_f32 v[0:1], v[48:49], v[12:13], v[0:1] op_sel_hi:[1,0,1]
	s_barrier
	s_cbranch_vccz .LBB456_12
.LBB456_6:                              ; =>This Inner Loop Header: Depth=1
	v_mov_b32_e32 v18, 0
	s_and_saveexec_b64 s[6:7], s[0:1]
	s_cbranch_execz .LBB456_10
; %bb.7:                                ;   in Loop: Header=BB456_6 Depth=1
	v_add_u32_e32 v12, s4, v4
	v_cmp_gt_u64_e32 vcc, s[20:21], v[12:13]
	v_mov_b32_e32 v18, 0
	s_and_saveexec_b64 s[8:9], vcc
	s_cbranch_execz .LBB456_9
; %bb.8:                                ;   in Loop: Header=BB456_6 Depth=1
	v_lshl_add_u64 v[18:19], v[12:13], 2, v[8:9]
	flat_load_dword v18, v[18:19]
.LBB456_9:                              ;   in Loop: Header=BB456_6 Depth=1
	s_or_b64 exec, exec, s[8:9]
.LBB456_10:                             ;   in Loop: Header=BB456_6 Depth=1
	s_or_b64 exec, exec, s[6:7]
	v_add_u32_e32 v12, s4, v2
	v_cmp_gt_u64_e32 vcc, s[20:21], v[12:13]
	s_waitcnt vmcnt(0) lgkmcnt(0)
	ds_write_b32 v14, v18
	s_and_b64 s[8:9], vcc, s[2:3]
	v_mov_b32_e32 v18, 0
	s_and_saveexec_b64 s[6:7], s[8:9]
	s_cbranch_execz .LBB456_5
; %bb.11:                               ;   in Loop: Header=BB456_6 Depth=1
	v_lshl_add_u64 v[18:19], v[12:13], 2, v[10:11]
	flat_load_dword v18, v[18:19]
	s_branch .LBB456_5
.LBB456_12:
	s_lshl_b64 s[0:1], s[22:23], 2
	v_add_u32_e32 v10, s30, v5
	s_waitcnt lgkmcnt(0)
	s_add_u32 s4, s12, s0
	v_add_u32_e32 v2, s29, v3
	v_ashrrev_i32_e32 v3, 31, v10
	s_addc_u32 s5, s13, s1
	v_mul_lo_u32 v3, s14, v3
	v_mul_lo_u32 v8, s15, v10
	v_mad_u64_u32 v[4:5], s[0:1], s14, v10, 0
	v_add3_u32 v5, v5, v3, v8
	v_cmp_neq_f32_e64 s[0:1], s26, 0
	v_cmp_gt_i32_e64 s[2:3], s28, v10
	v_lshl_add_u64 v[8:9], v[4:5], 2, s[4:5]
	v_cmp_le_i32_e32 vcc, v2, v10
	v_cndmask_b32_e64 v4, 0, 1, s[0:1]
	s_and_b64 s[8:9], s[2:3], vcc
	v_ashrrev_i32_e32 v3, 31, v2
	v_cmp_ne_u32_e64 s[0:1], 1, v4
	s_and_saveexec_b64 s[6:7], s[8:9]
	s_cbranch_execz .LBB456_16
; %bb.13:
	v_mul_f32_e32 v6, s27, v6
	s_and_b64 vcc, exec, s[0:1]
	v_lshl_add_u64 v[4:5], v[2:3], 2, v[8:9]
	s_cbranch_vccnz .LBB456_15
; %bb.14:
	flat_load_dword v11, v[4:5]
	s_waitcnt vmcnt(0) lgkmcnt(0)
	v_fmac_f32_e32 v6, s26, v11
.LBB456_15:
	flat_store_dword v[4:5], v6
.LBB456_16:
	s_or_b64 exec, exec, s[6:7]
	v_add_u32_e32 v4, 16, v2
	v_cmp_le_i32_e32 vcc, v4, v10
	s_and_b64 s[6:7], s[2:3], vcc
	v_ashrrev_i32_e32 v5, 31, v4
	s_and_saveexec_b64 s[2:3], s[6:7]
	s_cbranch_execz .LBB456_20
; %bb.17:
	v_mul_f32_e32 v11, s27, v7
	s_and_b64 vcc, exec, s[0:1]
	v_lshl_add_u64 v[6:7], v[4:5], 2, v[8:9]
	s_cbranch_vccnz .LBB456_19
; %bb.18:
	flat_load_dword v8, v[6:7]
	s_waitcnt vmcnt(0) lgkmcnt(0)
	v_fmac_f32_e32 v11, s26, v8
.LBB456_19:
	flat_store_dword v[6:7], v11
.LBB456_20:
	s_or_b64 exec, exec, s[2:3]
	v_add_u32_e32 v8, 16, v10
	v_ashrrev_i32_e32 v6, 31, v8
	v_mul_lo_u32 v9, s14, v6
	v_mul_lo_u32 v10, s15, v8
	v_mad_u64_u32 v[6:7], s[6:7], s14, v8, 0
	v_cmp_gt_i32_e64 s[2:3], s28, v8
	v_add3_u32 v7, v7, v9, v10
	v_cmp_le_i32_e32 vcc, v2, v8
	v_lshl_add_u64 v[6:7], v[6:7], 2, s[4:5]
	s_and_b64 s[6:7], s[2:3], vcc
	s_and_saveexec_b64 s[4:5], s[6:7]
	s_cbranch_execz .LBB456_24
; %bb.21:
	v_mul_f32_e32 v0, s27, v0
	s_and_b64 vcc, exec, s[0:1]
	v_lshl_add_u64 v[2:3], v[2:3], 2, v[6:7]
	s_cbranch_vccnz .LBB456_23
; %bb.22:
	flat_load_dword v9, v[2:3]
	s_waitcnt vmcnt(0) lgkmcnt(0)
	v_fmac_f32_e32 v0, s26, v9
.LBB456_23:
	flat_store_dword v[2:3], v0
.LBB456_24:
	s_or_b64 exec, exec, s[4:5]
	v_cmp_le_i32_e32 vcc, v4, v8
	s_and_b64 s[2:3], s[2:3], vcc
	s_and_saveexec_b64 s[4:5], s[2:3]
	s_cbranch_execz .LBB456_28
; %bb.25:
	v_mul_f32_e32 v2, s27, v1
	s_and_b64 vcc, exec, s[0:1]
	v_lshl_add_u64 v[0:1], v[4:5], 2, v[6:7]
	s_cbranch_vccnz .LBB456_27
; %bb.26:
	flat_load_dword v3, v[0:1]
	s_waitcnt vmcnt(0) lgkmcnt(0)
	v_fmac_f32_e32 v2, s26, v3
.LBB456_27:
	flat_store_dword v[0:1], v2
.LBB456_28:
	s_endpgm
	.section	.rodata,"a",@progbits
	.p2align	6, 0x0
	.amdhsa_kernel _ZL29rocblas_internal_gemmt_kernelIlLi16ELi32ELi8ELc67ELc78ELc85ELb0ELb0EffPKPKfPKPfEviT_T9_T10_S7_lS9_S7_lS8_T11_S7_li
		.amdhsa_group_segment_fixed_size 2048
		.amdhsa_private_segment_fixed_size 0
		.amdhsa_kernarg_size 108
		.amdhsa_user_sgpr_count 2
		.amdhsa_user_sgpr_dispatch_ptr 0
		.amdhsa_user_sgpr_queue_ptr 0
		.amdhsa_user_sgpr_kernarg_segment_ptr 1
		.amdhsa_user_sgpr_dispatch_id 0
		.amdhsa_user_sgpr_kernarg_preload_length 0
		.amdhsa_user_sgpr_kernarg_preload_offset 0
		.amdhsa_user_sgpr_private_segment_size 0
		.amdhsa_uses_dynamic_stack 0
		.amdhsa_enable_private_segment 0
		.amdhsa_system_sgpr_workgroup_id_x 1
		.amdhsa_system_sgpr_workgroup_id_y 1
		.amdhsa_system_sgpr_workgroup_id_z 1
		.amdhsa_system_sgpr_workgroup_info 0
		.amdhsa_system_vgpr_workitem_id 1
		.amdhsa_next_free_vgpr 50
		.amdhsa_next_free_sgpr 31
		.amdhsa_accum_offset 52
		.amdhsa_reserve_vcc 1
		.amdhsa_float_round_mode_32 0
		.amdhsa_float_round_mode_16_64 0
		.amdhsa_float_denorm_mode_32 3
		.amdhsa_float_denorm_mode_16_64 3
		.amdhsa_dx10_clamp 1
		.amdhsa_ieee_mode 1
		.amdhsa_fp16_overflow 0
		.amdhsa_tg_split 0
		.amdhsa_exception_fp_ieee_invalid_op 0
		.amdhsa_exception_fp_denorm_src 0
		.amdhsa_exception_fp_ieee_div_zero 0
		.amdhsa_exception_fp_ieee_overflow 0
		.amdhsa_exception_fp_ieee_underflow 0
		.amdhsa_exception_fp_ieee_inexact 0
		.amdhsa_exception_int_div_zero 0
	.end_amdhsa_kernel
	.section	.text._ZL29rocblas_internal_gemmt_kernelIlLi16ELi32ELi8ELc67ELc78ELc85ELb0ELb0EffPKPKfPKPfEviT_T9_T10_S7_lS9_S7_lS8_T11_S7_li,"axG",@progbits,_ZL29rocblas_internal_gemmt_kernelIlLi16ELi32ELi8ELc67ELc78ELc85ELb0ELb0EffPKPKfPKPfEviT_T9_T10_S7_lS9_S7_lS8_T11_S7_li,comdat
.Lfunc_end456:
	.size	_ZL29rocblas_internal_gemmt_kernelIlLi16ELi32ELi8ELc67ELc78ELc85ELb0ELb0EffPKPKfPKPfEviT_T9_T10_S7_lS9_S7_lS8_T11_S7_li, .Lfunc_end456-_ZL29rocblas_internal_gemmt_kernelIlLi16ELi32ELi8ELc67ELc78ELc85ELb0ELb0EffPKPKfPKPfEviT_T9_T10_S7_lS9_S7_lS8_T11_S7_li
                                        ; -- End function
	.set _ZL29rocblas_internal_gemmt_kernelIlLi16ELi32ELi8ELc67ELc78ELc85ELb0ELb0EffPKPKfPKPfEviT_T9_T10_S7_lS9_S7_lS8_T11_S7_li.num_vgpr, 50
	.set _ZL29rocblas_internal_gemmt_kernelIlLi16ELi32ELi8ELc67ELc78ELc85ELb0ELb0EffPKPKfPKPfEviT_T9_T10_S7_lS9_S7_lS8_T11_S7_li.num_agpr, 0
	.set _ZL29rocblas_internal_gemmt_kernelIlLi16ELi32ELi8ELc67ELc78ELc85ELb0ELb0EffPKPKfPKPfEviT_T9_T10_S7_lS9_S7_lS8_T11_S7_li.numbered_sgpr, 31
	.set _ZL29rocblas_internal_gemmt_kernelIlLi16ELi32ELi8ELc67ELc78ELc85ELb0ELb0EffPKPKfPKPfEviT_T9_T10_S7_lS9_S7_lS8_T11_S7_li.num_named_barrier, 0
	.set _ZL29rocblas_internal_gemmt_kernelIlLi16ELi32ELi8ELc67ELc78ELc85ELb0ELb0EffPKPKfPKPfEviT_T9_T10_S7_lS9_S7_lS8_T11_S7_li.private_seg_size, 0
	.set _ZL29rocblas_internal_gemmt_kernelIlLi16ELi32ELi8ELc67ELc78ELc85ELb0ELb0EffPKPKfPKPfEviT_T9_T10_S7_lS9_S7_lS8_T11_S7_li.uses_vcc, 1
	.set _ZL29rocblas_internal_gemmt_kernelIlLi16ELi32ELi8ELc67ELc78ELc85ELb0ELb0EffPKPKfPKPfEviT_T9_T10_S7_lS9_S7_lS8_T11_S7_li.uses_flat_scratch, 0
	.set _ZL29rocblas_internal_gemmt_kernelIlLi16ELi32ELi8ELc67ELc78ELc85ELb0ELb0EffPKPKfPKPfEviT_T9_T10_S7_lS9_S7_lS8_T11_S7_li.has_dyn_sized_stack, 0
	.set _ZL29rocblas_internal_gemmt_kernelIlLi16ELi32ELi8ELc67ELc78ELc85ELb0ELb0EffPKPKfPKPfEviT_T9_T10_S7_lS9_S7_lS8_T11_S7_li.has_recursion, 0
	.set _ZL29rocblas_internal_gemmt_kernelIlLi16ELi32ELi8ELc67ELc78ELc85ELb0ELb0EffPKPKfPKPfEviT_T9_T10_S7_lS9_S7_lS8_T11_S7_li.has_indirect_call, 0
	.section	.AMDGPU.csdata,"",@progbits
; Kernel info:
; codeLenInByte = 1340
; TotalNumSgprs: 37
; NumVgprs: 50
; NumAgprs: 0
; TotalNumVgprs: 50
; ScratchSize: 0
; MemoryBound: 0
; FloatMode: 240
; IeeeMode: 1
; LDSByteSize: 2048 bytes/workgroup (compile time only)
; SGPRBlocks: 4
; VGPRBlocks: 6
; NumSGPRsForWavesPerEU: 37
; NumVGPRsForWavesPerEU: 50
; AccumOffset: 52
; Occupancy: 8
; WaveLimiterHint : 1
; COMPUTE_PGM_RSRC2:SCRATCH_EN: 0
; COMPUTE_PGM_RSRC2:USER_SGPR: 2
; COMPUTE_PGM_RSRC2:TRAP_HANDLER: 0
; COMPUTE_PGM_RSRC2:TGID_X_EN: 1
; COMPUTE_PGM_RSRC2:TGID_Y_EN: 1
; COMPUTE_PGM_RSRC2:TGID_Z_EN: 1
; COMPUTE_PGM_RSRC2:TIDIG_COMP_CNT: 1
; COMPUTE_PGM_RSRC3_GFX90A:ACCUM_OFFSET: 12
; COMPUTE_PGM_RSRC3_GFX90A:TG_SPLIT: 0
	.section	.text._ZL29rocblas_internal_gemmt_kernelIlLi16ELi32ELi8ELc67ELc84ELc85ELb0ELb0EffPKPKfPKPfEviT_T9_T10_S7_lS9_S7_lS8_T11_S7_li,"axG",@progbits,_ZL29rocblas_internal_gemmt_kernelIlLi16ELi32ELi8ELc67ELc84ELc85ELb0ELb0EffPKPKfPKPfEviT_T9_T10_S7_lS9_S7_lS8_T11_S7_li,comdat
	.globl	_ZL29rocblas_internal_gemmt_kernelIlLi16ELi32ELi8ELc67ELc84ELc85ELb0ELb0EffPKPKfPKPfEviT_T9_T10_S7_lS9_S7_lS8_T11_S7_li ; -- Begin function _ZL29rocblas_internal_gemmt_kernelIlLi16ELi32ELi8ELc67ELc84ELc85ELb0ELb0EffPKPKfPKPfEviT_T9_T10_S7_lS9_S7_lS8_T11_S7_li
	.p2align	8
	.type	_ZL29rocblas_internal_gemmt_kernelIlLi16ELi32ELi8ELc67ELc84ELc85ELb0ELb0EffPKPKfPKPfEviT_T9_T10_S7_lS9_S7_lS8_T11_S7_li,@function
_ZL29rocblas_internal_gemmt_kernelIlLi16ELi32ELi8ELc67ELc84ELc85ELb0ELb0EffPKPKfPKPfEviT_T9_T10_S7_lS9_S7_lS8_T11_S7_li: ; @_ZL29rocblas_internal_gemmt_kernelIlLi16ELi32ELi8ELc67ELc84ELc85ELb0ELb0EffPKPKfPKPfEviT_T9_T10_S7_lS9_S7_lS8_T11_S7_li
; %bb.0:
	s_load_dword s26, s[0:1], 0x48
	s_load_dwordx2 s[20:21], s[0:1], 0x8
	s_load_dword s27, s[0:1], 0x10
	s_waitcnt lgkmcnt(0)
	v_cmp_neq_f32_e64 s[6:7], s26, 1.0
	s_and_b64 vcc, exec, s[6:7]
	s_cbranch_vccnz .LBB457_2
; %bb.1:
	s_cmp_lg_u64 s[20:21], 0
	s_cselect_b64 s[6:7], -1, 0
	v_cmp_neq_f32_e64 s[8:9], s27, 0
	s_and_b64 s[6:7], s[6:7], s[8:9]
.LBB457_2:
	s_andn2_b64 vcc, exec, s[6:7]
	s_cbranch_vccnz .LBB457_28
; %bb.3:
	s_load_dwordx2 s[22:23], s[0:1], 0x60
	s_load_dword s28, s[0:1], 0x0
	s_load_dwordx4 s[12:15], s[0:1], 0x50
	s_mov_b32 s5, 0
	s_lshl_b64 s[24:25], s[4:5], 3
	v_mov_b32_e32 v7, 0
	v_and_b32_e32 v3, 0x3ff, v0
	s_waitcnt lgkmcnt(0)
	s_add_u32 s4, s12, s24
	s_addc_u32 s5, s13, s25
	s_load_dwordx2 s[12:13], s[4:5], 0x0
	s_lshl_b32 s29, s2, 5
	s_lshl_b32 s30, s3, 5
	v_cmp_eq_f32_e64 s[2:3], s27, 0
	v_cmp_lt_i64_e64 s[4:5], s[20:21], 1
	s_or_b64 s[2:3], s[2:3], s[4:5]
	v_bfe_u32 v5, v0, 10, 10
	s_and_b64 vcc, exec, s[2:3]
	v_mov_b32_e32 v6, v7
	v_mov_b32_e32 v1, v7
	;; [unrolled: 1-line block ×3, first 2 shown]
	s_cbranch_vccnz .LBB457_12
; %bb.4:
	s_load_dwordx8 s[4:11], s[0:1], 0x18
	s_load_dwordx4 s[16:19], s[0:1], 0x38
	v_lshl_add_u32 v0, v5, 4, v3
	v_and_b32_e32 v6, 31, v0
	v_lshrrev_b32_e32 v4, 5, v0
	s_waitcnt lgkmcnt(0)
	s_add_u32 s0, s10, s24
	s_addc_u32 s1, s11, s25
	s_load_dwordx2 s[0:1], s[0:1], 0x0
	s_lshl_b64 s[2:3], s[18:19], 2
	v_or_b32_e32 v7, s29, v6
	v_lshlrev_b32_e32 v6, 2, v6
	v_lshl_or_b32 v14, v4, 7, v6
	s_waitcnt lgkmcnt(0)
	s_add_u32 s10, s0, s2
	s_addc_u32 s11, s1, s3
	s_add_u32 s0, s4, s24
	s_addc_u32 s1, s5, s25
	s_load_dwordx2 s[2:3], s[0:1], 0x0
	s_lshl_b64 s[4:5], s[8:9], 2
	v_cmp_gt_i32_e64 s[0:1], s28, v7
	v_mul_lo_u32 v8, s7, v7
	v_and_b32_e32 v2, 7, v3
	s_waitcnt lgkmcnt(0)
	s_add_u32 s2, s2, s4
	s_addc_u32 s3, s3, s5
	s_ashr_i32 s8, s29, 31
	v_mad_u64_u32 v[6:7], s[4:5], s6, v7, 0
	s_mul_i32 s4, s6, s8
	s_nop 0
	v_add3_u32 v7, v7, s4, v8
	v_lshrrev_b32_e32 v1, 3, v0
	v_lshl_add_u64 v[8:9], v[6:7], 2, s[2:3]
	v_lshlrev_b32_e32 v6, 2, v2
	v_add_u32_e32 v0, s30, v1
	v_lshl_or_b32 v1, v1, 5, v6
	v_add_u32_e32 v15, 0x400, v1
	v_ashrrev_i32_e32 v1, 31, v0
	v_cmp_gt_i32_e64 s[2:3], s28, v0
	v_lshl_add_u64 v[10:11], v[0:1], 2, s[10:11]
	v_mov_b32_e32 v0, 0x400
	v_mov_b32_e32 v13, 0
	v_lshlrev_b32_e32 v16, 2, v3
	v_lshl_add_u32 v17, v5, 5, v0
	s_mov_b64 s[4:5], 0
	v_mov_b32_e32 v0, v13
	v_mov_b32_e32 v1, v13
	;; [unrolled: 1-line block ×4, first 2 shown]
	s_branch .LBB457_6
.LBB457_5:                              ;   in Loop: Header=BB457_6 Depth=1
	s_or_b64 exec, exec, s[6:7]
	s_waitcnt vmcnt(0) lgkmcnt(0)
	ds_write_b32 v15, v18
	s_waitcnt lgkmcnt(0)
	s_barrier
	ds_read_b128 v[18:21], v17
	ds_read_b128 v[22:25], v17 offset:16
	ds_read2_b32 v[34:35], v16 offset1:16
	ds_read2_b32 v[36:37], v16 offset0:32 offset1:48
	ds_read2_b32 v[38:39], v16 offset0:64 offset1:80
	;; [unrolled: 1-line block ×4, first 2 shown]
	ds_read_b128 v[26:29], v17 offset:512
	ds_read_b128 v[30:33], v17 offset:528
	ds_read2_b32 v[44:45], v16 offset0:160 offset1:176
	ds_read2_b32 v[46:47], v16 offset0:192 offset1:208
	;; [unrolled: 1-line block ×3, first 2 shown]
	s_waitcnt lgkmcnt(9)
	v_pk_fma_f32 v[6:7], v[34:35], v[18:19], v[6:7] op_sel_hi:[1,0,1]
	v_mov_b32_e32 v12, v21
	s_waitcnt lgkmcnt(8)
	v_pk_fma_f32 v[6:7], v[36:37], v[18:19], v[6:7] op_sel:[0,1,0]
	s_waitcnt lgkmcnt(4)
	v_pk_fma_f32 v[0:1], v[34:35], v[26:27], v[0:1] op_sel_hi:[1,0,1]
	v_pk_fma_f32 v[6:7], v[38:39], v[20:21], v[6:7] op_sel_hi:[1,0,1]
	v_pk_fma_f32 v[0:1], v[36:37], v[26:27], v[0:1] op_sel:[0,1,0]
	v_pk_fma_f32 v[6:7], v[40:41], v[12:13], v[6:7] op_sel_hi:[1,0,1]
	v_mov_b32_e32 v12, v25
	v_pk_fma_f32 v[6:7], v[42:43], v[22:23], v[6:7] op_sel_hi:[1,0,1]
	v_pk_fma_f32 v[0:1], v[38:39], v[28:29], v[0:1] op_sel_hi:[1,0,1]
	s_waitcnt lgkmcnt(2)
	v_pk_fma_f32 v[6:7], v[44:45], v[22:23], v[6:7] op_sel:[0,1,0]
	s_add_u32 s4, s4, 8
	s_waitcnt lgkmcnt(1)
	v_pk_fma_f32 v[6:7], v[46:47], v[24:25], v[6:7] op_sel_hi:[1,0,1]
	s_addc_u32 s5, s5, 0
	s_waitcnt lgkmcnt(0)
	v_pk_fma_f32 v[6:7], v[48:49], v[12:13], v[6:7] op_sel_hi:[1,0,1]
	v_mov_b32_e32 v12, v29
	v_pk_fma_f32 v[0:1], v[40:41], v[12:13], v[0:1] op_sel_hi:[1,0,1]
	v_mov_b64_e32 v[18:19], s[4:5]
	v_pk_fma_f32 v[0:1], v[42:43], v[30:31], v[0:1] op_sel_hi:[1,0,1]
	v_mov_b32_e32 v12, v33
	v_pk_fma_f32 v[0:1], v[44:45], v[30:31], v[0:1] op_sel:[0,1,0]
	v_cmp_gt_i64_e32 vcc, s[20:21], v[18:19]
	v_pk_fma_f32 v[0:1], v[46:47], v[32:33], v[0:1] op_sel_hi:[1,0,1]
	s_nop 0
	v_pk_fma_f32 v[0:1], v[48:49], v[12:13], v[0:1] op_sel_hi:[1,0,1]
	s_barrier
	s_cbranch_vccz .LBB457_12
.LBB457_6:                              ; =>This Inner Loop Header: Depth=1
	v_mov_b32_e32 v18, 0
	s_and_saveexec_b64 s[6:7], s[0:1]
	s_cbranch_execz .LBB457_10
; %bb.7:                                ;   in Loop: Header=BB457_6 Depth=1
	v_add_u32_e32 v12, s4, v4
	v_cmp_gt_u64_e32 vcc, s[20:21], v[12:13]
	v_mov_b32_e32 v18, 0
	s_and_saveexec_b64 s[8:9], vcc
	s_cbranch_execz .LBB457_9
; %bb.8:                                ;   in Loop: Header=BB457_6 Depth=1
	v_lshl_add_u64 v[18:19], v[12:13], 2, v[8:9]
	flat_load_dword v18, v[18:19]
.LBB457_9:                              ;   in Loop: Header=BB457_6 Depth=1
	s_or_b64 exec, exec, s[8:9]
.LBB457_10:                             ;   in Loop: Header=BB457_6 Depth=1
	s_or_b64 exec, exec, s[6:7]
	v_add_u32_e32 v12, s4, v2
	v_cmp_gt_u64_e32 vcc, s[20:21], v[12:13]
	s_waitcnt vmcnt(0) lgkmcnt(0)
	ds_write_b32 v14, v18
	s_and_b64 s[8:9], vcc, s[2:3]
	v_mov_b32_e32 v18, 0
	s_and_saveexec_b64 s[6:7], s[8:9]
	s_cbranch_execz .LBB457_5
; %bb.11:                               ;   in Loop: Header=BB457_6 Depth=1
	v_mad_u64_u32 v[18:19], s[8:9], s16, v12, 0
	v_mov_b32_e32 v20, v19
	v_mad_u64_u32 v[20:21], s[8:9], s17, v12, v[20:21]
	v_mov_b32_e32 v19, v20
	v_lshl_add_u64 v[18:19], v[18:19], 2, v[10:11]
	flat_load_dword v18, v[18:19]
	s_branch .LBB457_5
.LBB457_12:
	s_lshl_b64 s[0:1], s[22:23], 2
	v_add_u32_e32 v10, s30, v5
	s_waitcnt lgkmcnt(0)
	s_add_u32 s4, s12, s0
	v_add_u32_e32 v2, s29, v3
	v_ashrrev_i32_e32 v3, 31, v10
	s_addc_u32 s5, s13, s1
	v_mul_lo_u32 v3, s14, v3
	v_mul_lo_u32 v8, s15, v10
	v_mad_u64_u32 v[4:5], s[0:1], s14, v10, 0
	v_add3_u32 v5, v5, v3, v8
	v_cmp_neq_f32_e64 s[0:1], s26, 0
	v_cmp_gt_i32_e64 s[2:3], s28, v10
	v_lshl_add_u64 v[8:9], v[4:5], 2, s[4:5]
	v_cmp_le_i32_e32 vcc, v2, v10
	v_cndmask_b32_e64 v4, 0, 1, s[0:1]
	s_and_b64 s[8:9], s[2:3], vcc
	v_ashrrev_i32_e32 v3, 31, v2
	v_cmp_ne_u32_e64 s[0:1], 1, v4
	s_and_saveexec_b64 s[6:7], s[8:9]
	s_cbranch_execz .LBB457_16
; %bb.13:
	v_mul_f32_e32 v6, s27, v6
	s_and_b64 vcc, exec, s[0:1]
	v_lshl_add_u64 v[4:5], v[2:3], 2, v[8:9]
	s_cbranch_vccnz .LBB457_15
; %bb.14:
	flat_load_dword v11, v[4:5]
	s_waitcnt vmcnt(0) lgkmcnt(0)
	v_fmac_f32_e32 v6, s26, v11
.LBB457_15:
	flat_store_dword v[4:5], v6
.LBB457_16:
	s_or_b64 exec, exec, s[6:7]
	v_add_u32_e32 v4, 16, v2
	v_cmp_le_i32_e32 vcc, v4, v10
	s_and_b64 s[6:7], s[2:3], vcc
	v_ashrrev_i32_e32 v5, 31, v4
	s_and_saveexec_b64 s[2:3], s[6:7]
	s_cbranch_execz .LBB457_20
; %bb.17:
	v_mul_f32_e32 v11, s27, v7
	s_and_b64 vcc, exec, s[0:1]
	v_lshl_add_u64 v[6:7], v[4:5], 2, v[8:9]
	s_cbranch_vccnz .LBB457_19
; %bb.18:
	flat_load_dword v8, v[6:7]
	s_waitcnt vmcnt(0) lgkmcnt(0)
	v_fmac_f32_e32 v11, s26, v8
.LBB457_19:
	flat_store_dword v[6:7], v11
.LBB457_20:
	s_or_b64 exec, exec, s[2:3]
	v_add_u32_e32 v8, 16, v10
	v_ashrrev_i32_e32 v6, 31, v8
	v_mul_lo_u32 v9, s14, v6
	v_mul_lo_u32 v10, s15, v8
	v_mad_u64_u32 v[6:7], s[6:7], s14, v8, 0
	v_cmp_gt_i32_e64 s[2:3], s28, v8
	v_add3_u32 v7, v7, v9, v10
	v_cmp_le_i32_e32 vcc, v2, v8
	v_lshl_add_u64 v[6:7], v[6:7], 2, s[4:5]
	s_and_b64 s[6:7], s[2:3], vcc
	s_and_saveexec_b64 s[4:5], s[6:7]
	s_cbranch_execz .LBB457_24
; %bb.21:
	v_mul_f32_e32 v0, s27, v0
	s_and_b64 vcc, exec, s[0:1]
	v_lshl_add_u64 v[2:3], v[2:3], 2, v[6:7]
	s_cbranch_vccnz .LBB457_23
; %bb.22:
	flat_load_dword v9, v[2:3]
	s_waitcnt vmcnt(0) lgkmcnt(0)
	v_fmac_f32_e32 v0, s26, v9
.LBB457_23:
	flat_store_dword v[2:3], v0
.LBB457_24:
	s_or_b64 exec, exec, s[4:5]
	v_cmp_le_i32_e32 vcc, v4, v8
	s_and_b64 s[2:3], s[2:3], vcc
	s_and_saveexec_b64 s[4:5], s[2:3]
	s_cbranch_execz .LBB457_28
; %bb.25:
	v_mul_f32_e32 v2, s27, v1
	s_and_b64 vcc, exec, s[0:1]
	v_lshl_add_u64 v[0:1], v[4:5], 2, v[6:7]
	s_cbranch_vccnz .LBB457_27
; %bb.26:
	flat_load_dword v3, v[0:1]
	s_waitcnt vmcnt(0) lgkmcnt(0)
	v_fmac_f32_e32 v2, s26, v3
.LBB457_27:
	flat_store_dword v[0:1], v2
.LBB457_28:
	s_endpgm
	.section	.rodata,"a",@progbits
	.p2align	6, 0x0
	.amdhsa_kernel _ZL29rocblas_internal_gemmt_kernelIlLi16ELi32ELi8ELc67ELc84ELc85ELb0ELb0EffPKPKfPKPfEviT_T9_T10_S7_lS9_S7_lS8_T11_S7_li
		.amdhsa_group_segment_fixed_size 2048
		.amdhsa_private_segment_fixed_size 0
		.amdhsa_kernarg_size 108
		.amdhsa_user_sgpr_count 2
		.amdhsa_user_sgpr_dispatch_ptr 0
		.amdhsa_user_sgpr_queue_ptr 0
		.amdhsa_user_sgpr_kernarg_segment_ptr 1
		.amdhsa_user_sgpr_dispatch_id 0
		.amdhsa_user_sgpr_kernarg_preload_length 0
		.amdhsa_user_sgpr_kernarg_preload_offset 0
		.amdhsa_user_sgpr_private_segment_size 0
		.amdhsa_uses_dynamic_stack 0
		.amdhsa_enable_private_segment 0
		.amdhsa_system_sgpr_workgroup_id_x 1
		.amdhsa_system_sgpr_workgroup_id_y 1
		.amdhsa_system_sgpr_workgroup_id_z 1
		.amdhsa_system_sgpr_workgroup_info 0
		.amdhsa_system_vgpr_workitem_id 1
		.amdhsa_next_free_vgpr 50
		.amdhsa_next_free_sgpr 31
		.amdhsa_accum_offset 52
		.amdhsa_reserve_vcc 1
		.amdhsa_float_round_mode_32 0
		.amdhsa_float_round_mode_16_64 0
		.amdhsa_float_denorm_mode_32 3
		.amdhsa_float_denorm_mode_16_64 3
		.amdhsa_dx10_clamp 1
		.amdhsa_ieee_mode 1
		.amdhsa_fp16_overflow 0
		.amdhsa_tg_split 0
		.amdhsa_exception_fp_ieee_invalid_op 0
		.amdhsa_exception_fp_denorm_src 0
		.amdhsa_exception_fp_ieee_div_zero 0
		.amdhsa_exception_fp_ieee_overflow 0
		.amdhsa_exception_fp_ieee_underflow 0
		.amdhsa_exception_fp_ieee_inexact 0
		.amdhsa_exception_int_div_zero 0
	.end_amdhsa_kernel
	.section	.text._ZL29rocblas_internal_gemmt_kernelIlLi16ELi32ELi8ELc67ELc84ELc85ELb0ELb0EffPKPKfPKPfEviT_T9_T10_S7_lS9_S7_lS8_T11_S7_li,"axG",@progbits,_ZL29rocblas_internal_gemmt_kernelIlLi16ELi32ELi8ELc67ELc84ELc85ELb0ELb0EffPKPKfPKPfEviT_T9_T10_S7_lS9_S7_lS8_T11_S7_li,comdat
.Lfunc_end457:
	.size	_ZL29rocblas_internal_gemmt_kernelIlLi16ELi32ELi8ELc67ELc84ELc85ELb0ELb0EffPKPKfPKPfEviT_T9_T10_S7_lS9_S7_lS8_T11_S7_li, .Lfunc_end457-_ZL29rocblas_internal_gemmt_kernelIlLi16ELi32ELi8ELc67ELc84ELc85ELb0ELb0EffPKPKfPKPfEviT_T9_T10_S7_lS9_S7_lS8_T11_S7_li
                                        ; -- End function
	.set _ZL29rocblas_internal_gemmt_kernelIlLi16ELi32ELi8ELc67ELc84ELc85ELb0ELb0EffPKPKfPKPfEviT_T9_T10_S7_lS9_S7_lS8_T11_S7_li.num_vgpr, 50
	.set _ZL29rocblas_internal_gemmt_kernelIlLi16ELi32ELi8ELc67ELc84ELc85ELb0ELb0EffPKPKfPKPfEviT_T9_T10_S7_lS9_S7_lS8_T11_S7_li.num_agpr, 0
	.set _ZL29rocblas_internal_gemmt_kernelIlLi16ELi32ELi8ELc67ELc84ELc85ELb0ELb0EffPKPKfPKPfEviT_T9_T10_S7_lS9_S7_lS8_T11_S7_li.numbered_sgpr, 31
	.set _ZL29rocblas_internal_gemmt_kernelIlLi16ELi32ELi8ELc67ELc84ELc85ELb0ELb0EffPKPKfPKPfEviT_T9_T10_S7_lS9_S7_lS8_T11_S7_li.num_named_barrier, 0
	.set _ZL29rocblas_internal_gemmt_kernelIlLi16ELi32ELi8ELc67ELc84ELc85ELb0ELb0EffPKPKfPKPfEviT_T9_T10_S7_lS9_S7_lS8_T11_S7_li.private_seg_size, 0
	.set _ZL29rocblas_internal_gemmt_kernelIlLi16ELi32ELi8ELc67ELc84ELc85ELb0ELb0EffPKPKfPKPfEviT_T9_T10_S7_lS9_S7_lS8_T11_S7_li.uses_vcc, 1
	.set _ZL29rocblas_internal_gemmt_kernelIlLi16ELi32ELi8ELc67ELc84ELc85ELb0ELb0EffPKPKfPKPfEviT_T9_T10_S7_lS9_S7_lS8_T11_S7_li.uses_flat_scratch, 0
	.set _ZL29rocblas_internal_gemmt_kernelIlLi16ELi32ELi8ELc67ELc84ELc85ELb0ELb0EffPKPKfPKPfEviT_T9_T10_S7_lS9_S7_lS8_T11_S7_li.has_dyn_sized_stack, 0
	.set _ZL29rocblas_internal_gemmt_kernelIlLi16ELi32ELi8ELc67ELc84ELc85ELb0ELb0EffPKPKfPKPfEviT_T9_T10_S7_lS9_S7_lS8_T11_S7_li.has_recursion, 0
	.set _ZL29rocblas_internal_gemmt_kernelIlLi16ELi32ELi8ELc67ELc84ELc85ELb0ELb0EffPKPKfPKPfEviT_T9_T10_S7_lS9_S7_lS8_T11_S7_li.has_indirect_call, 0
	.section	.AMDGPU.csdata,"",@progbits
; Kernel info:
; codeLenInByte = 1336
; TotalNumSgprs: 37
; NumVgprs: 50
; NumAgprs: 0
; TotalNumVgprs: 50
; ScratchSize: 0
; MemoryBound: 0
; FloatMode: 240
; IeeeMode: 1
; LDSByteSize: 2048 bytes/workgroup (compile time only)
; SGPRBlocks: 4
; VGPRBlocks: 6
; NumSGPRsForWavesPerEU: 37
; NumVGPRsForWavesPerEU: 50
; AccumOffset: 52
; Occupancy: 8
; WaveLimiterHint : 1
; COMPUTE_PGM_RSRC2:SCRATCH_EN: 0
; COMPUTE_PGM_RSRC2:USER_SGPR: 2
; COMPUTE_PGM_RSRC2:TRAP_HANDLER: 0
; COMPUTE_PGM_RSRC2:TGID_X_EN: 1
; COMPUTE_PGM_RSRC2:TGID_Y_EN: 1
; COMPUTE_PGM_RSRC2:TGID_Z_EN: 1
; COMPUTE_PGM_RSRC2:TIDIG_COMP_CNT: 1
; COMPUTE_PGM_RSRC3_GFX90A:ACCUM_OFFSET: 12
; COMPUTE_PGM_RSRC3_GFX90A:TG_SPLIT: 0
	.section	.text._ZL29rocblas_internal_gemmt_kernelIlLi16ELi32ELi8ELc67ELc67ELc85ELb0ELb0EffPKPKfPKPfEviT_T9_T10_S7_lS9_S7_lS8_T11_S7_li,"axG",@progbits,_ZL29rocblas_internal_gemmt_kernelIlLi16ELi32ELi8ELc67ELc67ELc85ELb0ELb0EffPKPKfPKPfEviT_T9_T10_S7_lS9_S7_lS8_T11_S7_li,comdat
	.globl	_ZL29rocblas_internal_gemmt_kernelIlLi16ELi32ELi8ELc67ELc67ELc85ELb0ELb0EffPKPKfPKPfEviT_T9_T10_S7_lS9_S7_lS8_T11_S7_li ; -- Begin function _ZL29rocblas_internal_gemmt_kernelIlLi16ELi32ELi8ELc67ELc67ELc85ELb0ELb0EffPKPKfPKPfEviT_T9_T10_S7_lS9_S7_lS8_T11_S7_li
	.p2align	8
	.type	_ZL29rocblas_internal_gemmt_kernelIlLi16ELi32ELi8ELc67ELc67ELc85ELb0ELb0EffPKPKfPKPfEviT_T9_T10_S7_lS9_S7_lS8_T11_S7_li,@function
_ZL29rocblas_internal_gemmt_kernelIlLi16ELi32ELi8ELc67ELc67ELc85ELb0ELb0EffPKPKfPKPfEviT_T9_T10_S7_lS9_S7_lS8_T11_S7_li: ; @_ZL29rocblas_internal_gemmt_kernelIlLi16ELi32ELi8ELc67ELc67ELc85ELb0ELb0EffPKPKfPKPfEviT_T9_T10_S7_lS9_S7_lS8_T11_S7_li
; %bb.0:
	s_load_dword s26, s[0:1], 0x48
	s_load_dwordx2 s[20:21], s[0:1], 0x8
	s_load_dword s27, s[0:1], 0x10
	s_waitcnt lgkmcnt(0)
	v_cmp_neq_f32_e64 s[6:7], s26, 1.0
	s_and_b64 vcc, exec, s[6:7]
	s_cbranch_vccnz .LBB458_2
; %bb.1:
	s_cmp_lg_u64 s[20:21], 0
	s_cselect_b64 s[6:7], -1, 0
	v_cmp_neq_f32_e64 s[8:9], s27, 0
	s_and_b64 s[6:7], s[6:7], s[8:9]
.LBB458_2:
	s_andn2_b64 vcc, exec, s[6:7]
	s_cbranch_vccnz .LBB458_28
; %bb.3:
	s_load_dwordx2 s[22:23], s[0:1], 0x60
	s_load_dword s28, s[0:1], 0x0
	s_load_dwordx4 s[12:15], s[0:1], 0x50
	s_mov_b32 s5, 0
	s_lshl_b64 s[24:25], s[4:5], 3
	v_mov_b32_e32 v7, 0
	v_and_b32_e32 v3, 0x3ff, v0
	s_waitcnt lgkmcnt(0)
	s_add_u32 s4, s12, s24
	s_addc_u32 s5, s13, s25
	s_load_dwordx2 s[12:13], s[4:5], 0x0
	s_lshl_b32 s29, s2, 5
	s_lshl_b32 s30, s3, 5
	v_cmp_eq_f32_e64 s[2:3], s27, 0
	v_cmp_lt_i64_e64 s[4:5], s[20:21], 1
	s_or_b64 s[2:3], s[2:3], s[4:5]
	v_bfe_u32 v5, v0, 10, 10
	s_and_b64 vcc, exec, s[2:3]
	v_mov_b32_e32 v6, v7
	v_mov_b32_e32 v1, v7
	;; [unrolled: 1-line block ×3, first 2 shown]
	s_cbranch_vccnz .LBB458_12
; %bb.4:
	s_load_dwordx8 s[4:11], s[0:1], 0x18
	s_load_dwordx4 s[16:19], s[0:1], 0x38
	v_lshl_add_u32 v0, v5, 4, v3
	v_and_b32_e32 v6, 31, v0
	v_lshrrev_b32_e32 v4, 5, v0
	s_waitcnt lgkmcnt(0)
	s_add_u32 s0, s10, s24
	s_addc_u32 s1, s11, s25
	s_load_dwordx2 s[0:1], s[0:1], 0x0
	s_lshl_b64 s[2:3], s[18:19], 2
	v_or_b32_e32 v7, s29, v6
	v_lshlrev_b32_e32 v6, 2, v6
	v_lshl_or_b32 v14, v4, 7, v6
	s_waitcnt lgkmcnt(0)
	s_add_u32 s10, s0, s2
	s_addc_u32 s11, s1, s3
	s_add_u32 s0, s4, s24
	s_addc_u32 s1, s5, s25
	s_load_dwordx2 s[2:3], s[0:1], 0x0
	s_lshl_b64 s[4:5], s[8:9], 2
	v_cmp_gt_i32_e64 s[0:1], s28, v7
	v_mul_lo_u32 v8, s7, v7
	v_and_b32_e32 v2, 7, v3
	s_waitcnt lgkmcnt(0)
	s_add_u32 s2, s2, s4
	s_addc_u32 s3, s3, s5
	s_ashr_i32 s8, s29, 31
	v_mad_u64_u32 v[6:7], s[4:5], s6, v7, 0
	s_mul_i32 s4, s6, s8
	s_nop 0
	v_add3_u32 v7, v7, s4, v8
	v_lshrrev_b32_e32 v1, 3, v0
	v_lshl_add_u64 v[8:9], v[6:7], 2, s[2:3]
	v_lshlrev_b32_e32 v6, 2, v2
	v_add_u32_e32 v0, s30, v1
	v_lshl_or_b32 v1, v1, 5, v6
	v_add_u32_e32 v15, 0x400, v1
	v_ashrrev_i32_e32 v1, 31, v0
	v_cmp_gt_i32_e64 s[2:3], s28, v0
	v_lshl_add_u64 v[10:11], v[0:1], 2, s[10:11]
	v_mov_b32_e32 v0, 0x400
	v_mov_b32_e32 v13, 0
	v_lshlrev_b32_e32 v16, 2, v3
	v_lshl_add_u32 v17, v5, 5, v0
	s_mov_b64 s[4:5], 0
	v_mov_b32_e32 v0, v13
	v_mov_b32_e32 v1, v13
	;; [unrolled: 1-line block ×4, first 2 shown]
	s_branch .LBB458_6
.LBB458_5:                              ;   in Loop: Header=BB458_6 Depth=1
	s_or_b64 exec, exec, s[6:7]
	s_waitcnt vmcnt(0) lgkmcnt(0)
	ds_write_b32 v15, v18
	s_waitcnt lgkmcnt(0)
	s_barrier
	ds_read_b128 v[18:21], v17
	ds_read_b128 v[22:25], v17 offset:16
	ds_read2_b32 v[34:35], v16 offset1:16
	ds_read2_b32 v[36:37], v16 offset0:32 offset1:48
	ds_read2_b32 v[38:39], v16 offset0:64 offset1:80
	;; [unrolled: 1-line block ×4, first 2 shown]
	ds_read_b128 v[26:29], v17 offset:512
	ds_read_b128 v[30:33], v17 offset:528
	ds_read2_b32 v[44:45], v16 offset0:160 offset1:176
	ds_read2_b32 v[46:47], v16 offset0:192 offset1:208
	;; [unrolled: 1-line block ×3, first 2 shown]
	s_waitcnt lgkmcnt(9)
	v_pk_fma_f32 v[6:7], v[34:35], v[18:19], v[6:7] op_sel_hi:[1,0,1]
	v_mov_b32_e32 v12, v21
	s_waitcnt lgkmcnt(8)
	v_pk_fma_f32 v[6:7], v[36:37], v[18:19], v[6:7] op_sel:[0,1,0]
	s_waitcnt lgkmcnt(4)
	v_pk_fma_f32 v[0:1], v[34:35], v[26:27], v[0:1] op_sel_hi:[1,0,1]
	v_pk_fma_f32 v[6:7], v[38:39], v[20:21], v[6:7] op_sel_hi:[1,0,1]
	v_pk_fma_f32 v[0:1], v[36:37], v[26:27], v[0:1] op_sel:[0,1,0]
	v_pk_fma_f32 v[6:7], v[40:41], v[12:13], v[6:7] op_sel_hi:[1,0,1]
	v_mov_b32_e32 v12, v25
	v_pk_fma_f32 v[6:7], v[42:43], v[22:23], v[6:7] op_sel_hi:[1,0,1]
	v_pk_fma_f32 v[0:1], v[38:39], v[28:29], v[0:1] op_sel_hi:[1,0,1]
	s_waitcnt lgkmcnt(2)
	v_pk_fma_f32 v[6:7], v[44:45], v[22:23], v[6:7] op_sel:[0,1,0]
	s_add_u32 s4, s4, 8
	s_waitcnt lgkmcnt(1)
	v_pk_fma_f32 v[6:7], v[46:47], v[24:25], v[6:7] op_sel_hi:[1,0,1]
	s_addc_u32 s5, s5, 0
	s_waitcnt lgkmcnt(0)
	v_pk_fma_f32 v[6:7], v[48:49], v[12:13], v[6:7] op_sel_hi:[1,0,1]
	v_mov_b32_e32 v12, v29
	v_pk_fma_f32 v[0:1], v[40:41], v[12:13], v[0:1] op_sel_hi:[1,0,1]
	v_mov_b64_e32 v[18:19], s[4:5]
	v_pk_fma_f32 v[0:1], v[42:43], v[30:31], v[0:1] op_sel_hi:[1,0,1]
	v_mov_b32_e32 v12, v33
	v_pk_fma_f32 v[0:1], v[44:45], v[30:31], v[0:1] op_sel:[0,1,0]
	v_cmp_gt_i64_e32 vcc, s[20:21], v[18:19]
	v_pk_fma_f32 v[0:1], v[46:47], v[32:33], v[0:1] op_sel_hi:[1,0,1]
	s_nop 0
	v_pk_fma_f32 v[0:1], v[48:49], v[12:13], v[0:1] op_sel_hi:[1,0,1]
	s_barrier
	s_cbranch_vccz .LBB458_12
.LBB458_6:                              ; =>This Inner Loop Header: Depth=1
	v_mov_b32_e32 v18, 0
	s_and_saveexec_b64 s[6:7], s[0:1]
	s_cbranch_execz .LBB458_10
; %bb.7:                                ;   in Loop: Header=BB458_6 Depth=1
	v_add_u32_e32 v12, s4, v4
	v_cmp_gt_u64_e32 vcc, s[20:21], v[12:13]
	v_mov_b32_e32 v18, 0
	s_and_saveexec_b64 s[8:9], vcc
	s_cbranch_execz .LBB458_9
; %bb.8:                                ;   in Loop: Header=BB458_6 Depth=1
	v_lshl_add_u64 v[18:19], v[12:13], 2, v[8:9]
	flat_load_dword v18, v[18:19]
.LBB458_9:                              ;   in Loop: Header=BB458_6 Depth=1
	s_or_b64 exec, exec, s[8:9]
.LBB458_10:                             ;   in Loop: Header=BB458_6 Depth=1
	s_or_b64 exec, exec, s[6:7]
	v_add_u32_e32 v12, s4, v2
	v_cmp_gt_u64_e32 vcc, s[20:21], v[12:13]
	s_waitcnt vmcnt(0) lgkmcnt(0)
	ds_write_b32 v14, v18
	s_and_b64 s[8:9], vcc, s[2:3]
	v_mov_b32_e32 v18, 0
	s_and_saveexec_b64 s[6:7], s[8:9]
	s_cbranch_execz .LBB458_5
; %bb.11:                               ;   in Loop: Header=BB458_6 Depth=1
	v_mad_u64_u32 v[18:19], s[8:9], s16, v12, 0
	v_mov_b32_e32 v20, v19
	v_mad_u64_u32 v[20:21], s[8:9], s17, v12, v[20:21]
	v_mov_b32_e32 v19, v20
	v_lshl_add_u64 v[18:19], v[18:19], 2, v[10:11]
	flat_load_dword v18, v[18:19]
	s_branch .LBB458_5
.LBB458_12:
	s_lshl_b64 s[0:1], s[22:23], 2
	v_add_u32_e32 v10, s30, v5
	s_waitcnt lgkmcnt(0)
	s_add_u32 s4, s12, s0
	v_add_u32_e32 v2, s29, v3
	v_ashrrev_i32_e32 v3, 31, v10
	s_addc_u32 s5, s13, s1
	v_mul_lo_u32 v3, s14, v3
	v_mul_lo_u32 v8, s15, v10
	v_mad_u64_u32 v[4:5], s[0:1], s14, v10, 0
	v_add3_u32 v5, v5, v3, v8
	v_cmp_neq_f32_e64 s[0:1], s26, 0
	v_cmp_gt_i32_e64 s[2:3], s28, v10
	v_lshl_add_u64 v[8:9], v[4:5], 2, s[4:5]
	v_cmp_le_i32_e32 vcc, v2, v10
	v_cndmask_b32_e64 v4, 0, 1, s[0:1]
	s_and_b64 s[8:9], s[2:3], vcc
	v_ashrrev_i32_e32 v3, 31, v2
	v_cmp_ne_u32_e64 s[0:1], 1, v4
	s_and_saveexec_b64 s[6:7], s[8:9]
	s_cbranch_execz .LBB458_16
; %bb.13:
	v_mul_f32_e32 v6, s27, v6
	s_and_b64 vcc, exec, s[0:1]
	v_lshl_add_u64 v[4:5], v[2:3], 2, v[8:9]
	s_cbranch_vccnz .LBB458_15
; %bb.14:
	flat_load_dword v11, v[4:5]
	s_waitcnt vmcnt(0) lgkmcnt(0)
	v_fmac_f32_e32 v6, s26, v11
.LBB458_15:
	flat_store_dword v[4:5], v6
.LBB458_16:
	s_or_b64 exec, exec, s[6:7]
	v_add_u32_e32 v4, 16, v2
	v_cmp_le_i32_e32 vcc, v4, v10
	s_and_b64 s[6:7], s[2:3], vcc
	v_ashrrev_i32_e32 v5, 31, v4
	s_and_saveexec_b64 s[2:3], s[6:7]
	s_cbranch_execz .LBB458_20
; %bb.17:
	v_mul_f32_e32 v11, s27, v7
	s_and_b64 vcc, exec, s[0:1]
	v_lshl_add_u64 v[6:7], v[4:5], 2, v[8:9]
	s_cbranch_vccnz .LBB458_19
; %bb.18:
	flat_load_dword v8, v[6:7]
	s_waitcnt vmcnt(0) lgkmcnt(0)
	v_fmac_f32_e32 v11, s26, v8
.LBB458_19:
	flat_store_dword v[6:7], v11
.LBB458_20:
	s_or_b64 exec, exec, s[2:3]
	v_add_u32_e32 v8, 16, v10
	v_ashrrev_i32_e32 v6, 31, v8
	v_mul_lo_u32 v9, s14, v6
	v_mul_lo_u32 v10, s15, v8
	v_mad_u64_u32 v[6:7], s[6:7], s14, v8, 0
	v_cmp_gt_i32_e64 s[2:3], s28, v8
	v_add3_u32 v7, v7, v9, v10
	v_cmp_le_i32_e32 vcc, v2, v8
	v_lshl_add_u64 v[6:7], v[6:7], 2, s[4:5]
	s_and_b64 s[6:7], s[2:3], vcc
	s_and_saveexec_b64 s[4:5], s[6:7]
	s_cbranch_execz .LBB458_24
; %bb.21:
	v_mul_f32_e32 v0, s27, v0
	s_and_b64 vcc, exec, s[0:1]
	v_lshl_add_u64 v[2:3], v[2:3], 2, v[6:7]
	s_cbranch_vccnz .LBB458_23
; %bb.22:
	flat_load_dword v9, v[2:3]
	s_waitcnt vmcnt(0) lgkmcnt(0)
	v_fmac_f32_e32 v0, s26, v9
.LBB458_23:
	flat_store_dword v[2:3], v0
.LBB458_24:
	s_or_b64 exec, exec, s[4:5]
	v_cmp_le_i32_e32 vcc, v4, v8
	s_and_b64 s[2:3], s[2:3], vcc
	s_and_saveexec_b64 s[4:5], s[2:3]
	s_cbranch_execz .LBB458_28
; %bb.25:
	v_mul_f32_e32 v2, s27, v1
	s_and_b64 vcc, exec, s[0:1]
	v_lshl_add_u64 v[0:1], v[4:5], 2, v[6:7]
	s_cbranch_vccnz .LBB458_27
; %bb.26:
	flat_load_dword v3, v[0:1]
	s_waitcnt vmcnt(0) lgkmcnt(0)
	v_fmac_f32_e32 v2, s26, v3
.LBB458_27:
	flat_store_dword v[0:1], v2
.LBB458_28:
	s_endpgm
	.section	.rodata,"a",@progbits
	.p2align	6, 0x0
	.amdhsa_kernel _ZL29rocblas_internal_gemmt_kernelIlLi16ELi32ELi8ELc67ELc67ELc85ELb0ELb0EffPKPKfPKPfEviT_T9_T10_S7_lS9_S7_lS8_T11_S7_li
		.amdhsa_group_segment_fixed_size 2048
		.amdhsa_private_segment_fixed_size 0
		.amdhsa_kernarg_size 108
		.amdhsa_user_sgpr_count 2
		.amdhsa_user_sgpr_dispatch_ptr 0
		.amdhsa_user_sgpr_queue_ptr 0
		.amdhsa_user_sgpr_kernarg_segment_ptr 1
		.amdhsa_user_sgpr_dispatch_id 0
		.amdhsa_user_sgpr_kernarg_preload_length 0
		.amdhsa_user_sgpr_kernarg_preload_offset 0
		.amdhsa_user_sgpr_private_segment_size 0
		.amdhsa_uses_dynamic_stack 0
		.amdhsa_enable_private_segment 0
		.amdhsa_system_sgpr_workgroup_id_x 1
		.amdhsa_system_sgpr_workgroup_id_y 1
		.amdhsa_system_sgpr_workgroup_id_z 1
		.amdhsa_system_sgpr_workgroup_info 0
		.amdhsa_system_vgpr_workitem_id 1
		.amdhsa_next_free_vgpr 50
		.amdhsa_next_free_sgpr 31
		.amdhsa_accum_offset 52
		.amdhsa_reserve_vcc 1
		.amdhsa_float_round_mode_32 0
		.amdhsa_float_round_mode_16_64 0
		.amdhsa_float_denorm_mode_32 3
		.amdhsa_float_denorm_mode_16_64 3
		.amdhsa_dx10_clamp 1
		.amdhsa_ieee_mode 1
		.amdhsa_fp16_overflow 0
		.amdhsa_tg_split 0
		.amdhsa_exception_fp_ieee_invalid_op 0
		.amdhsa_exception_fp_denorm_src 0
		.amdhsa_exception_fp_ieee_div_zero 0
		.amdhsa_exception_fp_ieee_overflow 0
		.amdhsa_exception_fp_ieee_underflow 0
		.amdhsa_exception_fp_ieee_inexact 0
		.amdhsa_exception_int_div_zero 0
	.end_amdhsa_kernel
	.section	.text._ZL29rocblas_internal_gemmt_kernelIlLi16ELi32ELi8ELc67ELc67ELc85ELb0ELb0EffPKPKfPKPfEviT_T9_T10_S7_lS9_S7_lS8_T11_S7_li,"axG",@progbits,_ZL29rocblas_internal_gemmt_kernelIlLi16ELi32ELi8ELc67ELc67ELc85ELb0ELb0EffPKPKfPKPfEviT_T9_T10_S7_lS9_S7_lS8_T11_S7_li,comdat
.Lfunc_end458:
	.size	_ZL29rocblas_internal_gemmt_kernelIlLi16ELi32ELi8ELc67ELc67ELc85ELb0ELb0EffPKPKfPKPfEviT_T9_T10_S7_lS9_S7_lS8_T11_S7_li, .Lfunc_end458-_ZL29rocblas_internal_gemmt_kernelIlLi16ELi32ELi8ELc67ELc67ELc85ELb0ELb0EffPKPKfPKPfEviT_T9_T10_S7_lS9_S7_lS8_T11_S7_li
                                        ; -- End function
	.set _ZL29rocblas_internal_gemmt_kernelIlLi16ELi32ELi8ELc67ELc67ELc85ELb0ELb0EffPKPKfPKPfEviT_T9_T10_S7_lS9_S7_lS8_T11_S7_li.num_vgpr, 50
	.set _ZL29rocblas_internal_gemmt_kernelIlLi16ELi32ELi8ELc67ELc67ELc85ELb0ELb0EffPKPKfPKPfEviT_T9_T10_S7_lS9_S7_lS8_T11_S7_li.num_agpr, 0
	.set _ZL29rocblas_internal_gemmt_kernelIlLi16ELi32ELi8ELc67ELc67ELc85ELb0ELb0EffPKPKfPKPfEviT_T9_T10_S7_lS9_S7_lS8_T11_S7_li.numbered_sgpr, 31
	.set _ZL29rocblas_internal_gemmt_kernelIlLi16ELi32ELi8ELc67ELc67ELc85ELb0ELb0EffPKPKfPKPfEviT_T9_T10_S7_lS9_S7_lS8_T11_S7_li.num_named_barrier, 0
	.set _ZL29rocblas_internal_gemmt_kernelIlLi16ELi32ELi8ELc67ELc67ELc85ELb0ELb0EffPKPKfPKPfEviT_T9_T10_S7_lS9_S7_lS8_T11_S7_li.private_seg_size, 0
	.set _ZL29rocblas_internal_gemmt_kernelIlLi16ELi32ELi8ELc67ELc67ELc85ELb0ELb0EffPKPKfPKPfEviT_T9_T10_S7_lS9_S7_lS8_T11_S7_li.uses_vcc, 1
	.set _ZL29rocblas_internal_gemmt_kernelIlLi16ELi32ELi8ELc67ELc67ELc85ELb0ELb0EffPKPKfPKPfEviT_T9_T10_S7_lS9_S7_lS8_T11_S7_li.uses_flat_scratch, 0
	.set _ZL29rocblas_internal_gemmt_kernelIlLi16ELi32ELi8ELc67ELc67ELc85ELb0ELb0EffPKPKfPKPfEviT_T9_T10_S7_lS9_S7_lS8_T11_S7_li.has_dyn_sized_stack, 0
	.set _ZL29rocblas_internal_gemmt_kernelIlLi16ELi32ELi8ELc67ELc67ELc85ELb0ELb0EffPKPKfPKPfEviT_T9_T10_S7_lS9_S7_lS8_T11_S7_li.has_recursion, 0
	.set _ZL29rocblas_internal_gemmt_kernelIlLi16ELi32ELi8ELc67ELc67ELc85ELb0ELb0EffPKPKfPKPfEviT_T9_T10_S7_lS9_S7_lS8_T11_S7_li.has_indirect_call, 0
	.section	.AMDGPU.csdata,"",@progbits
; Kernel info:
; codeLenInByte = 1336
; TotalNumSgprs: 37
; NumVgprs: 50
; NumAgprs: 0
; TotalNumVgprs: 50
; ScratchSize: 0
; MemoryBound: 0
; FloatMode: 240
; IeeeMode: 1
; LDSByteSize: 2048 bytes/workgroup (compile time only)
; SGPRBlocks: 4
; VGPRBlocks: 6
; NumSGPRsForWavesPerEU: 37
; NumVGPRsForWavesPerEU: 50
; AccumOffset: 52
; Occupancy: 8
; WaveLimiterHint : 1
; COMPUTE_PGM_RSRC2:SCRATCH_EN: 0
; COMPUTE_PGM_RSRC2:USER_SGPR: 2
; COMPUTE_PGM_RSRC2:TRAP_HANDLER: 0
; COMPUTE_PGM_RSRC2:TGID_X_EN: 1
; COMPUTE_PGM_RSRC2:TGID_Y_EN: 1
; COMPUTE_PGM_RSRC2:TGID_Z_EN: 1
; COMPUTE_PGM_RSRC2:TIDIG_COMP_CNT: 1
; COMPUTE_PGM_RSRC3_GFX90A:ACCUM_OFFSET: 12
; COMPUTE_PGM_RSRC3_GFX90A:TG_SPLIT: 0
	.section	.text._ZL29rocblas_internal_gemmt_kernelIlLi16ELi32ELi8ELc78ELc78ELc76ELb0ELb0EffPKPKfPKPfEviT_T9_T10_S7_lS9_S7_lS8_T11_S7_li,"axG",@progbits,_ZL29rocblas_internal_gemmt_kernelIlLi16ELi32ELi8ELc78ELc78ELc76ELb0ELb0EffPKPKfPKPfEviT_T9_T10_S7_lS9_S7_lS8_T11_S7_li,comdat
	.globl	_ZL29rocblas_internal_gemmt_kernelIlLi16ELi32ELi8ELc78ELc78ELc76ELb0ELb0EffPKPKfPKPfEviT_T9_T10_S7_lS9_S7_lS8_T11_S7_li ; -- Begin function _ZL29rocblas_internal_gemmt_kernelIlLi16ELi32ELi8ELc78ELc78ELc76ELb0ELb0EffPKPKfPKPfEviT_T9_T10_S7_lS9_S7_lS8_T11_S7_li
	.p2align	8
	.type	_ZL29rocblas_internal_gemmt_kernelIlLi16ELi32ELi8ELc78ELc78ELc76ELb0ELb0EffPKPKfPKPfEviT_T9_T10_S7_lS9_S7_lS8_T11_S7_li,@function
_ZL29rocblas_internal_gemmt_kernelIlLi16ELi32ELi8ELc78ELc78ELc76ELb0ELb0EffPKPKfPKPfEviT_T9_T10_S7_lS9_S7_lS8_T11_S7_li: ; @_ZL29rocblas_internal_gemmt_kernelIlLi16ELi32ELi8ELc78ELc78ELc76ELb0ELb0EffPKPKfPKPfEviT_T9_T10_S7_lS9_S7_lS8_T11_S7_li
; %bb.0:
	s_load_dword s26, s[0:1], 0x48
	s_load_dwordx2 s[20:21], s[0:1], 0x8
	s_load_dword s27, s[0:1], 0x10
	s_waitcnt lgkmcnt(0)
	v_cmp_neq_f32_e64 s[6:7], s26, 1.0
	s_and_b64 vcc, exec, s[6:7]
	s_cbranch_vccnz .LBB459_2
; %bb.1:
	s_cmp_lg_u64 s[20:21], 0
	s_cselect_b64 s[6:7], -1, 0
	v_cmp_neq_f32_e64 s[8:9], s27, 0
	s_and_b64 s[6:7], s[6:7], s[8:9]
.LBB459_2:
	s_andn2_b64 vcc, exec, s[6:7]
	s_cbranch_vccnz .LBB459_28
; %bb.3:
	s_load_dwordx2 s[22:23], s[0:1], 0x60
	s_load_dword s28, s[0:1], 0x0
	s_load_dwordx4 s[12:15], s[0:1], 0x50
	s_mov_b32 s5, 0
	s_lshl_b64 s[24:25], s[4:5], 3
	v_mov_b32_e32 v7, 0
	v_and_b32_e32 v3, 0x3ff, v0
	s_waitcnt lgkmcnt(0)
	s_add_u32 s4, s12, s24
	s_addc_u32 s5, s13, s25
	s_load_dwordx2 s[12:13], s[4:5], 0x0
	s_lshl_b32 s29, s2, 5
	s_lshl_b32 s30, s3, 5
	v_cmp_eq_f32_e64 s[2:3], s27, 0
	v_cmp_lt_i64_e64 s[4:5], s[20:21], 1
	s_or_b64 s[2:3], s[2:3], s[4:5]
	v_bfe_u32 v5, v0, 10, 10
	s_and_b64 vcc, exec, s[2:3]
	v_mov_b32_e32 v6, v7
	v_mov_b32_e32 v1, v7
	;; [unrolled: 1-line block ×3, first 2 shown]
	s_cbranch_vccnz .LBB459_12
; %bb.4:
	s_load_dwordx8 s[4:11], s[0:1], 0x18
	s_load_dwordx4 s[16:19], s[0:1], 0x38
	v_lshl_add_u32 v0, v5, 4, v3
	v_and_b32_e32 v1, 31, v0
	v_lshrrev_b32_e32 v4, 5, v0
	s_waitcnt lgkmcnt(0)
	s_add_u32 s0, s10, s24
	s_addc_u32 s1, s11, s25
	s_load_dwordx2 s[0:1], s[0:1], 0x0
	s_lshl_b64 s[2:3], s[18:19], 2
	v_lshrrev_b32_e32 v6, 3, v0
	v_or_b32_e32 v0, s29, v1
	v_lshlrev_b32_e32 v1, 2, v1
	s_waitcnt lgkmcnt(0)
	s_add_u32 s10, s0, s2
	s_addc_u32 s11, s1, s3
	s_add_u32 s0, s4, s24
	s_addc_u32 s1, s5, s25
	s_load_dwordx2 s[2:3], s[0:1], 0x0
	s_lshl_b64 s[4:5], s[8:9], 2
	v_and_b32_e32 v2, 7, v3
	v_lshl_or_b32 v14, v4, 7, v1
	v_ashrrev_i32_e32 v1, 31, v0
	s_waitcnt lgkmcnt(0)
	s_add_u32 s2, s2, s4
	s_addc_u32 s3, s3, s5
	v_cmp_gt_i32_e64 s[0:1], s28, v0
	v_lshl_add_u64 v[8:9], v[0:1], 2, s[2:3]
	v_lshlrev_b32_e32 v0, 2, v2
	v_add_u32_e32 v7, s30, v6
	v_lshl_or_b32 v0, v6, 5, v0
	v_add_u32_e32 v15, 0x400, v0
	v_ashrrev_i32_e32 v0, 31, v7
	v_mul_lo_u32 v6, s16, v0
	v_mul_lo_u32 v10, s17, v7
	v_mad_u64_u32 v[0:1], s[4:5], s16, v7, 0
	v_add3_u32 v1, v1, v6, v10
	v_lshl_add_u64 v[10:11], v[0:1], 2, s[10:11]
	v_mov_b32_e32 v0, 0x400
	v_mov_b32_e32 v13, 0
	v_cmp_gt_i32_e64 s[2:3], s28, v7
	v_lshlrev_b32_e32 v16, 2, v3
	v_lshl_add_u32 v17, v5, 5, v0
	s_mov_b64 s[4:5], 0
	v_mov_b32_e32 v0, v13
	v_mov_b32_e32 v1, v13
	;; [unrolled: 1-line block ×4, first 2 shown]
	s_branch .LBB459_6
.LBB459_5:                              ;   in Loop: Header=BB459_6 Depth=1
	s_or_b64 exec, exec, s[8:9]
	s_waitcnt vmcnt(0) lgkmcnt(0)
	ds_write_b32 v15, v18
	s_waitcnt lgkmcnt(0)
	s_barrier
	ds_read_b128 v[18:21], v17
	ds_read_b128 v[22:25], v17 offset:16
	ds_read2_b32 v[34:35], v16 offset1:16
	ds_read2_b32 v[36:37], v16 offset0:32 offset1:48
	ds_read2_b32 v[38:39], v16 offset0:64 offset1:80
	;; [unrolled: 1-line block ×4, first 2 shown]
	ds_read_b128 v[26:29], v17 offset:512
	ds_read_b128 v[30:33], v17 offset:528
	ds_read2_b32 v[44:45], v16 offset0:160 offset1:176
	ds_read2_b32 v[46:47], v16 offset0:192 offset1:208
	;; [unrolled: 1-line block ×3, first 2 shown]
	s_waitcnt lgkmcnt(9)
	v_pk_fma_f32 v[6:7], v[34:35], v[18:19], v[6:7] op_sel_hi:[1,0,1]
	v_mov_b32_e32 v12, v21
	s_waitcnt lgkmcnt(8)
	v_pk_fma_f32 v[6:7], v[36:37], v[18:19], v[6:7] op_sel:[0,1,0]
	s_waitcnt lgkmcnt(4)
	v_pk_fma_f32 v[0:1], v[34:35], v[26:27], v[0:1] op_sel_hi:[1,0,1]
	v_pk_fma_f32 v[6:7], v[38:39], v[20:21], v[6:7] op_sel_hi:[1,0,1]
	v_pk_fma_f32 v[0:1], v[36:37], v[26:27], v[0:1] op_sel:[0,1,0]
	v_pk_fma_f32 v[6:7], v[40:41], v[12:13], v[6:7] op_sel_hi:[1,0,1]
	v_mov_b32_e32 v12, v25
	v_pk_fma_f32 v[6:7], v[42:43], v[22:23], v[6:7] op_sel_hi:[1,0,1]
	v_pk_fma_f32 v[0:1], v[38:39], v[28:29], v[0:1] op_sel_hi:[1,0,1]
	s_waitcnt lgkmcnt(2)
	v_pk_fma_f32 v[6:7], v[44:45], v[22:23], v[6:7] op_sel:[0,1,0]
	s_add_u32 s4, s4, 8
	s_waitcnt lgkmcnt(1)
	v_pk_fma_f32 v[6:7], v[46:47], v[24:25], v[6:7] op_sel_hi:[1,0,1]
	s_addc_u32 s5, s5, 0
	s_waitcnt lgkmcnt(0)
	v_pk_fma_f32 v[6:7], v[48:49], v[12:13], v[6:7] op_sel_hi:[1,0,1]
	v_mov_b32_e32 v12, v29
	v_pk_fma_f32 v[0:1], v[40:41], v[12:13], v[0:1] op_sel_hi:[1,0,1]
	v_mov_b64_e32 v[18:19], s[4:5]
	v_pk_fma_f32 v[0:1], v[42:43], v[30:31], v[0:1] op_sel_hi:[1,0,1]
	v_mov_b32_e32 v12, v33
	v_pk_fma_f32 v[0:1], v[44:45], v[30:31], v[0:1] op_sel:[0,1,0]
	v_cmp_gt_i64_e32 vcc, s[20:21], v[18:19]
	v_pk_fma_f32 v[0:1], v[46:47], v[32:33], v[0:1] op_sel_hi:[1,0,1]
	s_nop 0
	v_pk_fma_f32 v[0:1], v[48:49], v[12:13], v[0:1] op_sel_hi:[1,0,1]
	s_barrier
	s_cbranch_vccz .LBB459_12
.LBB459_6:                              ; =>This Inner Loop Header: Depth=1
	v_mov_b32_e32 v18, 0
	s_and_saveexec_b64 s[8:9], s[0:1]
	s_cbranch_execz .LBB459_10
; %bb.7:                                ;   in Loop: Header=BB459_6 Depth=1
	v_add_u32_e32 v12, s4, v4
	v_cmp_gt_u64_e32 vcc, s[20:21], v[12:13]
	v_mov_b32_e32 v18, 0
	s_and_saveexec_b64 s[10:11], vcc
	s_cbranch_execz .LBB459_9
; %bb.8:                                ;   in Loop: Header=BB459_6 Depth=1
	v_mad_u64_u32 v[18:19], s[16:17], s6, v12, 0
	v_mov_b32_e32 v20, v19
	v_mad_u64_u32 v[20:21], s[16:17], s7, v12, v[20:21]
	v_mov_b32_e32 v19, v20
	v_lshl_add_u64 v[18:19], v[18:19], 2, v[8:9]
	flat_load_dword v18, v[18:19]
.LBB459_9:                              ;   in Loop: Header=BB459_6 Depth=1
	s_or_b64 exec, exec, s[10:11]
.LBB459_10:                             ;   in Loop: Header=BB459_6 Depth=1
	s_or_b64 exec, exec, s[8:9]
	v_add_u32_e32 v12, s4, v2
	v_cmp_gt_u64_e32 vcc, s[20:21], v[12:13]
	s_waitcnt vmcnt(0) lgkmcnt(0)
	ds_write_b32 v14, v18
	s_and_b64 s[10:11], vcc, s[2:3]
	v_mov_b32_e32 v18, 0
	s_and_saveexec_b64 s[8:9], s[10:11]
	s_cbranch_execz .LBB459_5
; %bb.11:                               ;   in Loop: Header=BB459_6 Depth=1
	v_lshl_add_u64 v[18:19], v[12:13], 2, v[10:11]
	flat_load_dword v18, v[18:19]
	s_branch .LBB459_5
.LBB459_12:
	s_lshl_b64 s[0:1], s[22:23], 2
	v_add_u32_e32 v10, s30, v5
	s_waitcnt lgkmcnt(0)
	s_add_u32 s6, s12, s0
	v_add_u32_e32 v2, s29, v3
	v_ashrrev_i32_e32 v3, 31, v10
	s_addc_u32 s7, s13, s1
	v_mul_lo_u32 v3, s14, v3
	v_mul_lo_u32 v8, s15, v10
	v_mad_u64_u32 v[4:5], s[0:1], s14, v10, 0
	v_add3_u32 v5, v5, v3, v8
	v_cmp_neq_f32_e64 s[0:1], s26, 0
	v_lshl_add_u64 v[8:9], v[4:5], 2, s[6:7]
	v_cmp_le_i32_e32 vcc, v10, v2
	v_cmp_gt_i32_e64 s[2:3], s28, v2
	v_cndmask_b32_e64 v4, 0, 1, s[0:1]
	s_and_b64 s[8:9], vcc, s[2:3]
	v_ashrrev_i32_e32 v3, 31, v2
	v_cmp_ne_u32_e64 s[0:1], 1, v4
	s_and_saveexec_b64 s[4:5], s[8:9]
	s_cbranch_execz .LBB459_16
; %bb.13:
	v_mul_f32_e32 v6, s27, v6
	s_and_b64 vcc, exec, s[0:1]
	v_lshl_add_u64 v[4:5], v[2:3], 2, v[8:9]
	s_cbranch_vccnz .LBB459_15
; %bb.14:
	flat_load_dword v11, v[4:5]
	s_waitcnt vmcnt(0) lgkmcnt(0)
	v_fmac_f32_e32 v6, s26, v11
.LBB459_15:
	flat_store_dword v[4:5], v6
.LBB459_16:
	s_or_b64 exec, exec, s[4:5]
	v_add_u32_e32 v4, 16, v2
	v_cmp_le_i32_e32 vcc, v10, v4
	v_cmp_gt_i32_e64 s[4:5], s28, v4
	s_and_b64 s[10:11], vcc, s[4:5]
	v_ashrrev_i32_e32 v5, 31, v4
	s_and_saveexec_b64 s[8:9], s[10:11]
	s_cbranch_execz .LBB459_20
; %bb.17:
	v_mul_f32_e32 v11, s27, v7
	s_and_b64 vcc, exec, s[0:1]
	v_lshl_add_u64 v[6:7], v[4:5], 2, v[8:9]
	s_cbranch_vccnz .LBB459_19
; %bb.18:
	flat_load_dword v8, v[6:7]
	s_waitcnt vmcnt(0) lgkmcnt(0)
	v_fmac_f32_e32 v11, s26, v8
.LBB459_19:
	flat_store_dword v[6:7], v11
.LBB459_20:
	s_or_b64 exec, exec, s[8:9]
	v_add_u32_e32 v8, 16, v10
	v_ashrrev_i32_e32 v6, 31, v8
	v_mul_lo_u32 v9, s14, v6
	v_mul_lo_u32 v10, s15, v8
	v_mad_u64_u32 v[6:7], s[8:9], s14, v8, 0
	v_add3_u32 v7, v7, v9, v10
	v_cmp_le_i32_e32 vcc, v8, v2
	v_lshl_add_u64 v[6:7], v[6:7], 2, s[6:7]
	s_and_b64 s[6:7], vcc, s[2:3]
	s_and_saveexec_b64 s[2:3], s[6:7]
	s_cbranch_execz .LBB459_24
; %bb.21:
	v_mul_f32_e32 v0, s27, v0
	s_and_b64 vcc, exec, s[0:1]
	v_lshl_add_u64 v[2:3], v[2:3], 2, v[6:7]
	s_cbranch_vccnz .LBB459_23
; %bb.22:
	flat_load_dword v9, v[2:3]
	s_waitcnt vmcnt(0) lgkmcnt(0)
	v_fmac_f32_e32 v0, s26, v9
.LBB459_23:
	flat_store_dword v[2:3], v0
.LBB459_24:
	s_or_b64 exec, exec, s[2:3]
	v_cmp_le_i32_e32 vcc, v8, v4
	s_and_b64 s[2:3], vcc, s[4:5]
	s_and_saveexec_b64 s[4:5], s[2:3]
	s_cbranch_execz .LBB459_28
; %bb.25:
	v_mul_f32_e32 v2, s27, v1
	s_and_b64 vcc, exec, s[0:1]
	v_lshl_add_u64 v[0:1], v[4:5], 2, v[6:7]
	s_cbranch_vccnz .LBB459_27
; %bb.26:
	flat_load_dword v3, v[0:1]
	s_waitcnt vmcnt(0) lgkmcnt(0)
	v_fmac_f32_e32 v2, s26, v3
.LBB459_27:
	flat_store_dword v[0:1], v2
.LBB459_28:
	s_endpgm
	.section	.rodata,"a",@progbits
	.p2align	6, 0x0
	.amdhsa_kernel _ZL29rocblas_internal_gemmt_kernelIlLi16ELi32ELi8ELc78ELc78ELc76ELb0ELb0EffPKPKfPKPfEviT_T9_T10_S7_lS9_S7_lS8_T11_S7_li
		.amdhsa_group_segment_fixed_size 2048
		.amdhsa_private_segment_fixed_size 0
		.amdhsa_kernarg_size 108
		.amdhsa_user_sgpr_count 2
		.amdhsa_user_sgpr_dispatch_ptr 0
		.amdhsa_user_sgpr_queue_ptr 0
		.amdhsa_user_sgpr_kernarg_segment_ptr 1
		.amdhsa_user_sgpr_dispatch_id 0
		.amdhsa_user_sgpr_kernarg_preload_length 0
		.amdhsa_user_sgpr_kernarg_preload_offset 0
		.amdhsa_user_sgpr_private_segment_size 0
		.amdhsa_uses_dynamic_stack 0
		.amdhsa_enable_private_segment 0
		.amdhsa_system_sgpr_workgroup_id_x 1
		.amdhsa_system_sgpr_workgroup_id_y 1
		.amdhsa_system_sgpr_workgroup_id_z 1
		.amdhsa_system_sgpr_workgroup_info 0
		.amdhsa_system_vgpr_workitem_id 1
		.amdhsa_next_free_vgpr 50
		.amdhsa_next_free_sgpr 31
		.amdhsa_accum_offset 52
		.amdhsa_reserve_vcc 1
		.amdhsa_float_round_mode_32 0
		.amdhsa_float_round_mode_16_64 0
		.amdhsa_float_denorm_mode_32 3
		.amdhsa_float_denorm_mode_16_64 3
		.amdhsa_dx10_clamp 1
		.amdhsa_ieee_mode 1
		.amdhsa_fp16_overflow 0
		.amdhsa_tg_split 0
		.amdhsa_exception_fp_ieee_invalid_op 0
		.amdhsa_exception_fp_denorm_src 0
		.amdhsa_exception_fp_ieee_div_zero 0
		.amdhsa_exception_fp_ieee_overflow 0
		.amdhsa_exception_fp_ieee_underflow 0
		.amdhsa_exception_fp_ieee_inexact 0
		.amdhsa_exception_int_div_zero 0
	.end_amdhsa_kernel
	.section	.text._ZL29rocblas_internal_gemmt_kernelIlLi16ELi32ELi8ELc78ELc78ELc76ELb0ELb0EffPKPKfPKPfEviT_T9_T10_S7_lS9_S7_lS8_T11_S7_li,"axG",@progbits,_ZL29rocblas_internal_gemmt_kernelIlLi16ELi32ELi8ELc78ELc78ELc76ELb0ELb0EffPKPKfPKPfEviT_T9_T10_S7_lS9_S7_lS8_T11_S7_li,comdat
.Lfunc_end459:
	.size	_ZL29rocblas_internal_gemmt_kernelIlLi16ELi32ELi8ELc78ELc78ELc76ELb0ELb0EffPKPKfPKPfEviT_T9_T10_S7_lS9_S7_lS8_T11_S7_li, .Lfunc_end459-_ZL29rocblas_internal_gemmt_kernelIlLi16ELi32ELi8ELc78ELc78ELc76ELb0ELb0EffPKPKfPKPfEviT_T9_T10_S7_lS9_S7_lS8_T11_S7_li
                                        ; -- End function
	.set _ZL29rocblas_internal_gemmt_kernelIlLi16ELi32ELi8ELc78ELc78ELc76ELb0ELb0EffPKPKfPKPfEviT_T9_T10_S7_lS9_S7_lS8_T11_S7_li.num_vgpr, 50
	.set _ZL29rocblas_internal_gemmt_kernelIlLi16ELi32ELi8ELc78ELc78ELc76ELb0ELb0EffPKPKfPKPfEviT_T9_T10_S7_lS9_S7_lS8_T11_S7_li.num_agpr, 0
	.set _ZL29rocblas_internal_gemmt_kernelIlLi16ELi32ELi8ELc78ELc78ELc76ELb0ELb0EffPKPKfPKPfEviT_T9_T10_S7_lS9_S7_lS8_T11_S7_li.numbered_sgpr, 31
	.set _ZL29rocblas_internal_gemmt_kernelIlLi16ELi32ELi8ELc78ELc78ELc76ELb0ELb0EffPKPKfPKPfEviT_T9_T10_S7_lS9_S7_lS8_T11_S7_li.num_named_barrier, 0
	.set _ZL29rocblas_internal_gemmt_kernelIlLi16ELi32ELi8ELc78ELc78ELc76ELb0ELb0EffPKPKfPKPfEviT_T9_T10_S7_lS9_S7_lS8_T11_S7_li.private_seg_size, 0
	.set _ZL29rocblas_internal_gemmt_kernelIlLi16ELi32ELi8ELc78ELc78ELc76ELb0ELb0EffPKPKfPKPfEviT_T9_T10_S7_lS9_S7_lS8_T11_S7_li.uses_vcc, 1
	.set _ZL29rocblas_internal_gemmt_kernelIlLi16ELi32ELi8ELc78ELc78ELc76ELb0ELb0EffPKPKfPKPfEviT_T9_T10_S7_lS9_S7_lS8_T11_S7_li.uses_flat_scratch, 0
	.set _ZL29rocblas_internal_gemmt_kernelIlLi16ELi32ELi8ELc78ELc78ELc76ELb0ELb0EffPKPKfPKPfEviT_T9_T10_S7_lS9_S7_lS8_T11_S7_li.has_dyn_sized_stack, 0
	.set _ZL29rocblas_internal_gemmt_kernelIlLi16ELi32ELi8ELc78ELc78ELc76ELb0ELb0EffPKPKfPKPfEviT_T9_T10_S7_lS9_S7_lS8_T11_S7_li.has_recursion, 0
	.set _ZL29rocblas_internal_gemmt_kernelIlLi16ELi32ELi8ELc78ELc78ELc76ELb0ELb0EffPKPKfPKPfEviT_T9_T10_S7_lS9_S7_lS8_T11_S7_li.has_indirect_call, 0
	.section	.AMDGPU.csdata,"",@progbits
; Kernel info:
; codeLenInByte = 1336
; TotalNumSgprs: 37
; NumVgprs: 50
; NumAgprs: 0
; TotalNumVgprs: 50
; ScratchSize: 0
; MemoryBound: 0
; FloatMode: 240
; IeeeMode: 1
; LDSByteSize: 2048 bytes/workgroup (compile time only)
; SGPRBlocks: 4
; VGPRBlocks: 6
; NumSGPRsForWavesPerEU: 37
; NumVGPRsForWavesPerEU: 50
; AccumOffset: 52
; Occupancy: 8
; WaveLimiterHint : 1
; COMPUTE_PGM_RSRC2:SCRATCH_EN: 0
; COMPUTE_PGM_RSRC2:USER_SGPR: 2
; COMPUTE_PGM_RSRC2:TRAP_HANDLER: 0
; COMPUTE_PGM_RSRC2:TGID_X_EN: 1
; COMPUTE_PGM_RSRC2:TGID_Y_EN: 1
; COMPUTE_PGM_RSRC2:TGID_Z_EN: 1
; COMPUTE_PGM_RSRC2:TIDIG_COMP_CNT: 1
; COMPUTE_PGM_RSRC3_GFX90A:ACCUM_OFFSET: 12
; COMPUTE_PGM_RSRC3_GFX90A:TG_SPLIT: 0
	.section	.text._ZL29rocblas_internal_gemmt_kernelIlLi16ELi32ELi8ELc78ELc84ELc76ELb0ELb0EffPKPKfPKPfEviT_T9_T10_S7_lS9_S7_lS8_T11_S7_li,"axG",@progbits,_ZL29rocblas_internal_gemmt_kernelIlLi16ELi32ELi8ELc78ELc84ELc76ELb0ELb0EffPKPKfPKPfEviT_T9_T10_S7_lS9_S7_lS8_T11_S7_li,comdat
	.globl	_ZL29rocblas_internal_gemmt_kernelIlLi16ELi32ELi8ELc78ELc84ELc76ELb0ELb0EffPKPKfPKPfEviT_T9_T10_S7_lS9_S7_lS8_T11_S7_li ; -- Begin function _ZL29rocblas_internal_gemmt_kernelIlLi16ELi32ELi8ELc78ELc84ELc76ELb0ELb0EffPKPKfPKPfEviT_T9_T10_S7_lS9_S7_lS8_T11_S7_li
	.p2align	8
	.type	_ZL29rocblas_internal_gemmt_kernelIlLi16ELi32ELi8ELc78ELc84ELc76ELb0ELb0EffPKPKfPKPfEviT_T9_T10_S7_lS9_S7_lS8_T11_S7_li,@function
_ZL29rocblas_internal_gemmt_kernelIlLi16ELi32ELi8ELc78ELc84ELc76ELb0ELb0EffPKPKfPKPfEviT_T9_T10_S7_lS9_S7_lS8_T11_S7_li: ; @_ZL29rocblas_internal_gemmt_kernelIlLi16ELi32ELi8ELc78ELc84ELc76ELb0ELb0EffPKPKfPKPfEviT_T9_T10_S7_lS9_S7_lS8_T11_S7_li
; %bb.0:
	s_load_dword s26, s[0:1], 0x48
	s_load_dwordx2 s[20:21], s[0:1], 0x8
	s_load_dword s27, s[0:1], 0x10
	s_waitcnt lgkmcnt(0)
	v_cmp_neq_f32_e64 s[6:7], s26, 1.0
	s_and_b64 vcc, exec, s[6:7]
	s_cbranch_vccnz .LBB460_2
; %bb.1:
	s_cmp_lg_u64 s[20:21], 0
	s_cselect_b64 s[6:7], -1, 0
	v_cmp_neq_f32_e64 s[8:9], s27, 0
	s_and_b64 s[6:7], s[6:7], s[8:9]
.LBB460_2:
	s_andn2_b64 vcc, exec, s[6:7]
	s_cbranch_vccnz .LBB460_28
; %bb.3:
	s_load_dwordx2 s[22:23], s[0:1], 0x60
	s_load_dword s28, s[0:1], 0x0
	s_load_dwordx4 s[12:15], s[0:1], 0x50
	s_mov_b32 s5, 0
	s_lshl_b64 s[24:25], s[4:5], 3
	v_mov_b32_e32 v5, 0
	v_and_b32_e32 v3, 0x3ff, v0
	s_waitcnt lgkmcnt(0)
	s_add_u32 s4, s12, s24
	s_addc_u32 s5, s13, s25
	s_load_dwordx2 s[12:13], s[4:5], 0x0
	s_lshl_b32 s29, s2, 5
	s_lshl_b32 s30, s3, 5
	v_cmp_eq_f32_e64 s[2:3], s27, 0
	v_cmp_lt_i64_e64 s[4:5], s[20:21], 1
	s_or_b64 s[2:3], s[2:3], s[4:5]
	v_bfe_u32 v7, v0, 10, 10
	s_and_b64 vcc, exec, s[2:3]
	v_mov_b32_e32 v4, v5
	v_mov_b32_e32 v1, v5
	v_mov_b32_e32 v0, v5
	s_cbranch_vccnz .LBB460_12
; %bb.4:
	s_load_dwordx8 s[4:11], s[0:1], 0x18
	s_load_dwordx4 s[16:19], s[0:1], 0x38
	v_lshl_add_u32 v0, v7, 4, v3
	v_and_b32_e32 v5, 31, v0
	v_lshrrev_b32_e32 v6, 5, v0
	s_waitcnt lgkmcnt(0)
	s_add_u32 s0, s10, s24
	s_addc_u32 s1, s11, s25
	s_load_dwordx2 s[0:1], s[0:1], 0x0
	s_lshl_b64 s[2:3], s[18:19], 2
	v_or_b32_e32 v4, s29, v5
	v_lshlrev_b32_e32 v5, 2, v5
	v_and_b32_e32 v2, 7, v3
	s_waitcnt lgkmcnt(0)
	s_add_u32 s10, s0, s2
	s_addc_u32 s11, s1, s3
	s_add_u32 s0, s4, s24
	s_addc_u32 s1, s5, s25
	s_load_dwordx2 s[2:3], s[0:1], 0x0
	s_lshl_b64 s[4:5], s[8:9], 2
	v_lshl_or_b32 v14, v6, 7, v5
	v_ashrrev_i32_e32 v5, 31, v4
	v_lshrrev_b32_e32 v1, 3, v0
	s_waitcnt lgkmcnt(0)
	s_add_u32 s2, s2, s4
	s_addc_u32 s3, s3, s5
	v_cmp_gt_i32_e64 s[0:1], s28, v4
	v_lshl_add_u64 v[8:9], v[4:5], 2, s[2:3]
	v_lshlrev_b32_e32 v4, 2, v2
	v_add_u32_e32 v0, s30, v1
	v_lshl_or_b32 v1, v1, 5, v4
	v_add_u32_e32 v15, 0x400, v1
	v_ashrrev_i32_e32 v1, 31, v0
	v_cmp_gt_i32_e64 s[2:3], s28, v0
	v_lshl_add_u64 v[10:11], v[0:1], 2, s[10:11]
	v_mov_b32_e32 v0, 0x400
	v_mov_b32_e32 v13, 0
	v_lshlrev_b32_e32 v16, 2, v3
	v_lshl_add_u32 v17, v7, 5, v0
	s_mov_b64 s[4:5], 0
	v_mov_b32_e32 v0, v13
	v_mov_b32_e32 v1, v13
	;; [unrolled: 1-line block ×4, first 2 shown]
	s_branch .LBB460_6
.LBB460_5:                              ;   in Loop: Header=BB460_6 Depth=1
	s_or_b64 exec, exec, s[8:9]
	s_waitcnt vmcnt(0) lgkmcnt(0)
	ds_write_b32 v15, v18
	s_waitcnt lgkmcnt(0)
	s_barrier
	ds_read_b128 v[18:21], v17
	ds_read_b128 v[22:25], v17 offset:16
	ds_read2_b32 v[34:35], v16 offset1:16
	ds_read2_b32 v[36:37], v16 offset0:32 offset1:48
	ds_read2_b32 v[38:39], v16 offset0:64 offset1:80
	;; [unrolled: 1-line block ×4, first 2 shown]
	ds_read_b128 v[26:29], v17 offset:512
	ds_read_b128 v[30:33], v17 offset:528
	ds_read2_b32 v[44:45], v16 offset0:160 offset1:176
	ds_read2_b32 v[46:47], v16 offset0:192 offset1:208
	;; [unrolled: 1-line block ×3, first 2 shown]
	s_waitcnt lgkmcnt(9)
	v_pk_fma_f32 v[4:5], v[34:35], v[18:19], v[4:5] op_sel_hi:[1,0,1]
	v_mov_b32_e32 v12, v21
	s_waitcnt lgkmcnt(8)
	v_pk_fma_f32 v[4:5], v[36:37], v[18:19], v[4:5] op_sel:[0,1,0]
	s_waitcnt lgkmcnt(4)
	v_pk_fma_f32 v[0:1], v[34:35], v[26:27], v[0:1] op_sel_hi:[1,0,1]
	v_pk_fma_f32 v[4:5], v[38:39], v[20:21], v[4:5] op_sel_hi:[1,0,1]
	v_pk_fma_f32 v[0:1], v[36:37], v[26:27], v[0:1] op_sel:[0,1,0]
	v_pk_fma_f32 v[4:5], v[40:41], v[12:13], v[4:5] op_sel_hi:[1,0,1]
	v_mov_b32_e32 v12, v25
	v_pk_fma_f32 v[4:5], v[42:43], v[22:23], v[4:5] op_sel_hi:[1,0,1]
	v_pk_fma_f32 v[0:1], v[38:39], v[28:29], v[0:1] op_sel_hi:[1,0,1]
	s_waitcnt lgkmcnt(2)
	v_pk_fma_f32 v[4:5], v[44:45], v[22:23], v[4:5] op_sel:[0,1,0]
	s_add_u32 s4, s4, 8
	s_waitcnt lgkmcnt(1)
	v_pk_fma_f32 v[4:5], v[46:47], v[24:25], v[4:5] op_sel_hi:[1,0,1]
	s_addc_u32 s5, s5, 0
	s_waitcnt lgkmcnt(0)
	v_pk_fma_f32 v[4:5], v[48:49], v[12:13], v[4:5] op_sel_hi:[1,0,1]
	v_mov_b32_e32 v12, v29
	v_pk_fma_f32 v[0:1], v[40:41], v[12:13], v[0:1] op_sel_hi:[1,0,1]
	v_mov_b64_e32 v[18:19], s[4:5]
	v_pk_fma_f32 v[0:1], v[42:43], v[30:31], v[0:1] op_sel_hi:[1,0,1]
	v_mov_b32_e32 v12, v33
	v_pk_fma_f32 v[0:1], v[44:45], v[30:31], v[0:1] op_sel:[0,1,0]
	v_cmp_gt_i64_e32 vcc, s[20:21], v[18:19]
	v_pk_fma_f32 v[0:1], v[46:47], v[32:33], v[0:1] op_sel_hi:[1,0,1]
	s_nop 0
	v_pk_fma_f32 v[0:1], v[48:49], v[12:13], v[0:1] op_sel_hi:[1,0,1]
	s_barrier
	s_cbranch_vccz .LBB460_12
.LBB460_6:                              ; =>This Inner Loop Header: Depth=1
	v_mov_b32_e32 v18, 0
	s_and_saveexec_b64 s[8:9], s[0:1]
	s_cbranch_execz .LBB460_10
; %bb.7:                                ;   in Loop: Header=BB460_6 Depth=1
	v_add_u32_e32 v12, s4, v6
	v_cmp_gt_u64_e32 vcc, s[20:21], v[12:13]
	v_mov_b32_e32 v18, 0
	s_and_saveexec_b64 s[10:11], vcc
	s_cbranch_execz .LBB460_9
; %bb.8:                                ;   in Loop: Header=BB460_6 Depth=1
	v_mad_u64_u32 v[18:19], s[18:19], s6, v12, 0
	v_mov_b32_e32 v20, v19
	v_mad_u64_u32 v[20:21], s[18:19], s7, v12, v[20:21]
	v_mov_b32_e32 v19, v20
	v_lshl_add_u64 v[18:19], v[18:19], 2, v[8:9]
	flat_load_dword v18, v[18:19]
.LBB460_9:                              ;   in Loop: Header=BB460_6 Depth=1
	s_or_b64 exec, exec, s[10:11]
.LBB460_10:                             ;   in Loop: Header=BB460_6 Depth=1
	s_or_b64 exec, exec, s[8:9]
	v_add_u32_e32 v12, s4, v2
	v_cmp_gt_u64_e32 vcc, s[20:21], v[12:13]
	s_waitcnt vmcnt(0) lgkmcnt(0)
	ds_write_b32 v14, v18
	s_and_b64 s[10:11], vcc, s[2:3]
	v_mov_b32_e32 v18, 0
	s_and_saveexec_b64 s[8:9], s[10:11]
	s_cbranch_execz .LBB460_5
; %bb.11:                               ;   in Loop: Header=BB460_6 Depth=1
	v_mad_u64_u32 v[18:19], s[10:11], s16, v12, 0
	v_mov_b32_e32 v20, v19
	v_mad_u64_u32 v[20:21], s[10:11], s17, v12, v[20:21]
	v_mov_b32_e32 v19, v20
	v_lshl_add_u64 v[18:19], v[18:19], 2, v[10:11]
	flat_load_dword v18, v[18:19]
	s_branch .LBB460_5
.LBB460_12:
	s_lshl_b64 s[0:1], s[22:23], 2
	v_add_u32_e32 v10, s30, v7
	s_waitcnt lgkmcnt(0)
	s_add_u32 s6, s12, s0
	v_add_u32_e32 v2, s29, v3
	v_ashrrev_i32_e32 v3, 31, v10
	s_addc_u32 s7, s13, s1
	v_mul_lo_u32 v3, s14, v3
	v_mul_lo_u32 v8, s15, v10
	v_mad_u64_u32 v[6:7], s[0:1], s14, v10, 0
	v_add3_u32 v7, v7, v3, v8
	v_cmp_neq_f32_e64 s[0:1], s26, 0
	v_lshl_add_u64 v[8:9], v[6:7], 2, s[6:7]
	v_cmp_le_i32_e32 vcc, v10, v2
	v_cmp_gt_i32_e64 s[2:3], s28, v2
	v_cndmask_b32_e64 v6, 0, 1, s[0:1]
	s_and_b64 s[8:9], vcc, s[2:3]
	v_ashrrev_i32_e32 v3, 31, v2
	v_cmp_ne_u32_e64 s[0:1], 1, v6
	s_and_saveexec_b64 s[4:5], s[8:9]
	s_cbranch_execz .LBB460_16
; %bb.13:
	v_mul_f32_e32 v4, s27, v4
	s_and_b64 vcc, exec, s[0:1]
	v_lshl_add_u64 v[6:7], v[2:3], 2, v[8:9]
	s_cbranch_vccnz .LBB460_15
; %bb.14:
	flat_load_dword v11, v[6:7]
	s_waitcnt vmcnt(0) lgkmcnt(0)
	v_fmac_f32_e32 v4, s26, v11
.LBB460_15:
	flat_store_dword v[6:7], v4
.LBB460_16:
	s_or_b64 exec, exec, s[4:5]
	v_add_u32_e32 v6, 16, v2
	v_cmp_le_i32_e32 vcc, v10, v6
	v_cmp_gt_i32_e64 s[4:5], s28, v6
	s_and_b64 s[10:11], vcc, s[4:5]
	v_ashrrev_i32_e32 v7, 31, v6
	s_and_saveexec_b64 s[8:9], s[10:11]
	s_cbranch_execz .LBB460_20
; %bb.17:
	v_mul_f32_e32 v11, s27, v5
	s_and_b64 vcc, exec, s[0:1]
	v_lshl_add_u64 v[4:5], v[6:7], 2, v[8:9]
	s_cbranch_vccnz .LBB460_19
; %bb.18:
	flat_load_dword v8, v[4:5]
	s_waitcnt vmcnt(0) lgkmcnt(0)
	v_fmac_f32_e32 v11, s26, v8
.LBB460_19:
	flat_store_dword v[4:5], v11
.LBB460_20:
	s_or_b64 exec, exec, s[8:9]
	v_add_u32_e32 v8, 16, v10
	v_ashrrev_i32_e32 v4, 31, v8
	v_mul_lo_u32 v9, s14, v4
	v_mul_lo_u32 v10, s15, v8
	v_mad_u64_u32 v[4:5], s[8:9], s14, v8, 0
	v_add3_u32 v5, v5, v9, v10
	v_cmp_le_i32_e32 vcc, v8, v2
	v_lshl_add_u64 v[4:5], v[4:5], 2, s[6:7]
	s_and_b64 s[6:7], vcc, s[2:3]
	s_and_saveexec_b64 s[2:3], s[6:7]
	s_cbranch_execz .LBB460_24
; %bb.21:
	v_mul_f32_e32 v0, s27, v0
	s_and_b64 vcc, exec, s[0:1]
	v_lshl_add_u64 v[2:3], v[2:3], 2, v[4:5]
	s_cbranch_vccnz .LBB460_23
; %bb.22:
	flat_load_dword v9, v[2:3]
	s_waitcnt vmcnt(0) lgkmcnt(0)
	v_fmac_f32_e32 v0, s26, v9
.LBB460_23:
	flat_store_dword v[2:3], v0
.LBB460_24:
	s_or_b64 exec, exec, s[2:3]
	v_cmp_le_i32_e32 vcc, v8, v6
	s_and_b64 s[2:3], vcc, s[4:5]
	s_and_saveexec_b64 s[4:5], s[2:3]
	s_cbranch_execz .LBB460_28
; %bb.25:
	v_mul_f32_e32 v2, s27, v1
	s_and_b64 vcc, exec, s[0:1]
	v_lshl_add_u64 v[0:1], v[6:7], 2, v[4:5]
	s_cbranch_vccnz .LBB460_27
; %bb.26:
	flat_load_dword v3, v[0:1]
	s_waitcnt vmcnt(0) lgkmcnt(0)
	v_fmac_f32_e32 v2, s26, v3
.LBB460_27:
	flat_store_dword v[0:1], v2
.LBB460_28:
	s_endpgm
	.section	.rodata,"a",@progbits
	.p2align	6, 0x0
	.amdhsa_kernel _ZL29rocblas_internal_gemmt_kernelIlLi16ELi32ELi8ELc78ELc84ELc76ELb0ELb0EffPKPKfPKPfEviT_T9_T10_S7_lS9_S7_lS8_T11_S7_li
		.amdhsa_group_segment_fixed_size 2048
		.amdhsa_private_segment_fixed_size 0
		.amdhsa_kernarg_size 108
		.amdhsa_user_sgpr_count 2
		.amdhsa_user_sgpr_dispatch_ptr 0
		.amdhsa_user_sgpr_queue_ptr 0
		.amdhsa_user_sgpr_kernarg_segment_ptr 1
		.amdhsa_user_sgpr_dispatch_id 0
		.amdhsa_user_sgpr_kernarg_preload_length 0
		.amdhsa_user_sgpr_kernarg_preload_offset 0
		.amdhsa_user_sgpr_private_segment_size 0
		.amdhsa_uses_dynamic_stack 0
		.amdhsa_enable_private_segment 0
		.amdhsa_system_sgpr_workgroup_id_x 1
		.amdhsa_system_sgpr_workgroup_id_y 1
		.amdhsa_system_sgpr_workgroup_id_z 1
		.amdhsa_system_sgpr_workgroup_info 0
		.amdhsa_system_vgpr_workitem_id 1
		.amdhsa_next_free_vgpr 50
		.amdhsa_next_free_sgpr 31
		.amdhsa_accum_offset 52
		.amdhsa_reserve_vcc 1
		.amdhsa_float_round_mode_32 0
		.amdhsa_float_round_mode_16_64 0
		.amdhsa_float_denorm_mode_32 3
		.amdhsa_float_denorm_mode_16_64 3
		.amdhsa_dx10_clamp 1
		.amdhsa_ieee_mode 1
		.amdhsa_fp16_overflow 0
		.amdhsa_tg_split 0
		.amdhsa_exception_fp_ieee_invalid_op 0
		.amdhsa_exception_fp_denorm_src 0
		.amdhsa_exception_fp_ieee_div_zero 0
		.amdhsa_exception_fp_ieee_overflow 0
		.amdhsa_exception_fp_ieee_underflow 0
		.amdhsa_exception_fp_ieee_inexact 0
		.amdhsa_exception_int_div_zero 0
	.end_amdhsa_kernel
	.section	.text._ZL29rocblas_internal_gemmt_kernelIlLi16ELi32ELi8ELc78ELc84ELc76ELb0ELb0EffPKPKfPKPfEviT_T9_T10_S7_lS9_S7_lS8_T11_S7_li,"axG",@progbits,_ZL29rocblas_internal_gemmt_kernelIlLi16ELi32ELi8ELc78ELc84ELc76ELb0ELb0EffPKPKfPKPfEviT_T9_T10_S7_lS9_S7_lS8_T11_S7_li,comdat
.Lfunc_end460:
	.size	_ZL29rocblas_internal_gemmt_kernelIlLi16ELi32ELi8ELc78ELc84ELc76ELb0ELb0EffPKPKfPKPfEviT_T9_T10_S7_lS9_S7_lS8_T11_S7_li, .Lfunc_end460-_ZL29rocblas_internal_gemmt_kernelIlLi16ELi32ELi8ELc78ELc84ELc76ELb0ELb0EffPKPKfPKPfEviT_T9_T10_S7_lS9_S7_lS8_T11_S7_li
                                        ; -- End function
	.set _ZL29rocblas_internal_gemmt_kernelIlLi16ELi32ELi8ELc78ELc84ELc76ELb0ELb0EffPKPKfPKPfEviT_T9_T10_S7_lS9_S7_lS8_T11_S7_li.num_vgpr, 50
	.set _ZL29rocblas_internal_gemmt_kernelIlLi16ELi32ELi8ELc78ELc84ELc76ELb0ELb0EffPKPKfPKPfEviT_T9_T10_S7_lS9_S7_lS8_T11_S7_li.num_agpr, 0
	.set _ZL29rocblas_internal_gemmt_kernelIlLi16ELi32ELi8ELc78ELc84ELc76ELb0ELb0EffPKPKfPKPfEviT_T9_T10_S7_lS9_S7_lS8_T11_S7_li.numbered_sgpr, 31
	.set _ZL29rocblas_internal_gemmt_kernelIlLi16ELi32ELi8ELc78ELc84ELc76ELb0ELb0EffPKPKfPKPfEviT_T9_T10_S7_lS9_S7_lS8_T11_S7_li.num_named_barrier, 0
	.set _ZL29rocblas_internal_gemmt_kernelIlLi16ELi32ELi8ELc78ELc84ELc76ELb0ELb0EffPKPKfPKPfEviT_T9_T10_S7_lS9_S7_lS8_T11_S7_li.private_seg_size, 0
	.set _ZL29rocblas_internal_gemmt_kernelIlLi16ELi32ELi8ELc78ELc84ELc76ELb0ELb0EffPKPKfPKPfEviT_T9_T10_S7_lS9_S7_lS8_T11_S7_li.uses_vcc, 1
	.set _ZL29rocblas_internal_gemmt_kernelIlLi16ELi32ELi8ELc78ELc84ELc76ELb0ELb0EffPKPKfPKPfEviT_T9_T10_S7_lS9_S7_lS8_T11_S7_li.uses_flat_scratch, 0
	.set _ZL29rocblas_internal_gemmt_kernelIlLi16ELi32ELi8ELc78ELc84ELc76ELb0ELb0EffPKPKfPKPfEviT_T9_T10_S7_lS9_S7_lS8_T11_S7_li.has_dyn_sized_stack, 0
	.set _ZL29rocblas_internal_gemmt_kernelIlLi16ELi32ELi8ELc78ELc84ELc76ELb0ELb0EffPKPKfPKPfEviT_T9_T10_S7_lS9_S7_lS8_T11_S7_li.has_recursion, 0
	.set _ZL29rocblas_internal_gemmt_kernelIlLi16ELi32ELi8ELc78ELc84ELc76ELb0ELb0EffPKPKfPKPfEviT_T9_T10_S7_lS9_S7_lS8_T11_S7_li.has_indirect_call, 0
	.section	.AMDGPU.csdata,"",@progbits
; Kernel info:
; codeLenInByte = 1328
; TotalNumSgprs: 37
; NumVgprs: 50
; NumAgprs: 0
; TotalNumVgprs: 50
; ScratchSize: 0
; MemoryBound: 0
; FloatMode: 240
; IeeeMode: 1
; LDSByteSize: 2048 bytes/workgroup (compile time only)
; SGPRBlocks: 4
; VGPRBlocks: 6
; NumSGPRsForWavesPerEU: 37
; NumVGPRsForWavesPerEU: 50
; AccumOffset: 52
; Occupancy: 8
; WaveLimiterHint : 1
; COMPUTE_PGM_RSRC2:SCRATCH_EN: 0
; COMPUTE_PGM_RSRC2:USER_SGPR: 2
; COMPUTE_PGM_RSRC2:TRAP_HANDLER: 0
; COMPUTE_PGM_RSRC2:TGID_X_EN: 1
; COMPUTE_PGM_RSRC2:TGID_Y_EN: 1
; COMPUTE_PGM_RSRC2:TGID_Z_EN: 1
; COMPUTE_PGM_RSRC2:TIDIG_COMP_CNT: 1
; COMPUTE_PGM_RSRC3_GFX90A:ACCUM_OFFSET: 12
; COMPUTE_PGM_RSRC3_GFX90A:TG_SPLIT: 0
	.section	.text._ZL29rocblas_internal_gemmt_kernelIlLi16ELi32ELi8ELc78ELc67ELc76ELb0ELb0EffPKPKfPKPfEviT_T9_T10_S7_lS9_S7_lS8_T11_S7_li,"axG",@progbits,_ZL29rocblas_internal_gemmt_kernelIlLi16ELi32ELi8ELc78ELc67ELc76ELb0ELb0EffPKPKfPKPfEviT_T9_T10_S7_lS9_S7_lS8_T11_S7_li,comdat
	.globl	_ZL29rocblas_internal_gemmt_kernelIlLi16ELi32ELi8ELc78ELc67ELc76ELb0ELb0EffPKPKfPKPfEviT_T9_T10_S7_lS9_S7_lS8_T11_S7_li ; -- Begin function _ZL29rocblas_internal_gemmt_kernelIlLi16ELi32ELi8ELc78ELc67ELc76ELb0ELb0EffPKPKfPKPfEviT_T9_T10_S7_lS9_S7_lS8_T11_S7_li
	.p2align	8
	.type	_ZL29rocblas_internal_gemmt_kernelIlLi16ELi32ELi8ELc78ELc67ELc76ELb0ELb0EffPKPKfPKPfEviT_T9_T10_S7_lS9_S7_lS8_T11_S7_li,@function
_ZL29rocblas_internal_gemmt_kernelIlLi16ELi32ELi8ELc78ELc67ELc76ELb0ELb0EffPKPKfPKPfEviT_T9_T10_S7_lS9_S7_lS8_T11_S7_li: ; @_ZL29rocblas_internal_gemmt_kernelIlLi16ELi32ELi8ELc78ELc67ELc76ELb0ELb0EffPKPKfPKPfEviT_T9_T10_S7_lS9_S7_lS8_T11_S7_li
; %bb.0:
	s_load_dword s26, s[0:1], 0x48
	s_load_dwordx2 s[20:21], s[0:1], 0x8
	s_load_dword s27, s[0:1], 0x10
	s_waitcnt lgkmcnt(0)
	v_cmp_neq_f32_e64 s[6:7], s26, 1.0
	s_and_b64 vcc, exec, s[6:7]
	s_cbranch_vccnz .LBB461_2
; %bb.1:
	s_cmp_lg_u64 s[20:21], 0
	s_cselect_b64 s[6:7], -1, 0
	v_cmp_neq_f32_e64 s[8:9], s27, 0
	s_and_b64 s[6:7], s[6:7], s[8:9]
.LBB461_2:
	s_andn2_b64 vcc, exec, s[6:7]
	s_cbranch_vccnz .LBB461_28
; %bb.3:
	s_load_dwordx2 s[22:23], s[0:1], 0x60
	s_load_dword s28, s[0:1], 0x0
	s_load_dwordx4 s[12:15], s[0:1], 0x50
	s_mov_b32 s5, 0
	s_lshl_b64 s[24:25], s[4:5], 3
	v_mov_b32_e32 v5, 0
	v_and_b32_e32 v3, 0x3ff, v0
	s_waitcnt lgkmcnt(0)
	s_add_u32 s4, s12, s24
	s_addc_u32 s5, s13, s25
	s_load_dwordx2 s[12:13], s[4:5], 0x0
	s_lshl_b32 s29, s2, 5
	s_lshl_b32 s30, s3, 5
	v_cmp_eq_f32_e64 s[2:3], s27, 0
	v_cmp_lt_i64_e64 s[4:5], s[20:21], 1
	s_or_b64 s[2:3], s[2:3], s[4:5]
	v_bfe_u32 v7, v0, 10, 10
	s_and_b64 vcc, exec, s[2:3]
	v_mov_b32_e32 v4, v5
	v_mov_b32_e32 v1, v5
	;; [unrolled: 1-line block ×3, first 2 shown]
	s_cbranch_vccnz .LBB461_12
; %bb.4:
	s_load_dwordx8 s[4:11], s[0:1], 0x18
	s_load_dwordx4 s[16:19], s[0:1], 0x38
	v_lshl_add_u32 v0, v7, 4, v3
	v_and_b32_e32 v5, 31, v0
	v_lshrrev_b32_e32 v6, 5, v0
	s_waitcnt lgkmcnt(0)
	s_add_u32 s0, s10, s24
	s_addc_u32 s1, s11, s25
	s_load_dwordx2 s[0:1], s[0:1], 0x0
	s_lshl_b64 s[2:3], s[18:19], 2
	v_or_b32_e32 v4, s29, v5
	v_lshlrev_b32_e32 v5, 2, v5
	v_and_b32_e32 v2, 7, v3
	s_waitcnt lgkmcnt(0)
	s_add_u32 s10, s0, s2
	s_addc_u32 s11, s1, s3
	s_add_u32 s0, s4, s24
	s_addc_u32 s1, s5, s25
	s_load_dwordx2 s[2:3], s[0:1], 0x0
	s_lshl_b64 s[4:5], s[8:9], 2
	v_lshl_or_b32 v14, v6, 7, v5
	v_ashrrev_i32_e32 v5, 31, v4
	v_lshrrev_b32_e32 v1, 3, v0
	s_waitcnt lgkmcnt(0)
	s_add_u32 s2, s2, s4
	s_addc_u32 s3, s3, s5
	v_cmp_gt_i32_e64 s[0:1], s28, v4
	v_lshl_add_u64 v[8:9], v[4:5], 2, s[2:3]
	v_lshlrev_b32_e32 v4, 2, v2
	v_add_u32_e32 v0, s30, v1
	v_lshl_or_b32 v1, v1, 5, v4
	v_add_u32_e32 v15, 0x400, v1
	v_ashrrev_i32_e32 v1, 31, v0
	v_cmp_gt_i32_e64 s[2:3], s28, v0
	v_lshl_add_u64 v[10:11], v[0:1], 2, s[10:11]
	v_mov_b32_e32 v0, 0x400
	v_mov_b32_e32 v13, 0
	v_lshlrev_b32_e32 v16, 2, v3
	v_lshl_add_u32 v17, v7, 5, v0
	s_mov_b64 s[4:5], 0
	v_mov_b32_e32 v0, v13
	v_mov_b32_e32 v1, v13
	;; [unrolled: 1-line block ×4, first 2 shown]
	s_branch .LBB461_6
.LBB461_5:                              ;   in Loop: Header=BB461_6 Depth=1
	s_or_b64 exec, exec, s[8:9]
	s_waitcnt vmcnt(0) lgkmcnt(0)
	ds_write_b32 v15, v18
	s_waitcnt lgkmcnt(0)
	s_barrier
	ds_read_b128 v[18:21], v17
	ds_read_b128 v[22:25], v17 offset:16
	ds_read2_b32 v[34:35], v16 offset1:16
	ds_read2_b32 v[36:37], v16 offset0:32 offset1:48
	ds_read2_b32 v[38:39], v16 offset0:64 offset1:80
	;; [unrolled: 1-line block ×4, first 2 shown]
	ds_read_b128 v[26:29], v17 offset:512
	ds_read_b128 v[30:33], v17 offset:528
	ds_read2_b32 v[44:45], v16 offset0:160 offset1:176
	ds_read2_b32 v[46:47], v16 offset0:192 offset1:208
	;; [unrolled: 1-line block ×3, first 2 shown]
	s_waitcnt lgkmcnt(9)
	v_pk_fma_f32 v[4:5], v[34:35], v[18:19], v[4:5] op_sel_hi:[1,0,1]
	v_mov_b32_e32 v12, v21
	s_waitcnt lgkmcnt(8)
	v_pk_fma_f32 v[4:5], v[36:37], v[18:19], v[4:5] op_sel:[0,1,0]
	s_waitcnt lgkmcnt(4)
	v_pk_fma_f32 v[0:1], v[34:35], v[26:27], v[0:1] op_sel_hi:[1,0,1]
	v_pk_fma_f32 v[4:5], v[38:39], v[20:21], v[4:5] op_sel_hi:[1,0,1]
	v_pk_fma_f32 v[0:1], v[36:37], v[26:27], v[0:1] op_sel:[0,1,0]
	v_pk_fma_f32 v[4:5], v[40:41], v[12:13], v[4:5] op_sel_hi:[1,0,1]
	v_mov_b32_e32 v12, v25
	v_pk_fma_f32 v[4:5], v[42:43], v[22:23], v[4:5] op_sel_hi:[1,0,1]
	v_pk_fma_f32 v[0:1], v[38:39], v[28:29], v[0:1] op_sel_hi:[1,0,1]
	s_waitcnt lgkmcnt(2)
	v_pk_fma_f32 v[4:5], v[44:45], v[22:23], v[4:5] op_sel:[0,1,0]
	s_add_u32 s4, s4, 8
	s_waitcnt lgkmcnt(1)
	v_pk_fma_f32 v[4:5], v[46:47], v[24:25], v[4:5] op_sel_hi:[1,0,1]
	s_addc_u32 s5, s5, 0
	s_waitcnt lgkmcnt(0)
	v_pk_fma_f32 v[4:5], v[48:49], v[12:13], v[4:5] op_sel_hi:[1,0,1]
	v_mov_b32_e32 v12, v29
	v_pk_fma_f32 v[0:1], v[40:41], v[12:13], v[0:1] op_sel_hi:[1,0,1]
	v_mov_b64_e32 v[18:19], s[4:5]
	v_pk_fma_f32 v[0:1], v[42:43], v[30:31], v[0:1] op_sel_hi:[1,0,1]
	v_mov_b32_e32 v12, v33
	v_pk_fma_f32 v[0:1], v[44:45], v[30:31], v[0:1] op_sel:[0,1,0]
	v_cmp_gt_i64_e32 vcc, s[20:21], v[18:19]
	v_pk_fma_f32 v[0:1], v[46:47], v[32:33], v[0:1] op_sel_hi:[1,0,1]
	s_nop 0
	v_pk_fma_f32 v[0:1], v[48:49], v[12:13], v[0:1] op_sel_hi:[1,0,1]
	s_barrier
	s_cbranch_vccz .LBB461_12
.LBB461_6:                              ; =>This Inner Loop Header: Depth=1
	v_mov_b32_e32 v18, 0
	s_and_saveexec_b64 s[8:9], s[0:1]
	s_cbranch_execz .LBB461_10
; %bb.7:                                ;   in Loop: Header=BB461_6 Depth=1
	v_add_u32_e32 v12, s4, v6
	v_cmp_gt_u64_e32 vcc, s[20:21], v[12:13]
	v_mov_b32_e32 v18, 0
	s_and_saveexec_b64 s[10:11], vcc
	s_cbranch_execz .LBB461_9
; %bb.8:                                ;   in Loop: Header=BB461_6 Depth=1
	v_mad_u64_u32 v[18:19], s[18:19], s6, v12, 0
	v_mov_b32_e32 v20, v19
	v_mad_u64_u32 v[20:21], s[18:19], s7, v12, v[20:21]
	v_mov_b32_e32 v19, v20
	v_lshl_add_u64 v[18:19], v[18:19], 2, v[8:9]
	flat_load_dword v18, v[18:19]
.LBB461_9:                              ;   in Loop: Header=BB461_6 Depth=1
	s_or_b64 exec, exec, s[10:11]
.LBB461_10:                             ;   in Loop: Header=BB461_6 Depth=1
	s_or_b64 exec, exec, s[8:9]
	v_add_u32_e32 v12, s4, v2
	v_cmp_gt_u64_e32 vcc, s[20:21], v[12:13]
	s_waitcnt vmcnt(0) lgkmcnt(0)
	ds_write_b32 v14, v18
	s_and_b64 s[10:11], vcc, s[2:3]
	v_mov_b32_e32 v18, 0
	s_and_saveexec_b64 s[8:9], s[10:11]
	s_cbranch_execz .LBB461_5
; %bb.11:                               ;   in Loop: Header=BB461_6 Depth=1
	v_mad_u64_u32 v[18:19], s[10:11], s16, v12, 0
	v_mov_b32_e32 v20, v19
	v_mad_u64_u32 v[20:21], s[10:11], s17, v12, v[20:21]
	v_mov_b32_e32 v19, v20
	v_lshl_add_u64 v[18:19], v[18:19], 2, v[10:11]
	flat_load_dword v18, v[18:19]
	s_branch .LBB461_5
.LBB461_12:
	s_lshl_b64 s[0:1], s[22:23], 2
	v_add_u32_e32 v10, s30, v7
	s_waitcnt lgkmcnt(0)
	s_add_u32 s6, s12, s0
	v_add_u32_e32 v2, s29, v3
	v_ashrrev_i32_e32 v3, 31, v10
	s_addc_u32 s7, s13, s1
	v_mul_lo_u32 v3, s14, v3
	v_mul_lo_u32 v8, s15, v10
	v_mad_u64_u32 v[6:7], s[0:1], s14, v10, 0
	v_add3_u32 v7, v7, v3, v8
	v_cmp_neq_f32_e64 s[0:1], s26, 0
	v_lshl_add_u64 v[8:9], v[6:7], 2, s[6:7]
	v_cmp_le_i32_e32 vcc, v10, v2
	v_cmp_gt_i32_e64 s[2:3], s28, v2
	v_cndmask_b32_e64 v6, 0, 1, s[0:1]
	s_and_b64 s[8:9], vcc, s[2:3]
	v_ashrrev_i32_e32 v3, 31, v2
	v_cmp_ne_u32_e64 s[0:1], 1, v6
	s_and_saveexec_b64 s[4:5], s[8:9]
	s_cbranch_execz .LBB461_16
; %bb.13:
	v_mul_f32_e32 v4, s27, v4
	s_and_b64 vcc, exec, s[0:1]
	v_lshl_add_u64 v[6:7], v[2:3], 2, v[8:9]
	s_cbranch_vccnz .LBB461_15
; %bb.14:
	flat_load_dword v11, v[6:7]
	s_waitcnt vmcnt(0) lgkmcnt(0)
	v_fmac_f32_e32 v4, s26, v11
.LBB461_15:
	flat_store_dword v[6:7], v4
.LBB461_16:
	s_or_b64 exec, exec, s[4:5]
	v_add_u32_e32 v6, 16, v2
	v_cmp_le_i32_e32 vcc, v10, v6
	v_cmp_gt_i32_e64 s[4:5], s28, v6
	s_and_b64 s[10:11], vcc, s[4:5]
	v_ashrrev_i32_e32 v7, 31, v6
	s_and_saveexec_b64 s[8:9], s[10:11]
	s_cbranch_execz .LBB461_20
; %bb.17:
	v_mul_f32_e32 v11, s27, v5
	s_and_b64 vcc, exec, s[0:1]
	v_lshl_add_u64 v[4:5], v[6:7], 2, v[8:9]
	s_cbranch_vccnz .LBB461_19
; %bb.18:
	flat_load_dword v8, v[4:5]
	s_waitcnt vmcnt(0) lgkmcnt(0)
	v_fmac_f32_e32 v11, s26, v8
.LBB461_19:
	flat_store_dword v[4:5], v11
.LBB461_20:
	s_or_b64 exec, exec, s[8:9]
	v_add_u32_e32 v8, 16, v10
	v_ashrrev_i32_e32 v4, 31, v8
	v_mul_lo_u32 v9, s14, v4
	v_mul_lo_u32 v10, s15, v8
	v_mad_u64_u32 v[4:5], s[8:9], s14, v8, 0
	v_add3_u32 v5, v5, v9, v10
	v_cmp_le_i32_e32 vcc, v8, v2
	v_lshl_add_u64 v[4:5], v[4:5], 2, s[6:7]
	s_and_b64 s[6:7], vcc, s[2:3]
	s_and_saveexec_b64 s[2:3], s[6:7]
	s_cbranch_execz .LBB461_24
; %bb.21:
	v_mul_f32_e32 v0, s27, v0
	s_and_b64 vcc, exec, s[0:1]
	v_lshl_add_u64 v[2:3], v[2:3], 2, v[4:5]
	s_cbranch_vccnz .LBB461_23
; %bb.22:
	flat_load_dword v9, v[2:3]
	s_waitcnt vmcnt(0) lgkmcnt(0)
	v_fmac_f32_e32 v0, s26, v9
.LBB461_23:
	flat_store_dword v[2:3], v0
.LBB461_24:
	s_or_b64 exec, exec, s[2:3]
	v_cmp_le_i32_e32 vcc, v8, v6
	s_and_b64 s[2:3], vcc, s[4:5]
	s_and_saveexec_b64 s[4:5], s[2:3]
	s_cbranch_execz .LBB461_28
; %bb.25:
	v_mul_f32_e32 v2, s27, v1
	s_and_b64 vcc, exec, s[0:1]
	v_lshl_add_u64 v[0:1], v[6:7], 2, v[4:5]
	s_cbranch_vccnz .LBB461_27
; %bb.26:
	flat_load_dword v3, v[0:1]
	s_waitcnt vmcnt(0) lgkmcnt(0)
	v_fmac_f32_e32 v2, s26, v3
.LBB461_27:
	flat_store_dword v[0:1], v2
.LBB461_28:
	s_endpgm
	.section	.rodata,"a",@progbits
	.p2align	6, 0x0
	.amdhsa_kernel _ZL29rocblas_internal_gemmt_kernelIlLi16ELi32ELi8ELc78ELc67ELc76ELb0ELb0EffPKPKfPKPfEviT_T9_T10_S7_lS9_S7_lS8_T11_S7_li
		.amdhsa_group_segment_fixed_size 2048
		.amdhsa_private_segment_fixed_size 0
		.amdhsa_kernarg_size 108
		.amdhsa_user_sgpr_count 2
		.amdhsa_user_sgpr_dispatch_ptr 0
		.amdhsa_user_sgpr_queue_ptr 0
		.amdhsa_user_sgpr_kernarg_segment_ptr 1
		.amdhsa_user_sgpr_dispatch_id 0
		.amdhsa_user_sgpr_kernarg_preload_length 0
		.amdhsa_user_sgpr_kernarg_preload_offset 0
		.amdhsa_user_sgpr_private_segment_size 0
		.amdhsa_uses_dynamic_stack 0
		.amdhsa_enable_private_segment 0
		.amdhsa_system_sgpr_workgroup_id_x 1
		.amdhsa_system_sgpr_workgroup_id_y 1
		.amdhsa_system_sgpr_workgroup_id_z 1
		.amdhsa_system_sgpr_workgroup_info 0
		.amdhsa_system_vgpr_workitem_id 1
		.amdhsa_next_free_vgpr 50
		.amdhsa_next_free_sgpr 31
		.amdhsa_accum_offset 52
		.amdhsa_reserve_vcc 1
		.amdhsa_float_round_mode_32 0
		.amdhsa_float_round_mode_16_64 0
		.amdhsa_float_denorm_mode_32 3
		.amdhsa_float_denorm_mode_16_64 3
		.amdhsa_dx10_clamp 1
		.amdhsa_ieee_mode 1
		.amdhsa_fp16_overflow 0
		.amdhsa_tg_split 0
		.amdhsa_exception_fp_ieee_invalid_op 0
		.amdhsa_exception_fp_denorm_src 0
		.amdhsa_exception_fp_ieee_div_zero 0
		.amdhsa_exception_fp_ieee_overflow 0
		.amdhsa_exception_fp_ieee_underflow 0
		.amdhsa_exception_fp_ieee_inexact 0
		.amdhsa_exception_int_div_zero 0
	.end_amdhsa_kernel
	.section	.text._ZL29rocblas_internal_gemmt_kernelIlLi16ELi32ELi8ELc78ELc67ELc76ELb0ELb0EffPKPKfPKPfEviT_T9_T10_S7_lS9_S7_lS8_T11_S7_li,"axG",@progbits,_ZL29rocblas_internal_gemmt_kernelIlLi16ELi32ELi8ELc78ELc67ELc76ELb0ELb0EffPKPKfPKPfEviT_T9_T10_S7_lS9_S7_lS8_T11_S7_li,comdat
.Lfunc_end461:
	.size	_ZL29rocblas_internal_gemmt_kernelIlLi16ELi32ELi8ELc78ELc67ELc76ELb0ELb0EffPKPKfPKPfEviT_T9_T10_S7_lS9_S7_lS8_T11_S7_li, .Lfunc_end461-_ZL29rocblas_internal_gemmt_kernelIlLi16ELi32ELi8ELc78ELc67ELc76ELb0ELb0EffPKPKfPKPfEviT_T9_T10_S7_lS9_S7_lS8_T11_S7_li
                                        ; -- End function
	.set _ZL29rocblas_internal_gemmt_kernelIlLi16ELi32ELi8ELc78ELc67ELc76ELb0ELb0EffPKPKfPKPfEviT_T9_T10_S7_lS9_S7_lS8_T11_S7_li.num_vgpr, 50
	.set _ZL29rocblas_internal_gemmt_kernelIlLi16ELi32ELi8ELc78ELc67ELc76ELb0ELb0EffPKPKfPKPfEviT_T9_T10_S7_lS9_S7_lS8_T11_S7_li.num_agpr, 0
	.set _ZL29rocblas_internal_gemmt_kernelIlLi16ELi32ELi8ELc78ELc67ELc76ELb0ELb0EffPKPKfPKPfEviT_T9_T10_S7_lS9_S7_lS8_T11_S7_li.numbered_sgpr, 31
	.set _ZL29rocblas_internal_gemmt_kernelIlLi16ELi32ELi8ELc78ELc67ELc76ELb0ELb0EffPKPKfPKPfEviT_T9_T10_S7_lS9_S7_lS8_T11_S7_li.num_named_barrier, 0
	.set _ZL29rocblas_internal_gemmt_kernelIlLi16ELi32ELi8ELc78ELc67ELc76ELb0ELb0EffPKPKfPKPfEviT_T9_T10_S7_lS9_S7_lS8_T11_S7_li.private_seg_size, 0
	.set _ZL29rocblas_internal_gemmt_kernelIlLi16ELi32ELi8ELc78ELc67ELc76ELb0ELb0EffPKPKfPKPfEviT_T9_T10_S7_lS9_S7_lS8_T11_S7_li.uses_vcc, 1
	.set _ZL29rocblas_internal_gemmt_kernelIlLi16ELi32ELi8ELc78ELc67ELc76ELb0ELb0EffPKPKfPKPfEviT_T9_T10_S7_lS9_S7_lS8_T11_S7_li.uses_flat_scratch, 0
	.set _ZL29rocblas_internal_gemmt_kernelIlLi16ELi32ELi8ELc78ELc67ELc76ELb0ELb0EffPKPKfPKPfEviT_T9_T10_S7_lS9_S7_lS8_T11_S7_li.has_dyn_sized_stack, 0
	.set _ZL29rocblas_internal_gemmt_kernelIlLi16ELi32ELi8ELc78ELc67ELc76ELb0ELb0EffPKPKfPKPfEviT_T9_T10_S7_lS9_S7_lS8_T11_S7_li.has_recursion, 0
	.set _ZL29rocblas_internal_gemmt_kernelIlLi16ELi32ELi8ELc78ELc67ELc76ELb0ELb0EffPKPKfPKPfEviT_T9_T10_S7_lS9_S7_lS8_T11_S7_li.has_indirect_call, 0
	.section	.AMDGPU.csdata,"",@progbits
; Kernel info:
; codeLenInByte = 1328
; TotalNumSgprs: 37
; NumVgprs: 50
; NumAgprs: 0
; TotalNumVgprs: 50
; ScratchSize: 0
; MemoryBound: 0
; FloatMode: 240
; IeeeMode: 1
; LDSByteSize: 2048 bytes/workgroup (compile time only)
; SGPRBlocks: 4
; VGPRBlocks: 6
; NumSGPRsForWavesPerEU: 37
; NumVGPRsForWavesPerEU: 50
; AccumOffset: 52
; Occupancy: 8
; WaveLimiterHint : 1
; COMPUTE_PGM_RSRC2:SCRATCH_EN: 0
; COMPUTE_PGM_RSRC2:USER_SGPR: 2
; COMPUTE_PGM_RSRC2:TRAP_HANDLER: 0
; COMPUTE_PGM_RSRC2:TGID_X_EN: 1
; COMPUTE_PGM_RSRC2:TGID_Y_EN: 1
; COMPUTE_PGM_RSRC2:TGID_Z_EN: 1
; COMPUTE_PGM_RSRC2:TIDIG_COMP_CNT: 1
; COMPUTE_PGM_RSRC3_GFX90A:ACCUM_OFFSET: 12
; COMPUTE_PGM_RSRC3_GFX90A:TG_SPLIT: 0
	.section	.text._ZL29rocblas_internal_gemmt_kernelIlLi16ELi32ELi8ELc84ELc78ELc76ELb0ELb0EffPKPKfPKPfEviT_T9_T10_S7_lS9_S7_lS8_T11_S7_li,"axG",@progbits,_ZL29rocblas_internal_gemmt_kernelIlLi16ELi32ELi8ELc84ELc78ELc76ELb0ELb0EffPKPKfPKPfEviT_T9_T10_S7_lS9_S7_lS8_T11_S7_li,comdat
	.globl	_ZL29rocblas_internal_gemmt_kernelIlLi16ELi32ELi8ELc84ELc78ELc76ELb0ELb0EffPKPKfPKPfEviT_T9_T10_S7_lS9_S7_lS8_T11_S7_li ; -- Begin function _ZL29rocblas_internal_gemmt_kernelIlLi16ELi32ELi8ELc84ELc78ELc76ELb0ELb0EffPKPKfPKPfEviT_T9_T10_S7_lS9_S7_lS8_T11_S7_li
	.p2align	8
	.type	_ZL29rocblas_internal_gemmt_kernelIlLi16ELi32ELi8ELc84ELc78ELc76ELb0ELb0EffPKPKfPKPfEviT_T9_T10_S7_lS9_S7_lS8_T11_S7_li,@function
_ZL29rocblas_internal_gemmt_kernelIlLi16ELi32ELi8ELc84ELc78ELc76ELb0ELb0EffPKPKfPKPfEviT_T9_T10_S7_lS9_S7_lS8_T11_S7_li: ; @_ZL29rocblas_internal_gemmt_kernelIlLi16ELi32ELi8ELc84ELc78ELc76ELb0ELb0EffPKPKfPKPfEviT_T9_T10_S7_lS9_S7_lS8_T11_S7_li
; %bb.0:
	s_load_dword s26, s[0:1], 0x48
	s_load_dwordx2 s[20:21], s[0:1], 0x8
	s_load_dword s27, s[0:1], 0x10
	s_waitcnt lgkmcnt(0)
	v_cmp_neq_f32_e64 s[6:7], s26, 1.0
	s_and_b64 vcc, exec, s[6:7]
	s_cbranch_vccnz .LBB462_2
; %bb.1:
	s_cmp_lg_u64 s[20:21], 0
	s_cselect_b64 s[6:7], -1, 0
	v_cmp_neq_f32_e64 s[8:9], s27, 0
	s_and_b64 s[6:7], s[6:7], s[8:9]
.LBB462_2:
	s_andn2_b64 vcc, exec, s[6:7]
	s_cbranch_vccnz .LBB462_28
; %bb.3:
	s_load_dwordx2 s[22:23], s[0:1], 0x60
	s_load_dword s28, s[0:1], 0x0
	s_load_dwordx4 s[12:15], s[0:1], 0x50
	s_mov_b32 s5, 0
	s_lshl_b64 s[24:25], s[4:5], 3
	v_mov_b32_e32 v7, 0
	v_and_b32_e32 v3, 0x3ff, v0
	s_waitcnt lgkmcnt(0)
	s_add_u32 s4, s12, s24
	s_addc_u32 s5, s13, s25
	s_load_dwordx2 s[12:13], s[4:5], 0x0
	s_lshl_b32 s29, s2, 5
	s_lshl_b32 s30, s3, 5
	v_cmp_eq_f32_e64 s[2:3], s27, 0
	v_cmp_lt_i64_e64 s[4:5], s[20:21], 1
	s_or_b64 s[2:3], s[2:3], s[4:5]
	v_bfe_u32 v5, v0, 10, 10
	s_and_b64 vcc, exec, s[2:3]
	v_mov_b32_e32 v6, v7
	v_mov_b32_e32 v1, v7
	;; [unrolled: 1-line block ×3, first 2 shown]
	s_cbranch_vccnz .LBB462_12
; %bb.4:
	s_load_dwordx8 s[4:11], s[0:1], 0x18
	s_load_dwordx4 s[16:19], s[0:1], 0x38
	v_lshl_add_u32 v0, v5, 4, v3
	v_lshrrev_b32_e32 v4, 5, v0
	v_lshrrev_b32_e32 v6, 3, v0
	s_waitcnt lgkmcnt(0)
	s_add_u32 s0, s10, s24
	s_addc_u32 s1, s11, s25
	s_load_dwordx2 s[0:1], s[0:1], 0x0
	s_lshl_b64 s[2:3], s[18:19], 2
	v_and_b32_e32 v0, 31, v0
	v_or_b32_e32 v1, s29, v0
	v_lshlrev_b32_e32 v0, 2, v0
	s_waitcnt lgkmcnt(0)
	s_add_u32 s10, s0, s2
	s_addc_u32 s11, s1, s3
	s_add_u32 s0, s4, s24
	s_addc_u32 s1, s5, s25
	s_load_dwordx2 s[2:3], s[0:1], 0x0
	s_lshl_b64 s[4:5], s[8:9], 2
	v_cmp_gt_i32_e64 s[0:1], s28, v1
	v_lshl_or_b32 v14, v4, 7, v0
	v_mul_lo_u32 v8, s7, v1
	s_waitcnt lgkmcnt(0)
	s_add_u32 s2, s2, s4
	s_addc_u32 s3, s3, s5
	s_ashr_i32 s8, s29, 31
	v_mad_u64_u32 v[0:1], s[4:5], s6, v1, 0
	s_mul_i32 s4, s6, s8
	v_and_b32_e32 v2, 7, v3
	v_add3_u32 v1, v1, s4, v8
	v_lshl_add_u64 v[8:9], v[0:1], 2, s[2:3]
	v_lshlrev_b32_e32 v0, 2, v2
	v_add_u32_e32 v7, s30, v6
	v_lshl_or_b32 v0, v6, 5, v0
	v_add_u32_e32 v15, 0x400, v0
	v_ashrrev_i32_e32 v0, 31, v7
	v_mul_lo_u32 v6, s16, v0
	v_mul_lo_u32 v10, s17, v7
	v_mad_u64_u32 v[0:1], s[4:5], s16, v7, 0
	v_add3_u32 v1, v1, v6, v10
	v_lshl_add_u64 v[10:11], v[0:1], 2, s[10:11]
	v_mov_b32_e32 v0, 0x400
	v_mov_b32_e32 v13, 0
	v_cmp_gt_i32_e64 s[2:3], s28, v7
	v_lshlrev_b32_e32 v16, 2, v3
	v_lshl_add_u32 v17, v5, 5, v0
	s_mov_b64 s[4:5], 0
	v_mov_b32_e32 v0, v13
	v_mov_b32_e32 v1, v13
	v_mov_b32_e32 v6, v13
	v_mov_b32_e32 v7, v13
	s_branch .LBB462_6
.LBB462_5:                              ;   in Loop: Header=BB462_6 Depth=1
	s_or_b64 exec, exec, s[6:7]
	s_waitcnt vmcnt(0) lgkmcnt(0)
	ds_write_b32 v15, v18
	s_waitcnt lgkmcnt(0)
	s_barrier
	ds_read_b128 v[18:21], v17
	ds_read_b128 v[22:25], v17 offset:16
	ds_read2_b32 v[34:35], v16 offset1:16
	ds_read2_b32 v[36:37], v16 offset0:32 offset1:48
	ds_read2_b32 v[38:39], v16 offset0:64 offset1:80
	;; [unrolled: 1-line block ×4, first 2 shown]
	ds_read_b128 v[26:29], v17 offset:512
	ds_read_b128 v[30:33], v17 offset:528
	ds_read2_b32 v[44:45], v16 offset0:160 offset1:176
	ds_read2_b32 v[46:47], v16 offset0:192 offset1:208
	;; [unrolled: 1-line block ×3, first 2 shown]
	s_waitcnt lgkmcnt(9)
	v_pk_fma_f32 v[6:7], v[34:35], v[18:19], v[6:7] op_sel_hi:[1,0,1]
	v_mov_b32_e32 v12, v21
	s_waitcnt lgkmcnt(8)
	v_pk_fma_f32 v[6:7], v[36:37], v[18:19], v[6:7] op_sel:[0,1,0]
	s_waitcnt lgkmcnt(4)
	v_pk_fma_f32 v[0:1], v[34:35], v[26:27], v[0:1] op_sel_hi:[1,0,1]
	v_pk_fma_f32 v[6:7], v[38:39], v[20:21], v[6:7] op_sel_hi:[1,0,1]
	v_pk_fma_f32 v[0:1], v[36:37], v[26:27], v[0:1] op_sel:[0,1,0]
	v_pk_fma_f32 v[6:7], v[40:41], v[12:13], v[6:7] op_sel_hi:[1,0,1]
	v_mov_b32_e32 v12, v25
	v_pk_fma_f32 v[6:7], v[42:43], v[22:23], v[6:7] op_sel_hi:[1,0,1]
	v_pk_fma_f32 v[0:1], v[38:39], v[28:29], v[0:1] op_sel_hi:[1,0,1]
	s_waitcnt lgkmcnt(2)
	v_pk_fma_f32 v[6:7], v[44:45], v[22:23], v[6:7] op_sel:[0,1,0]
	s_add_u32 s4, s4, 8
	s_waitcnt lgkmcnt(1)
	v_pk_fma_f32 v[6:7], v[46:47], v[24:25], v[6:7] op_sel_hi:[1,0,1]
	s_addc_u32 s5, s5, 0
	s_waitcnt lgkmcnt(0)
	v_pk_fma_f32 v[6:7], v[48:49], v[12:13], v[6:7] op_sel_hi:[1,0,1]
	v_mov_b32_e32 v12, v29
	v_pk_fma_f32 v[0:1], v[40:41], v[12:13], v[0:1] op_sel_hi:[1,0,1]
	v_mov_b64_e32 v[18:19], s[4:5]
	v_pk_fma_f32 v[0:1], v[42:43], v[30:31], v[0:1] op_sel_hi:[1,0,1]
	v_mov_b32_e32 v12, v33
	v_pk_fma_f32 v[0:1], v[44:45], v[30:31], v[0:1] op_sel:[0,1,0]
	v_cmp_gt_i64_e32 vcc, s[20:21], v[18:19]
	v_pk_fma_f32 v[0:1], v[46:47], v[32:33], v[0:1] op_sel_hi:[1,0,1]
	s_nop 0
	v_pk_fma_f32 v[0:1], v[48:49], v[12:13], v[0:1] op_sel_hi:[1,0,1]
	s_barrier
	s_cbranch_vccz .LBB462_12
.LBB462_6:                              ; =>This Inner Loop Header: Depth=1
	v_mov_b32_e32 v18, 0
	s_and_saveexec_b64 s[6:7], s[0:1]
	s_cbranch_execz .LBB462_10
; %bb.7:                                ;   in Loop: Header=BB462_6 Depth=1
	v_add_u32_e32 v12, s4, v4
	v_cmp_gt_u64_e32 vcc, s[20:21], v[12:13]
	v_mov_b32_e32 v18, 0
	s_and_saveexec_b64 s[8:9], vcc
	s_cbranch_execz .LBB462_9
; %bb.8:                                ;   in Loop: Header=BB462_6 Depth=1
	v_lshl_add_u64 v[18:19], v[12:13], 2, v[8:9]
	flat_load_dword v18, v[18:19]
.LBB462_9:                              ;   in Loop: Header=BB462_6 Depth=1
	s_or_b64 exec, exec, s[8:9]
.LBB462_10:                             ;   in Loop: Header=BB462_6 Depth=1
	s_or_b64 exec, exec, s[6:7]
	v_add_u32_e32 v12, s4, v2
	v_cmp_gt_u64_e32 vcc, s[20:21], v[12:13]
	s_waitcnt vmcnt(0) lgkmcnt(0)
	ds_write_b32 v14, v18
	s_and_b64 s[8:9], vcc, s[2:3]
	v_mov_b32_e32 v18, 0
	s_and_saveexec_b64 s[6:7], s[8:9]
	s_cbranch_execz .LBB462_5
; %bb.11:                               ;   in Loop: Header=BB462_6 Depth=1
	v_lshl_add_u64 v[18:19], v[12:13], 2, v[10:11]
	flat_load_dword v18, v[18:19]
	s_branch .LBB462_5
.LBB462_12:
	s_lshl_b64 s[0:1], s[22:23], 2
	v_add_u32_e32 v10, s30, v5
	s_waitcnt lgkmcnt(0)
	s_add_u32 s6, s12, s0
	v_add_u32_e32 v2, s29, v3
	v_ashrrev_i32_e32 v3, 31, v10
	s_addc_u32 s7, s13, s1
	v_mul_lo_u32 v3, s14, v3
	v_mul_lo_u32 v8, s15, v10
	v_mad_u64_u32 v[4:5], s[0:1], s14, v10, 0
	v_add3_u32 v5, v5, v3, v8
	v_cmp_neq_f32_e64 s[0:1], s26, 0
	v_lshl_add_u64 v[8:9], v[4:5], 2, s[6:7]
	v_cmp_le_i32_e32 vcc, v10, v2
	v_cmp_gt_i32_e64 s[2:3], s28, v2
	v_cndmask_b32_e64 v4, 0, 1, s[0:1]
	s_and_b64 s[8:9], vcc, s[2:3]
	v_ashrrev_i32_e32 v3, 31, v2
	v_cmp_ne_u32_e64 s[0:1], 1, v4
	s_and_saveexec_b64 s[4:5], s[8:9]
	s_cbranch_execz .LBB462_16
; %bb.13:
	v_mul_f32_e32 v6, s27, v6
	s_and_b64 vcc, exec, s[0:1]
	v_lshl_add_u64 v[4:5], v[2:3], 2, v[8:9]
	s_cbranch_vccnz .LBB462_15
; %bb.14:
	flat_load_dword v11, v[4:5]
	s_waitcnt vmcnt(0) lgkmcnt(0)
	v_fmac_f32_e32 v6, s26, v11
.LBB462_15:
	flat_store_dword v[4:5], v6
.LBB462_16:
	s_or_b64 exec, exec, s[4:5]
	v_add_u32_e32 v4, 16, v2
	v_cmp_le_i32_e32 vcc, v10, v4
	v_cmp_gt_i32_e64 s[4:5], s28, v4
	s_and_b64 s[10:11], vcc, s[4:5]
	v_ashrrev_i32_e32 v5, 31, v4
	s_and_saveexec_b64 s[8:9], s[10:11]
	s_cbranch_execz .LBB462_20
; %bb.17:
	v_mul_f32_e32 v11, s27, v7
	s_and_b64 vcc, exec, s[0:1]
	v_lshl_add_u64 v[6:7], v[4:5], 2, v[8:9]
	s_cbranch_vccnz .LBB462_19
; %bb.18:
	flat_load_dword v8, v[6:7]
	s_waitcnt vmcnt(0) lgkmcnt(0)
	v_fmac_f32_e32 v11, s26, v8
.LBB462_19:
	flat_store_dword v[6:7], v11
.LBB462_20:
	s_or_b64 exec, exec, s[8:9]
	v_add_u32_e32 v8, 16, v10
	v_ashrrev_i32_e32 v6, 31, v8
	v_mul_lo_u32 v9, s14, v6
	v_mul_lo_u32 v10, s15, v8
	v_mad_u64_u32 v[6:7], s[8:9], s14, v8, 0
	v_add3_u32 v7, v7, v9, v10
	v_cmp_le_i32_e32 vcc, v8, v2
	v_lshl_add_u64 v[6:7], v[6:7], 2, s[6:7]
	s_and_b64 s[6:7], vcc, s[2:3]
	s_and_saveexec_b64 s[2:3], s[6:7]
	s_cbranch_execz .LBB462_24
; %bb.21:
	v_mul_f32_e32 v0, s27, v0
	s_and_b64 vcc, exec, s[0:1]
	v_lshl_add_u64 v[2:3], v[2:3], 2, v[6:7]
	s_cbranch_vccnz .LBB462_23
; %bb.22:
	flat_load_dword v9, v[2:3]
	s_waitcnt vmcnt(0) lgkmcnt(0)
	v_fmac_f32_e32 v0, s26, v9
.LBB462_23:
	flat_store_dword v[2:3], v0
.LBB462_24:
	s_or_b64 exec, exec, s[2:3]
	v_cmp_le_i32_e32 vcc, v8, v4
	s_and_b64 s[2:3], vcc, s[4:5]
	s_and_saveexec_b64 s[4:5], s[2:3]
	s_cbranch_execz .LBB462_28
; %bb.25:
	v_mul_f32_e32 v2, s27, v1
	s_and_b64 vcc, exec, s[0:1]
	v_lshl_add_u64 v[0:1], v[4:5], 2, v[6:7]
	s_cbranch_vccnz .LBB462_27
; %bb.26:
	flat_load_dword v3, v[0:1]
	s_waitcnt vmcnt(0) lgkmcnt(0)
	v_fmac_f32_e32 v2, s26, v3
.LBB462_27:
	flat_store_dword v[0:1], v2
.LBB462_28:
	s_endpgm
	.section	.rodata,"a",@progbits
	.p2align	6, 0x0
	.amdhsa_kernel _ZL29rocblas_internal_gemmt_kernelIlLi16ELi32ELi8ELc84ELc78ELc76ELb0ELb0EffPKPKfPKPfEviT_T9_T10_S7_lS9_S7_lS8_T11_S7_li
		.amdhsa_group_segment_fixed_size 2048
		.amdhsa_private_segment_fixed_size 0
		.amdhsa_kernarg_size 108
		.amdhsa_user_sgpr_count 2
		.amdhsa_user_sgpr_dispatch_ptr 0
		.amdhsa_user_sgpr_queue_ptr 0
		.amdhsa_user_sgpr_kernarg_segment_ptr 1
		.amdhsa_user_sgpr_dispatch_id 0
		.amdhsa_user_sgpr_kernarg_preload_length 0
		.amdhsa_user_sgpr_kernarg_preload_offset 0
		.amdhsa_user_sgpr_private_segment_size 0
		.amdhsa_uses_dynamic_stack 0
		.amdhsa_enable_private_segment 0
		.amdhsa_system_sgpr_workgroup_id_x 1
		.amdhsa_system_sgpr_workgroup_id_y 1
		.amdhsa_system_sgpr_workgroup_id_z 1
		.amdhsa_system_sgpr_workgroup_info 0
		.amdhsa_system_vgpr_workitem_id 1
		.amdhsa_next_free_vgpr 50
		.amdhsa_next_free_sgpr 31
		.amdhsa_accum_offset 52
		.amdhsa_reserve_vcc 1
		.amdhsa_float_round_mode_32 0
		.amdhsa_float_round_mode_16_64 0
		.amdhsa_float_denorm_mode_32 3
		.amdhsa_float_denorm_mode_16_64 3
		.amdhsa_dx10_clamp 1
		.amdhsa_ieee_mode 1
		.amdhsa_fp16_overflow 0
		.amdhsa_tg_split 0
		.amdhsa_exception_fp_ieee_invalid_op 0
		.amdhsa_exception_fp_denorm_src 0
		.amdhsa_exception_fp_ieee_div_zero 0
		.amdhsa_exception_fp_ieee_overflow 0
		.amdhsa_exception_fp_ieee_underflow 0
		.amdhsa_exception_fp_ieee_inexact 0
		.amdhsa_exception_int_div_zero 0
	.end_amdhsa_kernel
	.section	.text._ZL29rocblas_internal_gemmt_kernelIlLi16ELi32ELi8ELc84ELc78ELc76ELb0ELb0EffPKPKfPKPfEviT_T9_T10_S7_lS9_S7_lS8_T11_S7_li,"axG",@progbits,_ZL29rocblas_internal_gemmt_kernelIlLi16ELi32ELi8ELc84ELc78ELc76ELb0ELb0EffPKPKfPKPfEviT_T9_T10_S7_lS9_S7_lS8_T11_S7_li,comdat
.Lfunc_end462:
	.size	_ZL29rocblas_internal_gemmt_kernelIlLi16ELi32ELi8ELc84ELc78ELc76ELb0ELb0EffPKPKfPKPfEviT_T9_T10_S7_lS9_S7_lS8_T11_S7_li, .Lfunc_end462-_ZL29rocblas_internal_gemmt_kernelIlLi16ELi32ELi8ELc84ELc78ELc76ELb0ELb0EffPKPKfPKPfEviT_T9_T10_S7_lS9_S7_lS8_T11_S7_li
                                        ; -- End function
	.set _ZL29rocblas_internal_gemmt_kernelIlLi16ELi32ELi8ELc84ELc78ELc76ELb0ELb0EffPKPKfPKPfEviT_T9_T10_S7_lS9_S7_lS8_T11_S7_li.num_vgpr, 50
	.set _ZL29rocblas_internal_gemmt_kernelIlLi16ELi32ELi8ELc84ELc78ELc76ELb0ELb0EffPKPKfPKPfEviT_T9_T10_S7_lS9_S7_lS8_T11_S7_li.num_agpr, 0
	.set _ZL29rocblas_internal_gemmt_kernelIlLi16ELi32ELi8ELc84ELc78ELc76ELb0ELb0EffPKPKfPKPfEviT_T9_T10_S7_lS9_S7_lS8_T11_S7_li.numbered_sgpr, 31
	.set _ZL29rocblas_internal_gemmt_kernelIlLi16ELi32ELi8ELc84ELc78ELc76ELb0ELb0EffPKPKfPKPfEviT_T9_T10_S7_lS9_S7_lS8_T11_S7_li.num_named_barrier, 0
	.set _ZL29rocblas_internal_gemmt_kernelIlLi16ELi32ELi8ELc84ELc78ELc76ELb0ELb0EffPKPKfPKPfEviT_T9_T10_S7_lS9_S7_lS8_T11_S7_li.private_seg_size, 0
	.set _ZL29rocblas_internal_gemmt_kernelIlLi16ELi32ELi8ELc84ELc78ELc76ELb0ELb0EffPKPKfPKPfEviT_T9_T10_S7_lS9_S7_lS8_T11_S7_li.uses_vcc, 1
	.set _ZL29rocblas_internal_gemmt_kernelIlLi16ELi32ELi8ELc84ELc78ELc76ELb0ELb0EffPKPKfPKPfEviT_T9_T10_S7_lS9_S7_lS8_T11_S7_li.uses_flat_scratch, 0
	.set _ZL29rocblas_internal_gemmt_kernelIlLi16ELi32ELi8ELc84ELc78ELc76ELb0ELb0EffPKPKfPKPfEviT_T9_T10_S7_lS9_S7_lS8_T11_S7_li.has_dyn_sized_stack, 0
	.set _ZL29rocblas_internal_gemmt_kernelIlLi16ELi32ELi8ELc84ELc78ELc76ELb0ELb0EffPKPKfPKPfEviT_T9_T10_S7_lS9_S7_lS8_T11_S7_li.has_recursion, 0
	.set _ZL29rocblas_internal_gemmt_kernelIlLi16ELi32ELi8ELc84ELc78ELc76ELb0ELb0EffPKPKfPKPfEviT_T9_T10_S7_lS9_S7_lS8_T11_S7_li.has_indirect_call, 0
	.section	.AMDGPU.csdata,"",@progbits
; Kernel info:
; codeLenInByte = 1340
; TotalNumSgprs: 37
; NumVgprs: 50
; NumAgprs: 0
; TotalNumVgprs: 50
; ScratchSize: 0
; MemoryBound: 0
; FloatMode: 240
; IeeeMode: 1
; LDSByteSize: 2048 bytes/workgroup (compile time only)
; SGPRBlocks: 4
; VGPRBlocks: 6
; NumSGPRsForWavesPerEU: 37
; NumVGPRsForWavesPerEU: 50
; AccumOffset: 52
; Occupancy: 8
; WaveLimiterHint : 1
; COMPUTE_PGM_RSRC2:SCRATCH_EN: 0
; COMPUTE_PGM_RSRC2:USER_SGPR: 2
; COMPUTE_PGM_RSRC2:TRAP_HANDLER: 0
; COMPUTE_PGM_RSRC2:TGID_X_EN: 1
; COMPUTE_PGM_RSRC2:TGID_Y_EN: 1
; COMPUTE_PGM_RSRC2:TGID_Z_EN: 1
; COMPUTE_PGM_RSRC2:TIDIG_COMP_CNT: 1
; COMPUTE_PGM_RSRC3_GFX90A:ACCUM_OFFSET: 12
; COMPUTE_PGM_RSRC3_GFX90A:TG_SPLIT: 0
	.section	.text._ZL29rocblas_internal_gemmt_kernelIlLi16ELi32ELi8ELc84ELc84ELc76ELb0ELb0EffPKPKfPKPfEviT_T9_T10_S7_lS9_S7_lS8_T11_S7_li,"axG",@progbits,_ZL29rocblas_internal_gemmt_kernelIlLi16ELi32ELi8ELc84ELc84ELc76ELb0ELb0EffPKPKfPKPfEviT_T9_T10_S7_lS9_S7_lS8_T11_S7_li,comdat
	.globl	_ZL29rocblas_internal_gemmt_kernelIlLi16ELi32ELi8ELc84ELc84ELc76ELb0ELb0EffPKPKfPKPfEviT_T9_T10_S7_lS9_S7_lS8_T11_S7_li ; -- Begin function _ZL29rocblas_internal_gemmt_kernelIlLi16ELi32ELi8ELc84ELc84ELc76ELb0ELb0EffPKPKfPKPfEviT_T9_T10_S7_lS9_S7_lS8_T11_S7_li
	.p2align	8
	.type	_ZL29rocblas_internal_gemmt_kernelIlLi16ELi32ELi8ELc84ELc84ELc76ELb0ELb0EffPKPKfPKPfEviT_T9_T10_S7_lS9_S7_lS8_T11_S7_li,@function
_ZL29rocblas_internal_gemmt_kernelIlLi16ELi32ELi8ELc84ELc84ELc76ELb0ELb0EffPKPKfPKPfEviT_T9_T10_S7_lS9_S7_lS8_T11_S7_li: ; @_ZL29rocblas_internal_gemmt_kernelIlLi16ELi32ELi8ELc84ELc84ELc76ELb0ELb0EffPKPKfPKPfEviT_T9_T10_S7_lS9_S7_lS8_T11_S7_li
; %bb.0:
	s_load_dword s26, s[0:1], 0x48
	s_load_dwordx2 s[20:21], s[0:1], 0x8
	s_load_dword s27, s[0:1], 0x10
	s_waitcnt lgkmcnt(0)
	v_cmp_neq_f32_e64 s[6:7], s26, 1.0
	s_and_b64 vcc, exec, s[6:7]
	s_cbranch_vccnz .LBB463_2
; %bb.1:
	s_cmp_lg_u64 s[20:21], 0
	s_cselect_b64 s[6:7], -1, 0
	v_cmp_neq_f32_e64 s[8:9], s27, 0
	s_and_b64 s[6:7], s[6:7], s[8:9]
.LBB463_2:
	s_andn2_b64 vcc, exec, s[6:7]
	s_cbranch_vccnz .LBB463_28
; %bb.3:
	s_load_dwordx2 s[22:23], s[0:1], 0x60
	s_load_dword s28, s[0:1], 0x0
	s_load_dwordx4 s[12:15], s[0:1], 0x50
	s_mov_b32 s5, 0
	s_lshl_b64 s[24:25], s[4:5], 3
	v_mov_b32_e32 v7, 0
	v_and_b32_e32 v3, 0x3ff, v0
	s_waitcnt lgkmcnt(0)
	s_add_u32 s4, s12, s24
	s_addc_u32 s5, s13, s25
	s_load_dwordx2 s[12:13], s[4:5], 0x0
	s_lshl_b32 s29, s2, 5
	s_lshl_b32 s30, s3, 5
	v_cmp_eq_f32_e64 s[2:3], s27, 0
	v_cmp_lt_i64_e64 s[4:5], s[20:21], 1
	s_or_b64 s[2:3], s[2:3], s[4:5]
	v_bfe_u32 v5, v0, 10, 10
	s_and_b64 vcc, exec, s[2:3]
	v_mov_b32_e32 v6, v7
	v_mov_b32_e32 v1, v7
	;; [unrolled: 1-line block ×3, first 2 shown]
	s_cbranch_vccnz .LBB463_12
; %bb.4:
	s_load_dwordx8 s[4:11], s[0:1], 0x18
	s_load_dwordx4 s[16:19], s[0:1], 0x38
	v_lshl_add_u32 v0, v5, 4, v3
	v_and_b32_e32 v6, 31, v0
	v_lshrrev_b32_e32 v4, 5, v0
	s_waitcnt lgkmcnt(0)
	s_add_u32 s0, s10, s24
	s_addc_u32 s1, s11, s25
	s_load_dwordx2 s[0:1], s[0:1], 0x0
	s_lshl_b64 s[2:3], s[18:19], 2
	v_or_b32_e32 v7, s29, v6
	v_lshlrev_b32_e32 v6, 2, v6
	v_lshl_or_b32 v14, v4, 7, v6
	s_waitcnt lgkmcnt(0)
	s_add_u32 s10, s0, s2
	s_addc_u32 s11, s1, s3
	s_add_u32 s0, s4, s24
	s_addc_u32 s1, s5, s25
	s_load_dwordx2 s[2:3], s[0:1], 0x0
	s_lshl_b64 s[4:5], s[8:9], 2
	v_cmp_gt_i32_e64 s[0:1], s28, v7
	v_mul_lo_u32 v8, s7, v7
	v_and_b32_e32 v2, 7, v3
	s_waitcnt lgkmcnt(0)
	s_add_u32 s2, s2, s4
	s_addc_u32 s3, s3, s5
	s_ashr_i32 s8, s29, 31
	v_mad_u64_u32 v[6:7], s[4:5], s6, v7, 0
	s_mul_i32 s4, s6, s8
	s_nop 0
	v_add3_u32 v7, v7, s4, v8
	v_lshrrev_b32_e32 v1, 3, v0
	v_lshl_add_u64 v[8:9], v[6:7], 2, s[2:3]
	v_lshlrev_b32_e32 v6, 2, v2
	v_add_u32_e32 v0, s30, v1
	v_lshl_or_b32 v1, v1, 5, v6
	v_add_u32_e32 v15, 0x400, v1
	v_ashrrev_i32_e32 v1, 31, v0
	v_cmp_gt_i32_e64 s[2:3], s28, v0
	v_lshl_add_u64 v[10:11], v[0:1], 2, s[10:11]
	v_mov_b32_e32 v0, 0x400
	v_mov_b32_e32 v13, 0
	v_lshlrev_b32_e32 v16, 2, v3
	v_lshl_add_u32 v17, v5, 5, v0
	s_mov_b64 s[4:5], 0
	v_mov_b32_e32 v0, v13
	v_mov_b32_e32 v1, v13
	;; [unrolled: 1-line block ×4, first 2 shown]
	s_branch .LBB463_6
.LBB463_5:                              ;   in Loop: Header=BB463_6 Depth=1
	s_or_b64 exec, exec, s[6:7]
	s_waitcnt vmcnt(0) lgkmcnt(0)
	ds_write_b32 v15, v18
	s_waitcnt lgkmcnt(0)
	s_barrier
	ds_read_b128 v[18:21], v17
	ds_read_b128 v[22:25], v17 offset:16
	ds_read2_b32 v[34:35], v16 offset1:16
	ds_read2_b32 v[36:37], v16 offset0:32 offset1:48
	ds_read2_b32 v[38:39], v16 offset0:64 offset1:80
	;; [unrolled: 1-line block ×4, first 2 shown]
	ds_read_b128 v[26:29], v17 offset:512
	ds_read_b128 v[30:33], v17 offset:528
	ds_read2_b32 v[44:45], v16 offset0:160 offset1:176
	ds_read2_b32 v[46:47], v16 offset0:192 offset1:208
	;; [unrolled: 1-line block ×3, first 2 shown]
	s_waitcnt lgkmcnt(9)
	v_pk_fma_f32 v[6:7], v[34:35], v[18:19], v[6:7] op_sel_hi:[1,0,1]
	v_mov_b32_e32 v12, v21
	s_waitcnt lgkmcnt(8)
	v_pk_fma_f32 v[6:7], v[36:37], v[18:19], v[6:7] op_sel:[0,1,0]
	s_waitcnt lgkmcnt(4)
	v_pk_fma_f32 v[0:1], v[34:35], v[26:27], v[0:1] op_sel_hi:[1,0,1]
	v_pk_fma_f32 v[6:7], v[38:39], v[20:21], v[6:7] op_sel_hi:[1,0,1]
	v_pk_fma_f32 v[0:1], v[36:37], v[26:27], v[0:1] op_sel:[0,1,0]
	v_pk_fma_f32 v[6:7], v[40:41], v[12:13], v[6:7] op_sel_hi:[1,0,1]
	v_mov_b32_e32 v12, v25
	v_pk_fma_f32 v[6:7], v[42:43], v[22:23], v[6:7] op_sel_hi:[1,0,1]
	v_pk_fma_f32 v[0:1], v[38:39], v[28:29], v[0:1] op_sel_hi:[1,0,1]
	s_waitcnt lgkmcnt(2)
	v_pk_fma_f32 v[6:7], v[44:45], v[22:23], v[6:7] op_sel:[0,1,0]
	s_add_u32 s4, s4, 8
	s_waitcnt lgkmcnt(1)
	v_pk_fma_f32 v[6:7], v[46:47], v[24:25], v[6:7] op_sel_hi:[1,0,1]
	s_addc_u32 s5, s5, 0
	s_waitcnt lgkmcnt(0)
	v_pk_fma_f32 v[6:7], v[48:49], v[12:13], v[6:7] op_sel_hi:[1,0,1]
	v_mov_b32_e32 v12, v29
	v_pk_fma_f32 v[0:1], v[40:41], v[12:13], v[0:1] op_sel_hi:[1,0,1]
	v_mov_b64_e32 v[18:19], s[4:5]
	v_pk_fma_f32 v[0:1], v[42:43], v[30:31], v[0:1] op_sel_hi:[1,0,1]
	v_mov_b32_e32 v12, v33
	v_pk_fma_f32 v[0:1], v[44:45], v[30:31], v[0:1] op_sel:[0,1,0]
	v_cmp_gt_i64_e32 vcc, s[20:21], v[18:19]
	v_pk_fma_f32 v[0:1], v[46:47], v[32:33], v[0:1] op_sel_hi:[1,0,1]
	s_nop 0
	v_pk_fma_f32 v[0:1], v[48:49], v[12:13], v[0:1] op_sel_hi:[1,0,1]
	s_barrier
	s_cbranch_vccz .LBB463_12
.LBB463_6:                              ; =>This Inner Loop Header: Depth=1
	v_mov_b32_e32 v18, 0
	s_and_saveexec_b64 s[6:7], s[0:1]
	s_cbranch_execz .LBB463_10
; %bb.7:                                ;   in Loop: Header=BB463_6 Depth=1
	v_add_u32_e32 v12, s4, v4
	v_cmp_gt_u64_e32 vcc, s[20:21], v[12:13]
	v_mov_b32_e32 v18, 0
	s_and_saveexec_b64 s[8:9], vcc
	s_cbranch_execz .LBB463_9
; %bb.8:                                ;   in Loop: Header=BB463_6 Depth=1
	v_lshl_add_u64 v[18:19], v[12:13], 2, v[8:9]
	flat_load_dword v18, v[18:19]
.LBB463_9:                              ;   in Loop: Header=BB463_6 Depth=1
	s_or_b64 exec, exec, s[8:9]
.LBB463_10:                             ;   in Loop: Header=BB463_6 Depth=1
	s_or_b64 exec, exec, s[6:7]
	v_add_u32_e32 v12, s4, v2
	v_cmp_gt_u64_e32 vcc, s[20:21], v[12:13]
	s_waitcnt vmcnt(0) lgkmcnt(0)
	ds_write_b32 v14, v18
	s_and_b64 s[8:9], vcc, s[2:3]
	v_mov_b32_e32 v18, 0
	s_and_saveexec_b64 s[6:7], s[8:9]
	s_cbranch_execz .LBB463_5
; %bb.11:                               ;   in Loop: Header=BB463_6 Depth=1
	v_mad_u64_u32 v[18:19], s[8:9], s16, v12, 0
	v_mov_b32_e32 v20, v19
	v_mad_u64_u32 v[20:21], s[8:9], s17, v12, v[20:21]
	v_mov_b32_e32 v19, v20
	v_lshl_add_u64 v[18:19], v[18:19], 2, v[10:11]
	flat_load_dword v18, v[18:19]
	s_branch .LBB463_5
.LBB463_12:
	s_lshl_b64 s[0:1], s[22:23], 2
	v_add_u32_e32 v10, s30, v5
	s_waitcnt lgkmcnt(0)
	s_add_u32 s6, s12, s0
	v_add_u32_e32 v2, s29, v3
	v_ashrrev_i32_e32 v3, 31, v10
	s_addc_u32 s7, s13, s1
	v_mul_lo_u32 v3, s14, v3
	v_mul_lo_u32 v8, s15, v10
	v_mad_u64_u32 v[4:5], s[0:1], s14, v10, 0
	v_add3_u32 v5, v5, v3, v8
	v_cmp_neq_f32_e64 s[0:1], s26, 0
	v_lshl_add_u64 v[8:9], v[4:5], 2, s[6:7]
	v_cmp_le_i32_e32 vcc, v10, v2
	v_cmp_gt_i32_e64 s[2:3], s28, v2
	v_cndmask_b32_e64 v4, 0, 1, s[0:1]
	s_and_b64 s[8:9], vcc, s[2:3]
	v_ashrrev_i32_e32 v3, 31, v2
	v_cmp_ne_u32_e64 s[0:1], 1, v4
	s_and_saveexec_b64 s[4:5], s[8:9]
	s_cbranch_execz .LBB463_16
; %bb.13:
	v_mul_f32_e32 v6, s27, v6
	s_and_b64 vcc, exec, s[0:1]
	v_lshl_add_u64 v[4:5], v[2:3], 2, v[8:9]
	s_cbranch_vccnz .LBB463_15
; %bb.14:
	flat_load_dword v11, v[4:5]
	s_waitcnt vmcnt(0) lgkmcnt(0)
	v_fmac_f32_e32 v6, s26, v11
.LBB463_15:
	flat_store_dword v[4:5], v6
.LBB463_16:
	s_or_b64 exec, exec, s[4:5]
	v_add_u32_e32 v4, 16, v2
	v_cmp_le_i32_e32 vcc, v10, v4
	v_cmp_gt_i32_e64 s[4:5], s28, v4
	s_and_b64 s[10:11], vcc, s[4:5]
	v_ashrrev_i32_e32 v5, 31, v4
	s_and_saveexec_b64 s[8:9], s[10:11]
	s_cbranch_execz .LBB463_20
; %bb.17:
	v_mul_f32_e32 v11, s27, v7
	s_and_b64 vcc, exec, s[0:1]
	v_lshl_add_u64 v[6:7], v[4:5], 2, v[8:9]
	s_cbranch_vccnz .LBB463_19
; %bb.18:
	flat_load_dword v8, v[6:7]
	s_waitcnt vmcnt(0) lgkmcnt(0)
	v_fmac_f32_e32 v11, s26, v8
.LBB463_19:
	flat_store_dword v[6:7], v11
.LBB463_20:
	s_or_b64 exec, exec, s[8:9]
	v_add_u32_e32 v8, 16, v10
	v_ashrrev_i32_e32 v6, 31, v8
	v_mul_lo_u32 v9, s14, v6
	v_mul_lo_u32 v10, s15, v8
	v_mad_u64_u32 v[6:7], s[8:9], s14, v8, 0
	v_add3_u32 v7, v7, v9, v10
	v_cmp_le_i32_e32 vcc, v8, v2
	v_lshl_add_u64 v[6:7], v[6:7], 2, s[6:7]
	s_and_b64 s[6:7], vcc, s[2:3]
	s_and_saveexec_b64 s[2:3], s[6:7]
	s_cbranch_execz .LBB463_24
; %bb.21:
	v_mul_f32_e32 v0, s27, v0
	s_and_b64 vcc, exec, s[0:1]
	v_lshl_add_u64 v[2:3], v[2:3], 2, v[6:7]
	s_cbranch_vccnz .LBB463_23
; %bb.22:
	flat_load_dword v9, v[2:3]
	s_waitcnt vmcnt(0) lgkmcnt(0)
	v_fmac_f32_e32 v0, s26, v9
.LBB463_23:
	flat_store_dword v[2:3], v0
.LBB463_24:
	s_or_b64 exec, exec, s[2:3]
	v_cmp_le_i32_e32 vcc, v8, v4
	s_and_b64 s[2:3], vcc, s[4:5]
	s_and_saveexec_b64 s[4:5], s[2:3]
	s_cbranch_execz .LBB463_28
; %bb.25:
	v_mul_f32_e32 v2, s27, v1
	s_and_b64 vcc, exec, s[0:1]
	v_lshl_add_u64 v[0:1], v[4:5], 2, v[6:7]
	s_cbranch_vccnz .LBB463_27
; %bb.26:
	flat_load_dword v3, v[0:1]
	s_waitcnt vmcnt(0) lgkmcnt(0)
	v_fmac_f32_e32 v2, s26, v3
.LBB463_27:
	flat_store_dword v[0:1], v2
.LBB463_28:
	s_endpgm
	.section	.rodata,"a",@progbits
	.p2align	6, 0x0
	.amdhsa_kernel _ZL29rocblas_internal_gemmt_kernelIlLi16ELi32ELi8ELc84ELc84ELc76ELb0ELb0EffPKPKfPKPfEviT_T9_T10_S7_lS9_S7_lS8_T11_S7_li
		.amdhsa_group_segment_fixed_size 2048
		.amdhsa_private_segment_fixed_size 0
		.amdhsa_kernarg_size 108
		.amdhsa_user_sgpr_count 2
		.amdhsa_user_sgpr_dispatch_ptr 0
		.amdhsa_user_sgpr_queue_ptr 0
		.amdhsa_user_sgpr_kernarg_segment_ptr 1
		.amdhsa_user_sgpr_dispatch_id 0
		.amdhsa_user_sgpr_kernarg_preload_length 0
		.amdhsa_user_sgpr_kernarg_preload_offset 0
		.amdhsa_user_sgpr_private_segment_size 0
		.amdhsa_uses_dynamic_stack 0
		.amdhsa_enable_private_segment 0
		.amdhsa_system_sgpr_workgroup_id_x 1
		.amdhsa_system_sgpr_workgroup_id_y 1
		.amdhsa_system_sgpr_workgroup_id_z 1
		.amdhsa_system_sgpr_workgroup_info 0
		.amdhsa_system_vgpr_workitem_id 1
		.amdhsa_next_free_vgpr 50
		.amdhsa_next_free_sgpr 31
		.amdhsa_accum_offset 52
		.amdhsa_reserve_vcc 1
		.amdhsa_float_round_mode_32 0
		.amdhsa_float_round_mode_16_64 0
		.amdhsa_float_denorm_mode_32 3
		.amdhsa_float_denorm_mode_16_64 3
		.amdhsa_dx10_clamp 1
		.amdhsa_ieee_mode 1
		.amdhsa_fp16_overflow 0
		.amdhsa_tg_split 0
		.amdhsa_exception_fp_ieee_invalid_op 0
		.amdhsa_exception_fp_denorm_src 0
		.amdhsa_exception_fp_ieee_div_zero 0
		.amdhsa_exception_fp_ieee_overflow 0
		.amdhsa_exception_fp_ieee_underflow 0
		.amdhsa_exception_fp_ieee_inexact 0
		.amdhsa_exception_int_div_zero 0
	.end_amdhsa_kernel
	.section	.text._ZL29rocblas_internal_gemmt_kernelIlLi16ELi32ELi8ELc84ELc84ELc76ELb0ELb0EffPKPKfPKPfEviT_T9_T10_S7_lS9_S7_lS8_T11_S7_li,"axG",@progbits,_ZL29rocblas_internal_gemmt_kernelIlLi16ELi32ELi8ELc84ELc84ELc76ELb0ELb0EffPKPKfPKPfEviT_T9_T10_S7_lS9_S7_lS8_T11_S7_li,comdat
.Lfunc_end463:
	.size	_ZL29rocblas_internal_gemmt_kernelIlLi16ELi32ELi8ELc84ELc84ELc76ELb0ELb0EffPKPKfPKPfEviT_T9_T10_S7_lS9_S7_lS8_T11_S7_li, .Lfunc_end463-_ZL29rocblas_internal_gemmt_kernelIlLi16ELi32ELi8ELc84ELc84ELc76ELb0ELb0EffPKPKfPKPfEviT_T9_T10_S7_lS9_S7_lS8_T11_S7_li
                                        ; -- End function
	.set _ZL29rocblas_internal_gemmt_kernelIlLi16ELi32ELi8ELc84ELc84ELc76ELb0ELb0EffPKPKfPKPfEviT_T9_T10_S7_lS9_S7_lS8_T11_S7_li.num_vgpr, 50
	.set _ZL29rocblas_internal_gemmt_kernelIlLi16ELi32ELi8ELc84ELc84ELc76ELb0ELb0EffPKPKfPKPfEviT_T9_T10_S7_lS9_S7_lS8_T11_S7_li.num_agpr, 0
	.set _ZL29rocblas_internal_gemmt_kernelIlLi16ELi32ELi8ELc84ELc84ELc76ELb0ELb0EffPKPKfPKPfEviT_T9_T10_S7_lS9_S7_lS8_T11_S7_li.numbered_sgpr, 31
	.set _ZL29rocblas_internal_gemmt_kernelIlLi16ELi32ELi8ELc84ELc84ELc76ELb0ELb0EffPKPKfPKPfEviT_T9_T10_S7_lS9_S7_lS8_T11_S7_li.num_named_barrier, 0
	.set _ZL29rocblas_internal_gemmt_kernelIlLi16ELi32ELi8ELc84ELc84ELc76ELb0ELb0EffPKPKfPKPfEviT_T9_T10_S7_lS9_S7_lS8_T11_S7_li.private_seg_size, 0
	.set _ZL29rocblas_internal_gemmt_kernelIlLi16ELi32ELi8ELc84ELc84ELc76ELb0ELb0EffPKPKfPKPfEviT_T9_T10_S7_lS9_S7_lS8_T11_S7_li.uses_vcc, 1
	.set _ZL29rocblas_internal_gemmt_kernelIlLi16ELi32ELi8ELc84ELc84ELc76ELb0ELb0EffPKPKfPKPfEviT_T9_T10_S7_lS9_S7_lS8_T11_S7_li.uses_flat_scratch, 0
	.set _ZL29rocblas_internal_gemmt_kernelIlLi16ELi32ELi8ELc84ELc84ELc76ELb0ELb0EffPKPKfPKPfEviT_T9_T10_S7_lS9_S7_lS8_T11_S7_li.has_dyn_sized_stack, 0
	.set _ZL29rocblas_internal_gemmt_kernelIlLi16ELi32ELi8ELc84ELc84ELc76ELb0ELb0EffPKPKfPKPfEviT_T9_T10_S7_lS9_S7_lS8_T11_S7_li.has_recursion, 0
	.set _ZL29rocblas_internal_gemmt_kernelIlLi16ELi32ELi8ELc84ELc84ELc76ELb0ELb0EffPKPKfPKPfEviT_T9_T10_S7_lS9_S7_lS8_T11_S7_li.has_indirect_call, 0
	.section	.AMDGPU.csdata,"",@progbits
; Kernel info:
; codeLenInByte = 1336
; TotalNumSgprs: 37
; NumVgprs: 50
; NumAgprs: 0
; TotalNumVgprs: 50
; ScratchSize: 0
; MemoryBound: 0
; FloatMode: 240
; IeeeMode: 1
; LDSByteSize: 2048 bytes/workgroup (compile time only)
; SGPRBlocks: 4
; VGPRBlocks: 6
; NumSGPRsForWavesPerEU: 37
; NumVGPRsForWavesPerEU: 50
; AccumOffset: 52
; Occupancy: 8
; WaveLimiterHint : 1
; COMPUTE_PGM_RSRC2:SCRATCH_EN: 0
; COMPUTE_PGM_RSRC2:USER_SGPR: 2
; COMPUTE_PGM_RSRC2:TRAP_HANDLER: 0
; COMPUTE_PGM_RSRC2:TGID_X_EN: 1
; COMPUTE_PGM_RSRC2:TGID_Y_EN: 1
; COMPUTE_PGM_RSRC2:TGID_Z_EN: 1
; COMPUTE_PGM_RSRC2:TIDIG_COMP_CNT: 1
; COMPUTE_PGM_RSRC3_GFX90A:ACCUM_OFFSET: 12
; COMPUTE_PGM_RSRC3_GFX90A:TG_SPLIT: 0
	.section	.text._ZL29rocblas_internal_gemmt_kernelIlLi16ELi32ELi8ELc84ELc67ELc76ELb0ELb0EffPKPKfPKPfEviT_T9_T10_S7_lS9_S7_lS8_T11_S7_li,"axG",@progbits,_ZL29rocblas_internal_gemmt_kernelIlLi16ELi32ELi8ELc84ELc67ELc76ELb0ELb0EffPKPKfPKPfEviT_T9_T10_S7_lS9_S7_lS8_T11_S7_li,comdat
	.globl	_ZL29rocblas_internal_gemmt_kernelIlLi16ELi32ELi8ELc84ELc67ELc76ELb0ELb0EffPKPKfPKPfEviT_T9_T10_S7_lS9_S7_lS8_T11_S7_li ; -- Begin function _ZL29rocblas_internal_gemmt_kernelIlLi16ELi32ELi8ELc84ELc67ELc76ELb0ELb0EffPKPKfPKPfEviT_T9_T10_S7_lS9_S7_lS8_T11_S7_li
	.p2align	8
	.type	_ZL29rocblas_internal_gemmt_kernelIlLi16ELi32ELi8ELc84ELc67ELc76ELb0ELb0EffPKPKfPKPfEviT_T9_T10_S7_lS9_S7_lS8_T11_S7_li,@function
_ZL29rocblas_internal_gemmt_kernelIlLi16ELi32ELi8ELc84ELc67ELc76ELb0ELb0EffPKPKfPKPfEviT_T9_T10_S7_lS9_S7_lS8_T11_S7_li: ; @_ZL29rocblas_internal_gemmt_kernelIlLi16ELi32ELi8ELc84ELc67ELc76ELb0ELb0EffPKPKfPKPfEviT_T9_T10_S7_lS9_S7_lS8_T11_S7_li
; %bb.0:
	s_load_dword s26, s[0:1], 0x48
	s_load_dwordx2 s[20:21], s[0:1], 0x8
	s_load_dword s27, s[0:1], 0x10
	s_waitcnt lgkmcnt(0)
	v_cmp_neq_f32_e64 s[6:7], s26, 1.0
	s_and_b64 vcc, exec, s[6:7]
	s_cbranch_vccnz .LBB464_2
; %bb.1:
	s_cmp_lg_u64 s[20:21], 0
	s_cselect_b64 s[6:7], -1, 0
	v_cmp_neq_f32_e64 s[8:9], s27, 0
	s_and_b64 s[6:7], s[6:7], s[8:9]
.LBB464_2:
	s_andn2_b64 vcc, exec, s[6:7]
	s_cbranch_vccnz .LBB464_28
; %bb.3:
	s_load_dwordx2 s[22:23], s[0:1], 0x60
	s_load_dword s28, s[0:1], 0x0
	s_load_dwordx4 s[12:15], s[0:1], 0x50
	s_mov_b32 s5, 0
	s_lshl_b64 s[24:25], s[4:5], 3
	v_mov_b32_e32 v7, 0
	v_and_b32_e32 v3, 0x3ff, v0
	s_waitcnt lgkmcnt(0)
	s_add_u32 s4, s12, s24
	s_addc_u32 s5, s13, s25
	s_load_dwordx2 s[12:13], s[4:5], 0x0
	s_lshl_b32 s29, s2, 5
	s_lshl_b32 s30, s3, 5
	v_cmp_eq_f32_e64 s[2:3], s27, 0
	v_cmp_lt_i64_e64 s[4:5], s[20:21], 1
	s_or_b64 s[2:3], s[2:3], s[4:5]
	v_bfe_u32 v5, v0, 10, 10
	s_and_b64 vcc, exec, s[2:3]
	v_mov_b32_e32 v6, v7
	v_mov_b32_e32 v1, v7
	;; [unrolled: 1-line block ×3, first 2 shown]
	s_cbranch_vccnz .LBB464_12
; %bb.4:
	s_load_dwordx8 s[4:11], s[0:1], 0x18
	s_load_dwordx4 s[16:19], s[0:1], 0x38
	v_lshl_add_u32 v0, v5, 4, v3
	v_and_b32_e32 v6, 31, v0
	v_lshrrev_b32_e32 v4, 5, v0
	s_waitcnt lgkmcnt(0)
	s_add_u32 s0, s10, s24
	s_addc_u32 s1, s11, s25
	s_load_dwordx2 s[0:1], s[0:1], 0x0
	s_lshl_b64 s[2:3], s[18:19], 2
	v_or_b32_e32 v7, s29, v6
	v_lshlrev_b32_e32 v6, 2, v6
	v_lshl_or_b32 v14, v4, 7, v6
	s_waitcnt lgkmcnt(0)
	s_add_u32 s10, s0, s2
	s_addc_u32 s11, s1, s3
	s_add_u32 s0, s4, s24
	s_addc_u32 s1, s5, s25
	s_load_dwordx2 s[2:3], s[0:1], 0x0
	s_lshl_b64 s[4:5], s[8:9], 2
	v_cmp_gt_i32_e64 s[0:1], s28, v7
	v_mul_lo_u32 v8, s7, v7
	v_and_b32_e32 v2, 7, v3
	s_waitcnt lgkmcnt(0)
	s_add_u32 s2, s2, s4
	s_addc_u32 s3, s3, s5
	s_ashr_i32 s8, s29, 31
	v_mad_u64_u32 v[6:7], s[4:5], s6, v7, 0
	s_mul_i32 s4, s6, s8
	s_nop 0
	v_add3_u32 v7, v7, s4, v8
	v_lshrrev_b32_e32 v1, 3, v0
	v_lshl_add_u64 v[8:9], v[6:7], 2, s[2:3]
	v_lshlrev_b32_e32 v6, 2, v2
	v_add_u32_e32 v0, s30, v1
	v_lshl_or_b32 v1, v1, 5, v6
	v_add_u32_e32 v15, 0x400, v1
	v_ashrrev_i32_e32 v1, 31, v0
	v_cmp_gt_i32_e64 s[2:3], s28, v0
	v_lshl_add_u64 v[10:11], v[0:1], 2, s[10:11]
	v_mov_b32_e32 v0, 0x400
	v_mov_b32_e32 v13, 0
	v_lshlrev_b32_e32 v16, 2, v3
	v_lshl_add_u32 v17, v5, 5, v0
	s_mov_b64 s[4:5], 0
	v_mov_b32_e32 v0, v13
	v_mov_b32_e32 v1, v13
	;; [unrolled: 1-line block ×4, first 2 shown]
	s_branch .LBB464_6
.LBB464_5:                              ;   in Loop: Header=BB464_6 Depth=1
	s_or_b64 exec, exec, s[6:7]
	s_waitcnt vmcnt(0) lgkmcnt(0)
	ds_write_b32 v15, v18
	s_waitcnt lgkmcnt(0)
	s_barrier
	ds_read_b128 v[18:21], v17
	ds_read_b128 v[22:25], v17 offset:16
	ds_read2_b32 v[34:35], v16 offset1:16
	ds_read2_b32 v[36:37], v16 offset0:32 offset1:48
	ds_read2_b32 v[38:39], v16 offset0:64 offset1:80
	;; [unrolled: 1-line block ×4, first 2 shown]
	ds_read_b128 v[26:29], v17 offset:512
	ds_read_b128 v[30:33], v17 offset:528
	ds_read2_b32 v[44:45], v16 offset0:160 offset1:176
	ds_read2_b32 v[46:47], v16 offset0:192 offset1:208
	;; [unrolled: 1-line block ×3, first 2 shown]
	s_waitcnt lgkmcnt(9)
	v_pk_fma_f32 v[6:7], v[34:35], v[18:19], v[6:7] op_sel_hi:[1,0,1]
	v_mov_b32_e32 v12, v21
	s_waitcnt lgkmcnt(8)
	v_pk_fma_f32 v[6:7], v[36:37], v[18:19], v[6:7] op_sel:[0,1,0]
	s_waitcnt lgkmcnt(4)
	v_pk_fma_f32 v[0:1], v[34:35], v[26:27], v[0:1] op_sel_hi:[1,0,1]
	v_pk_fma_f32 v[6:7], v[38:39], v[20:21], v[6:7] op_sel_hi:[1,0,1]
	v_pk_fma_f32 v[0:1], v[36:37], v[26:27], v[0:1] op_sel:[0,1,0]
	v_pk_fma_f32 v[6:7], v[40:41], v[12:13], v[6:7] op_sel_hi:[1,0,1]
	v_mov_b32_e32 v12, v25
	v_pk_fma_f32 v[6:7], v[42:43], v[22:23], v[6:7] op_sel_hi:[1,0,1]
	v_pk_fma_f32 v[0:1], v[38:39], v[28:29], v[0:1] op_sel_hi:[1,0,1]
	s_waitcnt lgkmcnt(2)
	v_pk_fma_f32 v[6:7], v[44:45], v[22:23], v[6:7] op_sel:[0,1,0]
	s_add_u32 s4, s4, 8
	s_waitcnt lgkmcnt(1)
	v_pk_fma_f32 v[6:7], v[46:47], v[24:25], v[6:7] op_sel_hi:[1,0,1]
	s_addc_u32 s5, s5, 0
	s_waitcnt lgkmcnt(0)
	v_pk_fma_f32 v[6:7], v[48:49], v[12:13], v[6:7] op_sel_hi:[1,0,1]
	v_mov_b32_e32 v12, v29
	v_pk_fma_f32 v[0:1], v[40:41], v[12:13], v[0:1] op_sel_hi:[1,0,1]
	v_mov_b64_e32 v[18:19], s[4:5]
	v_pk_fma_f32 v[0:1], v[42:43], v[30:31], v[0:1] op_sel_hi:[1,0,1]
	v_mov_b32_e32 v12, v33
	v_pk_fma_f32 v[0:1], v[44:45], v[30:31], v[0:1] op_sel:[0,1,0]
	v_cmp_gt_i64_e32 vcc, s[20:21], v[18:19]
	v_pk_fma_f32 v[0:1], v[46:47], v[32:33], v[0:1] op_sel_hi:[1,0,1]
	s_nop 0
	v_pk_fma_f32 v[0:1], v[48:49], v[12:13], v[0:1] op_sel_hi:[1,0,1]
	s_barrier
	s_cbranch_vccz .LBB464_12
.LBB464_6:                              ; =>This Inner Loop Header: Depth=1
	v_mov_b32_e32 v18, 0
	s_and_saveexec_b64 s[6:7], s[0:1]
	s_cbranch_execz .LBB464_10
; %bb.7:                                ;   in Loop: Header=BB464_6 Depth=1
	v_add_u32_e32 v12, s4, v4
	v_cmp_gt_u64_e32 vcc, s[20:21], v[12:13]
	v_mov_b32_e32 v18, 0
	s_and_saveexec_b64 s[8:9], vcc
	s_cbranch_execz .LBB464_9
; %bb.8:                                ;   in Loop: Header=BB464_6 Depth=1
	v_lshl_add_u64 v[18:19], v[12:13], 2, v[8:9]
	flat_load_dword v18, v[18:19]
.LBB464_9:                              ;   in Loop: Header=BB464_6 Depth=1
	s_or_b64 exec, exec, s[8:9]
.LBB464_10:                             ;   in Loop: Header=BB464_6 Depth=1
	s_or_b64 exec, exec, s[6:7]
	v_add_u32_e32 v12, s4, v2
	v_cmp_gt_u64_e32 vcc, s[20:21], v[12:13]
	s_waitcnt vmcnt(0) lgkmcnt(0)
	ds_write_b32 v14, v18
	s_and_b64 s[8:9], vcc, s[2:3]
	v_mov_b32_e32 v18, 0
	s_and_saveexec_b64 s[6:7], s[8:9]
	s_cbranch_execz .LBB464_5
; %bb.11:                               ;   in Loop: Header=BB464_6 Depth=1
	v_mad_u64_u32 v[18:19], s[8:9], s16, v12, 0
	v_mov_b32_e32 v20, v19
	v_mad_u64_u32 v[20:21], s[8:9], s17, v12, v[20:21]
	v_mov_b32_e32 v19, v20
	v_lshl_add_u64 v[18:19], v[18:19], 2, v[10:11]
	flat_load_dword v18, v[18:19]
	s_branch .LBB464_5
.LBB464_12:
	s_lshl_b64 s[0:1], s[22:23], 2
	v_add_u32_e32 v10, s30, v5
	s_waitcnt lgkmcnt(0)
	s_add_u32 s6, s12, s0
	v_add_u32_e32 v2, s29, v3
	v_ashrrev_i32_e32 v3, 31, v10
	s_addc_u32 s7, s13, s1
	v_mul_lo_u32 v3, s14, v3
	v_mul_lo_u32 v8, s15, v10
	v_mad_u64_u32 v[4:5], s[0:1], s14, v10, 0
	v_add3_u32 v5, v5, v3, v8
	v_cmp_neq_f32_e64 s[0:1], s26, 0
	v_lshl_add_u64 v[8:9], v[4:5], 2, s[6:7]
	v_cmp_le_i32_e32 vcc, v10, v2
	v_cmp_gt_i32_e64 s[2:3], s28, v2
	v_cndmask_b32_e64 v4, 0, 1, s[0:1]
	s_and_b64 s[8:9], vcc, s[2:3]
	v_ashrrev_i32_e32 v3, 31, v2
	v_cmp_ne_u32_e64 s[0:1], 1, v4
	s_and_saveexec_b64 s[4:5], s[8:9]
	s_cbranch_execz .LBB464_16
; %bb.13:
	v_mul_f32_e32 v6, s27, v6
	s_and_b64 vcc, exec, s[0:1]
	v_lshl_add_u64 v[4:5], v[2:3], 2, v[8:9]
	s_cbranch_vccnz .LBB464_15
; %bb.14:
	flat_load_dword v11, v[4:5]
	s_waitcnt vmcnt(0) lgkmcnt(0)
	v_fmac_f32_e32 v6, s26, v11
.LBB464_15:
	flat_store_dword v[4:5], v6
.LBB464_16:
	s_or_b64 exec, exec, s[4:5]
	v_add_u32_e32 v4, 16, v2
	v_cmp_le_i32_e32 vcc, v10, v4
	v_cmp_gt_i32_e64 s[4:5], s28, v4
	s_and_b64 s[10:11], vcc, s[4:5]
	v_ashrrev_i32_e32 v5, 31, v4
	s_and_saveexec_b64 s[8:9], s[10:11]
	s_cbranch_execz .LBB464_20
; %bb.17:
	v_mul_f32_e32 v11, s27, v7
	s_and_b64 vcc, exec, s[0:1]
	v_lshl_add_u64 v[6:7], v[4:5], 2, v[8:9]
	s_cbranch_vccnz .LBB464_19
; %bb.18:
	flat_load_dword v8, v[6:7]
	s_waitcnt vmcnt(0) lgkmcnt(0)
	v_fmac_f32_e32 v11, s26, v8
.LBB464_19:
	flat_store_dword v[6:7], v11
.LBB464_20:
	s_or_b64 exec, exec, s[8:9]
	v_add_u32_e32 v8, 16, v10
	v_ashrrev_i32_e32 v6, 31, v8
	v_mul_lo_u32 v9, s14, v6
	v_mul_lo_u32 v10, s15, v8
	v_mad_u64_u32 v[6:7], s[8:9], s14, v8, 0
	v_add3_u32 v7, v7, v9, v10
	v_cmp_le_i32_e32 vcc, v8, v2
	v_lshl_add_u64 v[6:7], v[6:7], 2, s[6:7]
	s_and_b64 s[6:7], vcc, s[2:3]
	s_and_saveexec_b64 s[2:3], s[6:7]
	s_cbranch_execz .LBB464_24
; %bb.21:
	v_mul_f32_e32 v0, s27, v0
	s_and_b64 vcc, exec, s[0:1]
	v_lshl_add_u64 v[2:3], v[2:3], 2, v[6:7]
	s_cbranch_vccnz .LBB464_23
; %bb.22:
	flat_load_dword v9, v[2:3]
	s_waitcnt vmcnt(0) lgkmcnt(0)
	v_fmac_f32_e32 v0, s26, v9
.LBB464_23:
	flat_store_dword v[2:3], v0
.LBB464_24:
	s_or_b64 exec, exec, s[2:3]
	v_cmp_le_i32_e32 vcc, v8, v4
	s_and_b64 s[2:3], vcc, s[4:5]
	s_and_saveexec_b64 s[4:5], s[2:3]
	s_cbranch_execz .LBB464_28
; %bb.25:
	v_mul_f32_e32 v2, s27, v1
	s_and_b64 vcc, exec, s[0:1]
	v_lshl_add_u64 v[0:1], v[4:5], 2, v[6:7]
	s_cbranch_vccnz .LBB464_27
; %bb.26:
	flat_load_dword v3, v[0:1]
	s_waitcnt vmcnt(0) lgkmcnt(0)
	v_fmac_f32_e32 v2, s26, v3
.LBB464_27:
	flat_store_dword v[0:1], v2
.LBB464_28:
	s_endpgm
	.section	.rodata,"a",@progbits
	.p2align	6, 0x0
	.amdhsa_kernel _ZL29rocblas_internal_gemmt_kernelIlLi16ELi32ELi8ELc84ELc67ELc76ELb0ELb0EffPKPKfPKPfEviT_T9_T10_S7_lS9_S7_lS8_T11_S7_li
		.amdhsa_group_segment_fixed_size 2048
		.amdhsa_private_segment_fixed_size 0
		.amdhsa_kernarg_size 108
		.amdhsa_user_sgpr_count 2
		.amdhsa_user_sgpr_dispatch_ptr 0
		.amdhsa_user_sgpr_queue_ptr 0
		.amdhsa_user_sgpr_kernarg_segment_ptr 1
		.amdhsa_user_sgpr_dispatch_id 0
		.amdhsa_user_sgpr_kernarg_preload_length 0
		.amdhsa_user_sgpr_kernarg_preload_offset 0
		.amdhsa_user_sgpr_private_segment_size 0
		.amdhsa_uses_dynamic_stack 0
		.amdhsa_enable_private_segment 0
		.amdhsa_system_sgpr_workgroup_id_x 1
		.amdhsa_system_sgpr_workgroup_id_y 1
		.amdhsa_system_sgpr_workgroup_id_z 1
		.amdhsa_system_sgpr_workgroup_info 0
		.amdhsa_system_vgpr_workitem_id 1
		.amdhsa_next_free_vgpr 50
		.amdhsa_next_free_sgpr 31
		.amdhsa_accum_offset 52
		.amdhsa_reserve_vcc 1
		.amdhsa_float_round_mode_32 0
		.amdhsa_float_round_mode_16_64 0
		.amdhsa_float_denorm_mode_32 3
		.amdhsa_float_denorm_mode_16_64 3
		.amdhsa_dx10_clamp 1
		.amdhsa_ieee_mode 1
		.amdhsa_fp16_overflow 0
		.amdhsa_tg_split 0
		.amdhsa_exception_fp_ieee_invalid_op 0
		.amdhsa_exception_fp_denorm_src 0
		.amdhsa_exception_fp_ieee_div_zero 0
		.amdhsa_exception_fp_ieee_overflow 0
		.amdhsa_exception_fp_ieee_underflow 0
		.amdhsa_exception_fp_ieee_inexact 0
		.amdhsa_exception_int_div_zero 0
	.end_amdhsa_kernel
	.section	.text._ZL29rocblas_internal_gemmt_kernelIlLi16ELi32ELi8ELc84ELc67ELc76ELb0ELb0EffPKPKfPKPfEviT_T9_T10_S7_lS9_S7_lS8_T11_S7_li,"axG",@progbits,_ZL29rocblas_internal_gemmt_kernelIlLi16ELi32ELi8ELc84ELc67ELc76ELb0ELb0EffPKPKfPKPfEviT_T9_T10_S7_lS9_S7_lS8_T11_S7_li,comdat
.Lfunc_end464:
	.size	_ZL29rocblas_internal_gemmt_kernelIlLi16ELi32ELi8ELc84ELc67ELc76ELb0ELb0EffPKPKfPKPfEviT_T9_T10_S7_lS9_S7_lS8_T11_S7_li, .Lfunc_end464-_ZL29rocblas_internal_gemmt_kernelIlLi16ELi32ELi8ELc84ELc67ELc76ELb0ELb0EffPKPKfPKPfEviT_T9_T10_S7_lS9_S7_lS8_T11_S7_li
                                        ; -- End function
	.set _ZL29rocblas_internal_gemmt_kernelIlLi16ELi32ELi8ELc84ELc67ELc76ELb0ELb0EffPKPKfPKPfEviT_T9_T10_S7_lS9_S7_lS8_T11_S7_li.num_vgpr, 50
	.set _ZL29rocblas_internal_gemmt_kernelIlLi16ELi32ELi8ELc84ELc67ELc76ELb0ELb0EffPKPKfPKPfEviT_T9_T10_S7_lS9_S7_lS8_T11_S7_li.num_agpr, 0
	.set _ZL29rocblas_internal_gemmt_kernelIlLi16ELi32ELi8ELc84ELc67ELc76ELb0ELb0EffPKPKfPKPfEviT_T9_T10_S7_lS9_S7_lS8_T11_S7_li.numbered_sgpr, 31
	.set _ZL29rocblas_internal_gemmt_kernelIlLi16ELi32ELi8ELc84ELc67ELc76ELb0ELb0EffPKPKfPKPfEviT_T9_T10_S7_lS9_S7_lS8_T11_S7_li.num_named_barrier, 0
	.set _ZL29rocblas_internal_gemmt_kernelIlLi16ELi32ELi8ELc84ELc67ELc76ELb0ELb0EffPKPKfPKPfEviT_T9_T10_S7_lS9_S7_lS8_T11_S7_li.private_seg_size, 0
	.set _ZL29rocblas_internal_gemmt_kernelIlLi16ELi32ELi8ELc84ELc67ELc76ELb0ELb0EffPKPKfPKPfEviT_T9_T10_S7_lS9_S7_lS8_T11_S7_li.uses_vcc, 1
	.set _ZL29rocblas_internal_gemmt_kernelIlLi16ELi32ELi8ELc84ELc67ELc76ELb0ELb0EffPKPKfPKPfEviT_T9_T10_S7_lS9_S7_lS8_T11_S7_li.uses_flat_scratch, 0
	.set _ZL29rocblas_internal_gemmt_kernelIlLi16ELi32ELi8ELc84ELc67ELc76ELb0ELb0EffPKPKfPKPfEviT_T9_T10_S7_lS9_S7_lS8_T11_S7_li.has_dyn_sized_stack, 0
	.set _ZL29rocblas_internal_gemmt_kernelIlLi16ELi32ELi8ELc84ELc67ELc76ELb0ELb0EffPKPKfPKPfEviT_T9_T10_S7_lS9_S7_lS8_T11_S7_li.has_recursion, 0
	.set _ZL29rocblas_internal_gemmt_kernelIlLi16ELi32ELi8ELc84ELc67ELc76ELb0ELb0EffPKPKfPKPfEviT_T9_T10_S7_lS9_S7_lS8_T11_S7_li.has_indirect_call, 0
	.section	.AMDGPU.csdata,"",@progbits
; Kernel info:
; codeLenInByte = 1336
; TotalNumSgprs: 37
; NumVgprs: 50
; NumAgprs: 0
; TotalNumVgprs: 50
; ScratchSize: 0
; MemoryBound: 0
; FloatMode: 240
; IeeeMode: 1
; LDSByteSize: 2048 bytes/workgroup (compile time only)
; SGPRBlocks: 4
; VGPRBlocks: 6
; NumSGPRsForWavesPerEU: 37
; NumVGPRsForWavesPerEU: 50
; AccumOffset: 52
; Occupancy: 8
; WaveLimiterHint : 1
; COMPUTE_PGM_RSRC2:SCRATCH_EN: 0
; COMPUTE_PGM_RSRC2:USER_SGPR: 2
; COMPUTE_PGM_RSRC2:TRAP_HANDLER: 0
; COMPUTE_PGM_RSRC2:TGID_X_EN: 1
; COMPUTE_PGM_RSRC2:TGID_Y_EN: 1
; COMPUTE_PGM_RSRC2:TGID_Z_EN: 1
; COMPUTE_PGM_RSRC2:TIDIG_COMP_CNT: 1
; COMPUTE_PGM_RSRC3_GFX90A:ACCUM_OFFSET: 12
; COMPUTE_PGM_RSRC3_GFX90A:TG_SPLIT: 0
	.section	.text._ZL29rocblas_internal_gemmt_kernelIlLi16ELi32ELi8ELc67ELc78ELc76ELb0ELb0EffPKPKfPKPfEviT_T9_T10_S7_lS9_S7_lS8_T11_S7_li,"axG",@progbits,_ZL29rocblas_internal_gemmt_kernelIlLi16ELi32ELi8ELc67ELc78ELc76ELb0ELb0EffPKPKfPKPfEviT_T9_T10_S7_lS9_S7_lS8_T11_S7_li,comdat
	.globl	_ZL29rocblas_internal_gemmt_kernelIlLi16ELi32ELi8ELc67ELc78ELc76ELb0ELb0EffPKPKfPKPfEviT_T9_T10_S7_lS9_S7_lS8_T11_S7_li ; -- Begin function _ZL29rocblas_internal_gemmt_kernelIlLi16ELi32ELi8ELc67ELc78ELc76ELb0ELb0EffPKPKfPKPfEviT_T9_T10_S7_lS9_S7_lS8_T11_S7_li
	.p2align	8
	.type	_ZL29rocblas_internal_gemmt_kernelIlLi16ELi32ELi8ELc67ELc78ELc76ELb0ELb0EffPKPKfPKPfEviT_T9_T10_S7_lS9_S7_lS8_T11_S7_li,@function
_ZL29rocblas_internal_gemmt_kernelIlLi16ELi32ELi8ELc67ELc78ELc76ELb0ELb0EffPKPKfPKPfEviT_T9_T10_S7_lS9_S7_lS8_T11_S7_li: ; @_ZL29rocblas_internal_gemmt_kernelIlLi16ELi32ELi8ELc67ELc78ELc76ELb0ELb0EffPKPKfPKPfEviT_T9_T10_S7_lS9_S7_lS8_T11_S7_li
; %bb.0:
	s_load_dword s26, s[0:1], 0x48
	s_load_dwordx2 s[20:21], s[0:1], 0x8
	s_load_dword s27, s[0:1], 0x10
	s_waitcnt lgkmcnt(0)
	v_cmp_neq_f32_e64 s[6:7], s26, 1.0
	s_and_b64 vcc, exec, s[6:7]
	s_cbranch_vccnz .LBB465_2
; %bb.1:
	s_cmp_lg_u64 s[20:21], 0
	s_cselect_b64 s[6:7], -1, 0
	v_cmp_neq_f32_e64 s[8:9], s27, 0
	s_and_b64 s[6:7], s[6:7], s[8:9]
.LBB465_2:
	s_andn2_b64 vcc, exec, s[6:7]
	s_cbranch_vccnz .LBB465_28
; %bb.3:
	s_load_dwordx2 s[22:23], s[0:1], 0x60
	s_load_dword s28, s[0:1], 0x0
	s_load_dwordx4 s[12:15], s[0:1], 0x50
	s_mov_b32 s5, 0
	s_lshl_b64 s[24:25], s[4:5], 3
	v_mov_b32_e32 v7, 0
	v_and_b32_e32 v3, 0x3ff, v0
	s_waitcnt lgkmcnt(0)
	s_add_u32 s4, s12, s24
	s_addc_u32 s5, s13, s25
	s_load_dwordx2 s[12:13], s[4:5], 0x0
	s_lshl_b32 s29, s2, 5
	s_lshl_b32 s30, s3, 5
	v_cmp_eq_f32_e64 s[2:3], s27, 0
	v_cmp_lt_i64_e64 s[4:5], s[20:21], 1
	s_or_b64 s[2:3], s[2:3], s[4:5]
	v_bfe_u32 v5, v0, 10, 10
	s_and_b64 vcc, exec, s[2:3]
	v_mov_b32_e32 v6, v7
	v_mov_b32_e32 v1, v7
	;; [unrolled: 1-line block ×3, first 2 shown]
	s_cbranch_vccnz .LBB465_12
; %bb.4:
	s_load_dwordx8 s[4:11], s[0:1], 0x18
	s_load_dwordx4 s[16:19], s[0:1], 0x38
	v_lshl_add_u32 v0, v5, 4, v3
	v_lshrrev_b32_e32 v4, 5, v0
	v_lshrrev_b32_e32 v6, 3, v0
	s_waitcnt lgkmcnt(0)
	s_add_u32 s0, s10, s24
	s_addc_u32 s1, s11, s25
	s_load_dwordx2 s[0:1], s[0:1], 0x0
	s_lshl_b64 s[2:3], s[18:19], 2
	v_and_b32_e32 v0, 31, v0
	v_or_b32_e32 v1, s29, v0
	v_lshlrev_b32_e32 v0, 2, v0
	s_waitcnt lgkmcnt(0)
	s_add_u32 s10, s0, s2
	s_addc_u32 s11, s1, s3
	s_add_u32 s0, s4, s24
	s_addc_u32 s1, s5, s25
	s_load_dwordx2 s[2:3], s[0:1], 0x0
	s_lshl_b64 s[4:5], s[8:9], 2
	v_cmp_gt_i32_e64 s[0:1], s28, v1
	v_lshl_or_b32 v14, v4, 7, v0
	v_mul_lo_u32 v8, s7, v1
	s_waitcnt lgkmcnt(0)
	s_add_u32 s2, s2, s4
	s_addc_u32 s3, s3, s5
	s_ashr_i32 s8, s29, 31
	v_mad_u64_u32 v[0:1], s[4:5], s6, v1, 0
	s_mul_i32 s4, s6, s8
	v_and_b32_e32 v2, 7, v3
	v_add3_u32 v1, v1, s4, v8
	v_lshl_add_u64 v[8:9], v[0:1], 2, s[2:3]
	v_lshlrev_b32_e32 v0, 2, v2
	v_add_u32_e32 v7, s30, v6
	v_lshl_or_b32 v0, v6, 5, v0
	v_add_u32_e32 v15, 0x400, v0
	v_ashrrev_i32_e32 v0, 31, v7
	v_mul_lo_u32 v6, s16, v0
	v_mul_lo_u32 v10, s17, v7
	v_mad_u64_u32 v[0:1], s[4:5], s16, v7, 0
	v_add3_u32 v1, v1, v6, v10
	v_lshl_add_u64 v[10:11], v[0:1], 2, s[10:11]
	v_mov_b32_e32 v0, 0x400
	v_mov_b32_e32 v13, 0
	v_cmp_gt_i32_e64 s[2:3], s28, v7
	v_lshlrev_b32_e32 v16, 2, v3
	v_lshl_add_u32 v17, v5, 5, v0
	s_mov_b64 s[4:5], 0
	v_mov_b32_e32 v0, v13
	v_mov_b32_e32 v1, v13
	;; [unrolled: 1-line block ×4, first 2 shown]
	s_branch .LBB465_6
.LBB465_5:                              ;   in Loop: Header=BB465_6 Depth=1
	s_or_b64 exec, exec, s[6:7]
	s_waitcnt vmcnt(0) lgkmcnt(0)
	ds_write_b32 v15, v18
	s_waitcnt lgkmcnt(0)
	s_barrier
	ds_read_b128 v[18:21], v17
	ds_read_b128 v[22:25], v17 offset:16
	ds_read2_b32 v[34:35], v16 offset1:16
	ds_read2_b32 v[36:37], v16 offset0:32 offset1:48
	ds_read2_b32 v[38:39], v16 offset0:64 offset1:80
	;; [unrolled: 1-line block ×4, first 2 shown]
	ds_read_b128 v[26:29], v17 offset:512
	ds_read_b128 v[30:33], v17 offset:528
	ds_read2_b32 v[44:45], v16 offset0:160 offset1:176
	ds_read2_b32 v[46:47], v16 offset0:192 offset1:208
	;; [unrolled: 1-line block ×3, first 2 shown]
	s_waitcnt lgkmcnt(9)
	v_pk_fma_f32 v[6:7], v[34:35], v[18:19], v[6:7] op_sel_hi:[1,0,1]
	v_mov_b32_e32 v12, v21
	s_waitcnt lgkmcnt(8)
	v_pk_fma_f32 v[6:7], v[36:37], v[18:19], v[6:7] op_sel:[0,1,0]
	s_waitcnt lgkmcnt(4)
	v_pk_fma_f32 v[0:1], v[34:35], v[26:27], v[0:1] op_sel_hi:[1,0,1]
	v_pk_fma_f32 v[6:7], v[38:39], v[20:21], v[6:7] op_sel_hi:[1,0,1]
	v_pk_fma_f32 v[0:1], v[36:37], v[26:27], v[0:1] op_sel:[0,1,0]
	v_pk_fma_f32 v[6:7], v[40:41], v[12:13], v[6:7] op_sel_hi:[1,0,1]
	v_mov_b32_e32 v12, v25
	v_pk_fma_f32 v[6:7], v[42:43], v[22:23], v[6:7] op_sel_hi:[1,0,1]
	v_pk_fma_f32 v[0:1], v[38:39], v[28:29], v[0:1] op_sel_hi:[1,0,1]
	s_waitcnt lgkmcnt(2)
	v_pk_fma_f32 v[6:7], v[44:45], v[22:23], v[6:7] op_sel:[0,1,0]
	s_add_u32 s4, s4, 8
	s_waitcnt lgkmcnt(1)
	v_pk_fma_f32 v[6:7], v[46:47], v[24:25], v[6:7] op_sel_hi:[1,0,1]
	s_addc_u32 s5, s5, 0
	s_waitcnt lgkmcnt(0)
	v_pk_fma_f32 v[6:7], v[48:49], v[12:13], v[6:7] op_sel_hi:[1,0,1]
	v_mov_b32_e32 v12, v29
	v_pk_fma_f32 v[0:1], v[40:41], v[12:13], v[0:1] op_sel_hi:[1,0,1]
	v_mov_b64_e32 v[18:19], s[4:5]
	v_pk_fma_f32 v[0:1], v[42:43], v[30:31], v[0:1] op_sel_hi:[1,0,1]
	v_mov_b32_e32 v12, v33
	v_pk_fma_f32 v[0:1], v[44:45], v[30:31], v[0:1] op_sel:[0,1,0]
	v_cmp_gt_i64_e32 vcc, s[20:21], v[18:19]
	v_pk_fma_f32 v[0:1], v[46:47], v[32:33], v[0:1] op_sel_hi:[1,0,1]
	s_nop 0
	v_pk_fma_f32 v[0:1], v[48:49], v[12:13], v[0:1] op_sel_hi:[1,0,1]
	s_barrier
	s_cbranch_vccz .LBB465_12
.LBB465_6:                              ; =>This Inner Loop Header: Depth=1
	v_mov_b32_e32 v18, 0
	s_and_saveexec_b64 s[6:7], s[0:1]
	s_cbranch_execz .LBB465_10
; %bb.7:                                ;   in Loop: Header=BB465_6 Depth=1
	v_add_u32_e32 v12, s4, v4
	v_cmp_gt_u64_e32 vcc, s[20:21], v[12:13]
	v_mov_b32_e32 v18, 0
	s_and_saveexec_b64 s[8:9], vcc
	s_cbranch_execz .LBB465_9
; %bb.8:                                ;   in Loop: Header=BB465_6 Depth=1
	v_lshl_add_u64 v[18:19], v[12:13], 2, v[8:9]
	flat_load_dword v18, v[18:19]
.LBB465_9:                              ;   in Loop: Header=BB465_6 Depth=1
	s_or_b64 exec, exec, s[8:9]
.LBB465_10:                             ;   in Loop: Header=BB465_6 Depth=1
	s_or_b64 exec, exec, s[6:7]
	v_add_u32_e32 v12, s4, v2
	v_cmp_gt_u64_e32 vcc, s[20:21], v[12:13]
	s_waitcnt vmcnt(0) lgkmcnt(0)
	ds_write_b32 v14, v18
	s_and_b64 s[8:9], vcc, s[2:3]
	v_mov_b32_e32 v18, 0
	s_and_saveexec_b64 s[6:7], s[8:9]
	s_cbranch_execz .LBB465_5
; %bb.11:                               ;   in Loop: Header=BB465_6 Depth=1
	v_lshl_add_u64 v[18:19], v[12:13], 2, v[10:11]
	flat_load_dword v18, v[18:19]
	s_branch .LBB465_5
.LBB465_12:
	s_lshl_b64 s[0:1], s[22:23], 2
	v_add_u32_e32 v10, s30, v5
	s_waitcnt lgkmcnt(0)
	s_add_u32 s6, s12, s0
	v_add_u32_e32 v2, s29, v3
	v_ashrrev_i32_e32 v3, 31, v10
	s_addc_u32 s7, s13, s1
	v_mul_lo_u32 v3, s14, v3
	v_mul_lo_u32 v8, s15, v10
	v_mad_u64_u32 v[4:5], s[0:1], s14, v10, 0
	v_add3_u32 v5, v5, v3, v8
	v_cmp_neq_f32_e64 s[0:1], s26, 0
	v_lshl_add_u64 v[8:9], v[4:5], 2, s[6:7]
	v_cmp_le_i32_e32 vcc, v10, v2
	v_cmp_gt_i32_e64 s[2:3], s28, v2
	v_cndmask_b32_e64 v4, 0, 1, s[0:1]
	s_and_b64 s[8:9], vcc, s[2:3]
	v_ashrrev_i32_e32 v3, 31, v2
	v_cmp_ne_u32_e64 s[0:1], 1, v4
	s_and_saveexec_b64 s[4:5], s[8:9]
	s_cbranch_execz .LBB465_16
; %bb.13:
	v_mul_f32_e32 v6, s27, v6
	s_and_b64 vcc, exec, s[0:1]
	v_lshl_add_u64 v[4:5], v[2:3], 2, v[8:9]
	s_cbranch_vccnz .LBB465_15
; %bb.14:
	flat_load_dword v11, v[4:5]
	s_waitcnt vmcnt(0) lgkmcnt(0)
	v_fmac_f32_e32 v6, s26, v11
.LBB465_15:
	flat_store_dword v[4:5], v6
.LBB465_16:
	s_or_b64 exec, exec, s[4:5]
	v_add_u32_e32 v4, 16, v2
	v_cmp_le_i32_e32 vcc, v10, v4
	v_cmp_gt_i32_e64 s[4:5], s28, v4
	s_and_b64 s[10:11], vcc, s[4:5]
	v_ashrrev_i32_e32 v5, 31, v4
	s_and_saveexec_b64 s[8:9], s[10:11]
	s_cbranch_execz .LBB465_20
; %bb.17:
	v_mul_f32_e32 v11, s27, v7
	s_and_b64 vcc, exec, s[0:1]
	v_lshl_add_u64 v[6:7], v[4:5], 2, v[8:9]
	s_cbranch_vccnz .LBB465_19
; %bb.18:
	flat_load_dword v8, v[6:7]
	s_waitcnt vmcnt(0) lgkmcnt(0)
	v_fmac_f32_e32 v11, s26, v8
.LBB465_19:
	flat_store_dword v[6:7], v11
.LBB465_20:
	s_or_b64 exec, exec, s[8:9]
	v_add_u32_e32 v8, 16, v10
	v_ashrrev_i32_e32 v6, 31, v8
	v_mul_lo_u32 v9, s14, v6
	v_mul_lo_u32 v10, s15, v8
	v_mad_u64_u32 v[6:7], s[8:9], s14, v8, 0
	v_add3_u32 v7, v7, v9, v10
	v_cmp_le_i32_e32 vcc, v8, v2
	v_lshl_add_u64 v[6:7], v[6:7], 2, s[6:7]
	s_and_b64 s[6:7], vcc, s[2:3]
	s_and_saveexec_b64 s[2:3], s[6:7]
	s_cbranch_execz .LBB465_24
; %bb.21:
	v_mul_f32_e32 v0, s27, v0
	s_and_b64 vcc, exec, s[0:1]
	v_lshl_add_u64 v[2:3], v[2:3], 2, v[6:7]
	s_cbranch_vccnz .LBB465_23
; %bb.22:
	flat_load_dword v9, v[2:3]
	s_waitcnt vmcnt(0) lgkmcnt(0)
	v_fmac_f32_e32 v0, s26, v9
.LBB465_23:
	flat_store_dword v[2:3], v0
.LBB465_24:
	s_or_b64 exec, exec, s[2:3]
	v_cmp_le_i32_e32 vcc, v8, v4
	s_and_b64 s[2:3], vcc, s[4:5]
	s_and_saveexec_b64 s[4:5], s[2:3]
	s_cbranch_execz .LBB465_28
; %bb.25:
	v_mul_f32_e32 v2, s27, v1
	s_and_b64 vcc, exec, s[0:1]
	v_lshl_add_u64 v[0:1], v[4:5], 2, v[6:7]
	s_cbranch_vccnz .LBB465_27
; %bb.26:
	flat_load_dword v3, v[0:1]
	s_waitcnt vmcnt(0) lgkmcnt(0)
	v_fmac_f32_e32 v2, s26, v3
.LBB465_27:
	flat_store_dword v[0:1], v2
.LBB465_28:
	s_endpgm
	.section	.rodata,"a",@progbits
	.p2align	6, 0x0
	.amdhsa_kernel _ZL29rocblas_internal_gemmt_kernelIlLi16ELi32ELi8ELc67ELc78ELc76ELb0ELb0EffPKPKfPKPfEviT_T9_T10_S7_lS9_S7_lS8_T11_S7_li
		.amdhsa_group_segment_fixed_size 2048
		.amdhsa_private_segment_fixed_size 0
		.amdhsa_kernarg_size 108
		.amdhsa_user_sgpr_count 2
		.amdhsa_user_sgpr_dispatch_ptr 0
		.amdhsa_user_sgpr_queue_ptr 0
		.amdhsa_user_sgpr_kernarg_segment_ptr 1
		.amdhsa_user_sgpr_dispatch_id 0
		.amdhsa_user_sgpr_kernarg_preload_length 0
		.amdhsa_user_sgpr_kernarg_preload_offset 0
		.amdhsa_user_sgpr_private_segment_size 0
		.amdhsa_uses_dynamic_stack 0
		.amdhsa_enable_private_segment 0
		.amdhsa_system_sgpr_workgroup_id_x 1
		.amdhsa_system_sgpr_workgroup_id_y 1
		.amdhsa_system_sgpr_workgroup_id_z 1
		.amdhsa_system_sgpr_workgroup_info 0
		.amdhsa_system_vgpr_workitem_id 1
		.amdhsa_next_free_vgpr 50
		.amdhsa_next_free_sgpr 31
		.amdhsa_accum_offset 52
		.amdhsa_reserve_vcc 1
		.amdhsa_float_round_mode_32 0
		.amdhsa_float_round_mode_16_64 0
		.amdhsa_float_denorm_mode_32 3
		.amdhsa_float_denorm_mode_16_64 3
		.amdhsa_dx10_clamp 1
		.amdhsa_ieee_mode 1
		.amdhsa_fp16_overflow 0
		.amdhsa_tg_split 0
		.amdhsa_exception_fp_ieee_invalid_op 0
		.amdhsa_exception_fp_denorm_src 0
		.amdhsa_exception_fp_ieee_div_zero 0
		.amdhsa_exception_fp_ieee_overflow 0
		.amdhsa_exception_fp_ieee_underflow 0
		.amdhsa_exception_fp_ieee_inexact 0
		.amdhsa_exception_int_div_zero 0
	.end_amdhsa_kernel
	.section	.text._ZL29rocblas_internal_gemmt_kernelIlLi16ELi32ELi8ELc67ELc78ELc76ELb0ELb0EffPKPKfPKPfEviT_T9_T10_S7_lS9_S7_lS8_T11_S7_li,"axG",@progbits,_ZL29rocblas_internal_gemmt_kernelIlLi16ELi32ELi8ELc67ELc78ELc76ELb0ELb0EffPKPKfPKPfEviT_T9_T10_S7_lS9_S7_lS8_T11_S7_li,comdat
.Lfunc_end465:
	.size	_ZL29rocblas_internal_gemmt_kernelIlLi16ELi32ELi8ELc67ELc78ELc76ELb0ELb0EffPKPKfPKPfEviT_T9_T10_S7_lS9_S7_lS8_T11_S7_li, .Lfunc_end465-_ZL29rocblas_internal_gemmt_kernelIlLi16ELi32ELi8ELc67ELc78ELc76ELb0ELb0EffPKPKfPKPfEviT_T9_T10_S7_lS9_S7_lS8_T11_S7_li
                                        ; -- End function
	.set _ZL29rocblas_internal_gemmt_kernelIlLi16ELi32ELi8ELc67ELc78ELc76ELb0ELb0EffPKPKfPKPfEviT_T9_T10_S7_lS9_S7_lS8_T11_S7_li.num_vgpr, 50
	.set _ZL29rocblas_internal_gemmt_kernelIlLi16ELi32ELi8ELc67ELc78ELc76ELb0ELb0EffPKPKfPKPfEviT_T9_T10_S7_lS9_S7_lS8_T11_S7_li.num_agpr, 0
	.set _ZL29rocblas_internal_gemmt_kernelIlLi16ELi32ELi8ELc67ELc78ELc76ELb0ELb0EffPKPKfPKPfEviT_T9_T10_S7_lS9_S7_lS8_T11_S7_li.numbered_sgpr, 31
	.set _ZL29rocblas_internal_gemmt_kernelIlLi16ELi32ELi8ELc67ELc78ELc76ELb0ELb0EffPKPKfPKPfEviT_T9_T10_S7_lS9_S7_lS8_T11_S7_li.num_named_barrier, 0
	.set _ZL29rocblas_internal_gemmt_kernelIlLi16ELi32ELi8ELc67ELc78ELc76ELb0ELb0EffPKPKfPKPfEviT_T9_T10_S7_lS9_S7_lS8_T11_S7_li.private_seg_size, 0
	.set _ZL29rocblas_internal_gemmt_kernelIlLi16ELi32ELi8ELc67ELc78ELc76ELb0ELb0EffPKPKfPKPfEviT_T9_T10_S7_lS9_S7_lS8_T11_S7_li.uses_vcc, 1
	.set _ZL29rocblas_internal_gemmt_kernelIlLi16ELi32ELi8ELc67ELc78ELc76ELb0ELb0EffPKPKfPKPfEviT_T9_T10_S7_lS9_S7_lS8_T11_S7_li.uses_flat_scratch, 0
	.set _ZL29rocblas_internal_gemmt_kernelIlLi16ELi32ELi8ELc67ELc78ELc76ELb0ELb0EffPKPKfPKPfEviT_T9_T10_S7_lS9_S7_lS8_T11_S7_li.has_dyn_sized_stack, 0
	.set _ZL29rocblas_internal_gemmt_kernelIlLi16ELi32ELi8ELc67ELc78ELc76ELb0ELb0EffPKPKfPKPfEviT_T9_T10_S7_lS9_S7_lS8_T11_S7_li.has_recursion, 0
	.set _ZL29rocblas_internal_gemmt_kernelIlLi16ELi32ELi8ELc67ELc78ELc76ELb0ELb0EffPKPKfPKPfEviT_T9_T10_S7_lS9_S7_lS8_T11_S7_li.has_indirect_call, 0
	.section	.AMDGPU.csdata,"",@progbits
; Kernel info:
; codeLenInByte = 1340
; TotalNumSgprs: 37
; NumVgprs: 50
; NumAgprs: 0
; TotalNumVgprs: 50
; ScratchSize: 0
; MemoryBound: 0
; FloatMode: 240
; IeeeMode: 1
; LDSByteSize: 2048 bytes/workgroup (compile time only)
; SGPRBlocks: 4
; VGPRBlocks: 6
; NumSGPRsForWavesPerEU: 37
; NumVGPRsForWavesPerEU: 50
; AccumOffset: 52
; Occupancy: 8
; WaveLimiterHint : 1
; COMPUTE_PGM_RSRC2:SCRATCH_EN: 0
; COMPUTE_PGM_RSRC2:USER_SGPR: 2
; COMPUTE_PGM_RSRC2:TRAP_HANDLER: 0
; COMPUTE_PGM_RSRC2:TGID_X_EN: 1
; COMPUTE_PGM_RSRC2:TGID_Y_EN: 1
; COMPUTE_PGM_RSRC2:TGID_Z_EN: 1
; COMPUTE_PGM_RSRC2:TIDIG_COMP_CNT: 1
; COMPUTE_PGM_RSRC3_GFX90A:ACCUM_OFFSET: 12
; COMPUTE_PGM_RSRC3_GFX90A:TG_SPLIT: 0
	.section	.text._ZL29rocblas_internal_gemmt_kernelIlLi16ELi32ELi8ELc67ELc84ELc76ELb0ELb0EffPKPKfPKPfEviT_T9_T10_S7_lS9_S7_lS8_T11_S7_li,"axG",@progbits,_ZL29rocblas_internal_gemmt_kernelIlLi16ELi32ELi8ELc67ELc84ELc76ELb0ELb0EffPKPKfPKPfEviT_T9_T10_S7_lS9_S7_lS8_T11_S7_li,comdat
	.globl	_ZL29rocblas_internal_gemmt_kernelIlLi16ELi32ELi8ELc67ELc84ELc76ELb0ELb0EffPKPKfPKPfEviT_T9_T10_S7_lS9_S7_lS8_T11_S7_li ; -- Begin function _ZL29rocblas_internal_gemmt_kernelIlLi16ELi32ELi8ELc67ELc84ELc76ELb0ELb0EffPKPKfPKPfEviT_T9_T10_S7_lS9_S7_lS8_T11_S7_li
	.p2align	8
	.type	_ZL29rocblas_internal_gemmt_kernelIlLi16ELi32ELi8ELc67ELc84ELc76ELb0ELb0EffPKPKfPKPfEviT_T9_T10_S7_lS9_S7_lS8_T11_S7_li,@function
_ZL29rocblas_internal_gemmt_kernelIlLi16ELi32ELi8ELc67ELc84ELc76ELb0ELb0EffPKPKfPKPfEviT_T9_T10_S7_lS9_S7_lS8_T11_S7_li: ; @_ZL29rocblas_internal_gemmt_kernelIlLi16ELi32ELi8ELc67ELc84ELc76ELb0ELb0EffPKPKfPKPfEviT_T9_T10_S7_lS9_S7_lS8_T11_S7_li
; %bb.0:
	s_load_dword s26, s[0:1], 0x48
	s_load_dwordx2 s[20:21], s[0:1], 0x8
	s_load_dword s27, s[0:1], 0x10
	s_waitcnt lgkmcnt(0)
	v_cmp_neq_f32_e64 s[6:7], s26, 1.0
	s_and_b64 vcc, exec, s[6:7]
	s_cbranch_vccnz .LBB466_2
; %bb.1:
	s_cmp_lg_u64 s[20:21], 0
	s_cselect_b64 s[6:7], -1, 0
	v_cmp_neq_f32_e64 s[8:9], s27, 0
	s_and_b64 s[6:7], s[6:7], s[8:9]
.LBB466_2:
	s_andn2_b64 vcc, exec, s[6:7]
	s_cbranch_vccnz .LBB466_28
; %bb.3:
	s_load_dwordx2 s[22:23], s[0:1], 0x60
	s_load_dword s28, s[0:1], 0x0
	s_load_dwordx4 s[12:15], s[0:1], 0x50
	s_mov_b32 s5, 0
	s_lshl_b64 s[24:25], s[4:5], 3
	v_mov_b32_e32 v7, 0
	v_and_b32_e32 v3, 0x3ff, v0
	s_waitcnt lgkmcnt(0)
	s_add_u32 s4, s12, s24
	s_addc_u32 s5, s13, s25
	s_load_dwordx2 s[12:13], s[4:5], 0x0
	s_lshl_b32 s29, s2, 5
	s_lshl_b32 s30, s3, 5
	v_cmp_eq_f32_e64 s[2:3], s27, 0
	v_cmp_lt_i64_e64 s[4:5], s[20:21], 1
	s_or_b64 s[2:3], s[2:3], s[4:5]
	v_bfe_u32 v5, v0, 10, 10
	s_and_b64 vcc, exec, s[2:3]
	v_mov_b32_e32 v6, v7
	v_mov_b32_e32 v1, v7
	;; [unrolled: 1-line block ×3, first 2 shown]
	s_cbranch_vccnz .LBB466_12
; %bb.4:
	s_load_dwordx8 s[4:11], s[0:1], 0x18
	s_load_dwordx4 s[16:19], s[0:1], 0x38
	v_lshl_add_u32 v0, v5, 4, v3
	v_and_b32_e32 v6, 31, v0
	v_lshrrev_b32_e32 v4, 5, v0
	s_waitcnt lgkmcnt(0)
	s_add_u32 s0, s10, s24
	s_addc_u32 s1, s11, s25
	s_load_dwordx2 s[0:1], s[0:1], 0x0
	s_lshl_b64 s[2:3], s[18:19], 2
	v_or_b32_e32 v7, s29, v6
	v_lshlrev_b32_e32 v6, 2, v6
	v_lshl_or_b32 v14, v4, 7, v6
	s_waitcnt lgkmcnt(0)
	s_add_u32 s10, s0, s2
	s_addc_u32 s11, s1, s3
	s_add_u32 s0, s4, s24
	s_addc_u32 s1, s5, s25
	s_load_dwordx2 s[2:3], s[0:1], 0x0
	s_lshl_b64 s[4:5], s[8:9], 2
	v_cmp_gt_i32_e64 s[0:1], s28, v7
	v_mul_lo_u32 v8, s7, v7
	v_and_b32_e32 v2, 7, v3
	s_waitcnt lgkmcnt(0)
	s_add_u32 s2, s2, s4
	s_addc_u32 s3, s3, s5
	s_ashr_i32 s8, s29, 31
	v_mad_u64_u32 v[6:7], s[4:5], s6, v7, 0
	s_mul_i32 s4, s6, s8
	s_nop 0
	v_add3_u32 v7, v7, s4, v8
	v_lshrrev_b32_e32 v1, 3, v0
	v_lshl_add_u64 v[8:9], v[6:7], 2, s[2:3]
	v_lshlrev_b32_e32 v6, 2, v2
	v_add_u32_e32 v0, s30, v1
	v_lshl_or_b32 v1, v1, 5, v6
	v_add_u32_e32 v15, 0x400, v1
	v_ashrrev_i32_e32 v1, 31, v0
	v_cmp_gt_i32_e64 s[2:3], s28, v0
	v_lshl_add_u64 v[10:11], v[0:1], 2, s[10:11]
	v_mov_b32_e32 v0, 0x400
	v_mov_b32_e32 v13, 0
	v_lshlrev_b32_e32 v16, 2, v3
	v_lshl_add_u32 v17, v5, 5, v0
	s_mov_b64 s[4:5], 0
	v_mov_b32_e32 v0, v13
	v_mov_b32_e32 v1, v13
	;; [unrolled: 1-line block ×4, first 2 shown]
	s_branch .LBB466_6
.LBB466_5:                              ;   in Loop: Header=BB466_6 Depth=1
	s_or_b64 exec, exec, s[6:7]
	s_waitcnt vmcnt(0) lgkmcnt(0)
	ds_write_b32 v15, v18
	s_waitcnt lgkmcnt(0)
	s_barrier
	ds_read_b128 v[18:21], v17
	ds_read_b128 v[22:25], v17 offset:16
	ds_read2_b32 v[34:35], v16 offset1:16
	ds_read2_b32 v[36:37], v16 offset0:32 offset1:48
	ds_read2_b32 v[38:39], v16 offset0:64 offset1:80
	;; [unrolled: 1-line block ×4, first 2 shown]
	ds_read_b128 v[26:29], v17 offset:512
	ds_read_b128 v[30:33], v17 offset:528
	ds_read2_b32 v[44:45], v16 offset0:160 offset1:176
	ds_read2_b32 v[46:47], v16 offset0:192 offset1:208
	;; [unrolled: 1-line block ×3, first 2 shown]
	s_waitcnt lgkmcnt(9)
	v_pk_fma_f32 v[6:7], v[34:35], v[18:19], v[6:7] op_sel_hi:[1,0,1]
	v_mov_b32_e32 v12, v21
	s_waitcnt lgkmcnt(8)
	v_pk_fma_f32 v[6:7], v[36:37], v[18:19], v[6:7] op_sel:[0,1,0]
	s_waitcnt lgkmcnt(4)
	v_pk_fma_f32 v[0:1], v[34:35], v[26:27], v[0:1] op_sel_hi:[1,0,1]
	v_pk_fma_f32 v[6:7], v[38:39], v[20:21], v[6:7] op_sel_hi:[1,0,1]
	v_pk_fma_f32 v[0:1], v[36:37], v[26:27], v[0:1] op_sel:[0,1,0]
	v_pk_fma_f32 v[6:7], v[40:41], v[12:13], v[6:7] op_sel_hi:[1,0,1]
	v_mov_b32_e32 v12, v25
	v_pk_fma_f32 v[6:7], v[42:43], v[22:23], v[6:7] op_sel_hi:[1,0,1]
	v_pk_fma_f32 v[0:1], v[38:39], v[28:29], v[0:1] op_sel_hi:[1,0,1]
	s_waitcnt lgkmcnt(2)
	v_pk_fma_f32 v[6:7], v[44:45], v[22:23], v[6:7] op_sel:[0,1,0]
	s_add_u32 s4, s4, 8
	s_waitcnt lgkmcnt(1)
	v_pk_fma_f32 v[6:7], v[46:47], v[24:25], v[6:7] op_sel_hi:[1,0,1]
	s_addc_u32 s5, s5, 0
	s_waitcnt lgkmcnt(0)
	v_pk_fma_f32 v[6:7], v[48:49], v[12:13], v[6:7] op_sel_hi:[1,0,1]
	v_mov_b32_e32 v12, v29
	v_pk_fma_f32 v[0:1], v[40:41], v[12:13], v[0:1] op_sel_hi:[1,0,1]
	v_mov_b64_e32 v[18:19], s[4:5]
	v_pk_fma_f32 v[0:1], v[42:43], v[30:31], v[0:1] op_sel_hi:[1,0,1]
	v_mov_b32_e32 v12, v33
	v_pk_fma_f32 v[0:1], v[44:45], v[30:31], v[0:1] op_sel:[0,1,0]
	v_cmp_gt_i64_e32 vcc, s[20:21], v[18:19]
	v_pk_fma_f32 v[0:1], v[46:47], v[32:33], v[0:1] op_sel_hi:[1,0,1]
	s_nop 0
	v_pk_fma_f32 v[0:1], v[48:49], v[12:13], v[0:1] op_sel_hi:[1,0,1]
	s_barrier
	s_cbranch_vccz .LBB466_12
.LBB466_6:                              ; =>This Inner Loop Header: Depth=1
	v_mov_b32_e32 v18, 0
	s_and_saveexec_b64 s[6:7], s[0:1]
	s_cbranch_execz .LBB466_10
; %bb.7:                                ;   in Loop: Header=BB466_6 Depth=1
	v_add_u32_e32 v12, s4, v4
	v_cmp_gt_u64_e32 vcc, s[20:21], v[12:13]
	v_mov_b32_e32 v18, 0
	s_and_saveexec_b64 s[8:9], vcc
	s_cbranch_execz .LBB466_9
; %bb.8:                                ;   in Loop: Header=BB466_6 Depth=1
	v_lshl_add_u64 v[18:19], v[12:13], 2, v[8:9]
	flat_load_dword v18, v[18:19]
.LBB466_9:                              ;   in Loop: Header=BB466_6 Depth=1
	s_or_b64 exec, exec, s[8:9]
.LBB466_10:                             ;   in Loop: Header=BB466_6 Depth=1
	s_or_b64 exec, exec, s[6:7]
	v_add_u32_e32 v12, s4, v2
	v_cmp_gt_u64_e32 vcc, s[20:21], v[12:13]
	s_waitcnt vmcnt(0) lgkmcnt(0)
	ds_write_b32 v14, v18
	s_and_b64 s[8:9], vcc, s[2:3]
	v_mov_b32_e32 v18, 0
	s_and_saveexec_b64 s[6:7], s[8:9]
	s_cbranch_execz .LBB466_5
; %bb.11:                               ;   in Loop: Header=BB466_6 Depth=1
	v_mad_u64_u32 v[18:19], s[8:9], s16, v12, 0
	v_mov_b32_e32 v20, v19
	v_mad_u64_u32 v[20:21], s[8:9], s17, v12, v[20:21]
	v_mov_b32_e32 v19, v20
	v_lshl_add_u64 v[18:19], v[18:19], 2, v[10:11]
	flat_load_dword v18, v[18:19]
	s_branch .LBB466_5
.LBB466_12:
	s_lshl_b64 s[0:1], s[22:23], 2
	v_add_u32_e32 v10, s30, v5
	s_waitcnt lgkmcnt(0)
	s_add_u32 s6, s12, s0
	v_add_u32_e32 v2, s29, v3
	v_ashrrev_i32_e32 v3, 31, v10
	s_addc_u32 s7, s13, s1
	v_mul_lo_u32 v3, s14, v3
	v_mul_lo_u32 v8, s15, v10
	v_mad_u64_u32 v[4:5], s[0:1], s14, v10, 0
	v_add3_u32 v5, v5, v3, v8
	v_cmp_neq_f32_e64 s[0:1], s26, 0
	v_lshl_add_u64 v[8:9], v[4:5], 2, s[6:7]
	v_cmp_le_i32_e32 vcc, v10, v2
	v_cmp_gt_i32_e64 s[2:3], s28, v2
	v_cndmask_b32_e64 v4, 0, 1, s[0:1]
	s_and_b64 s[8:9], vcc, s[2:3]
	v_ashrrev_i32_e32 v3, 31, v2
	v_cmp_ne_u32_e64 s[0:1], 1, v4
	s_and_saveexec_b64 s[4:5], s[8:9]
	s_cbranch_execz .LBB466_16
; %bb.13:
	v_mul_f32_e32 v6, s27, v6
	s_and_b64 vcc, exec, s[0:1]
	v_lshl_add_u64 v[4:5], v[2:3], 2, v[8:9]
	s_cbranch_vccnz .LBB466_15
; %bb.14:
	flat_load_dword v11, v[4:5]
	s_waitcnt vmcnt(0) lgkmcnt(0)
	v_fmac_f32_e32 v6, s26, v11
.LBB466_15:
	flat_store_dword v[4:5], v6
.LBB466_16:
	s_or_b64 exec, exec, s[4:5]
	v_add_u32_e32 v4, 16, v2
	v_cmp_le_i32_e32 vcc, v10, v4
	v_cmp_gt_i32_e64 s[4:5], s28, v4
	s_and_b64 s[10:11], vcc, s[4:5]
	v_ashrrev_i32_e32 v5, 31, v4
	s_and_saveexec_b64 s[8:9], s[10:11]
	s_cbranch_execz .LBB466_20
; %bb.17:
	v_mul_f32_e32 v11, s27, v7
	s_and_b64 vcc, exec, s[0:1]
	v_lshl_add_u64 v[6:7], v[4:5], 2, v[8:9]
	s_cbranch_vccnz .LBB466_19
; %bb.18:
	flat_load_dword v8, v[6:7]
	s_waitcnt vmcnt(0) lgkmcnt(0)
	v_fmac_f32_e32 v11, s26, v8
.LBB466_19:
	flat_store_dword v[6:7], v11
.LBB466_20:
	s_or_b64 exec, exec, s[8:9]
	v_add_u32_e32 v8, 16, v10
	v_ashrrev_i32_e32 v6, 31, v8
	v_mul_lo_u32 v9, s14, v6
	v_mul_lo_u32 v10, s15, v8
	v_mad_u64_u32 v[6:7], s[8:9], s14, v8, 0
	v_add3_u32 v7, v7, v9, v10
	v_cmp_le_i32_e32 vcc, v8, v2
	v_lshl_add_u64 v[6:7], v[6:7], 2, s[6:7]
	s_and_b64 s[6:7], vcc, s[2:3]
	s_and_saveexec_b64 s[2:3], s[6:7]
	s_cbranch_execz .LBB466_24
; %bb.21:
	v_mul_f32_e32 v0, s27, v0
	s_and_b64 vcc, exec, s[0:1]
	v_lshl_add_u64 v[2:3], v[2:3], 2, v[6:7]
	s_cbranch_vccnz .LBB466_23
; %bb.22:
	flat_load_dword v9, v[2:3]
	s_waitcnt vmcnt(0) lgkmcnt(0)
	v_fmac_f32_e32 v0, s26, v9
.LBB466_23:
	flat_store_dword v[2:3], v0
.LBB466_24:
	s_or_b64 exec, exec, s[2:3]
	v_cmp_le_i32_e32 vcc, v8, v4
	s_and_b64 s[2:3], vcc, s[4:5]
	s_and_saveexec_b64 s[4:5], s[2:3]
	s_cbranch_execz .LBB466_28
; %bb.25:
	v_mul_f32_e32 v2, s27, v1
	s_and_b64 vcc, exec, s[0:1]
	v_lshl_add_u64 v[0:1], v[4:5], 2, v[6:7]
	s_cbranch_vccnz .LBB466_27
; %bb.26:
	flat_load_dword v3, v[0:1]
	s_waitcnt vmcnt(0) lgkmcnt(0)
	v_fmac_f32_e32 v2, s26, v3
.LBB466_27:
	flat_store_dword v[0:1], v2
.LBB466_28:
	s_endpgm
	.section	.rodata,"a",@progbits
	.p2align	6, 0x0
	.amdhsa_kernel _ZL29rocblas_internal_gemmt_kernelIlLi16ELi32ELi8ELc67ELc84ELc76ELb0ELb0EffPKPKfPKPfEviT_T9_T10_S7_lS9_S7_lS8_T11_S7_li
		.amdhsa_group_segment_fixed_size 2048
		.amdhsa_private_segment_fixed_size 0
		.amdhsa_kernarg_size 108
		.amdhsa_user_sgpr_count 2
		.amdhsa_user_sgpr_dispatch_ptr 0
		.amdhsa_user_sgpr_queue_ptr 0
		.amdhsa_user_sgpr_kernarg_segment_ptr 1
		.amdhsa_user_sgpr_dispatch_id 0
		.amdhsa_user_sgpr_kernarg_preload_length 0
		.amdhsa_user_sgpr_kernarg_preload_offset 0
		.amdhsa_user_sgpr_private_segment_size 0
		.amdhsa_uses_dynamic_stack 0
		.amdhsa_enable_private_segment 0
		.amdhsa_system_sgpr_workgroup_id_x 1
		.amdhsa_system_sgpr_workgroup_id_y 1
		.amdhsa_system_sgpr_workgroup_id_z 1
		.amdhsa_system_sgpr_workgroup_info 0
		.amdhsa_system_vgpr_workitem_id 1
		.amdhsa_next_free_vgpr 50
		.amdhsa_next_free_sgpr 31
		.amdhsa_accum_offset 52
		.amdhsa_reserve_vcc 1
		.amdhsa_float_round_mode_32 0
		.amdhsa_float_round_mode_16_64 0
		.amdhsa_float_denorm_mode_32 3
		.amdhsa_float_denorm_mode_16_64 3
		.amdhsa_dx10_clamp 1
		.amdhsa_ieee_mode 1
		.amdhsa_fp16_overflow 0
		.amdhsa_tg_split 0
		.amdhsa_exception_fp_ieee_invalid_op 0
		.amdhsa_exception_fp_denorm_src 0
		.amdhsa_exception_fp_ieee_div_zero 0
		.amdhsa_exception_fp_ieee_overflow 0
		.amdhsa_exception_fp_ieee_underflow 0
		.amdhsa_exception_fp_ieee_inexact 0
		.amdhsa_exception_int_div_zero 0
	.end_amdhsa_kernel
	.section	.text._ZL29rocblas_internal_gemmt_kernelIlLi16ELi32ELi8ELc67ELc84ELc76ELb0ELb0EffPKPKfPKPfEviT_T9_T10_S7_lS9_S7_lS8_T11_S7_li,"axG",@progbits,_ZL29rocblas_internal_gemmt_kernelIlLi16ELi32ELi8ELc67ELc84ELc76ELb0ELb0EffPKPKfPKPfEviT_T9_T10_S7_lS9_S7_lS8_T11_S7_li,comdat
.Lfunc_end466:
	.size	_ZL29rocblas_internal_gemmt_kernelIlLi16ELi32ELi8ELc67ELc84ELc76ELb0ELb0EffPKPKfPKPfEviT_T9_T10_S7_lS9_S7_lS8_T11_S7_li, .Lfunc_end466-_ZL29rocblas_internal_gemmt_kernelIlLi16ELi32ELi8ELc67ELc84ELc76ELb0ELb0EffPKPKfPKPfEviT_T9_T10_S7_lS9_S7_lS8_T11_S7_li
                                        ; -- End function
	.set _ZL29rocblas_internal_gemmt_kernelIlLi16ELi32ELi8ELc67ELc84ELc76ELb0ELb0EffPKPKfPKPfEviT_T9_T10_S7_lS9_S7_lS8_T11_S7_li.num_vgpr, 50
	.set _ZL29rocblas_internal_gemmt_kernelIlLi16ELi32ELi8ELc67ELc84ELc76ELb0ELb0EffPKPKfPKPfEviT_T9_T10_S7_lS9_S7_lS8_T11_S7_li.num_agpr, 0
	.set _ZL29rocblas_internal_gemmt_kernelIlLi16ELi32ELi8ELc67ELc84ELc76ELb0ELb0EffPKPKfPKPfEviT_T9_T10_S7_lS9_S7_lS8_T11_S7_li.numbered_sgpr, 31
	.set _ZL29rocblas_internal_gemmt_kernelIlLi16ELi32ELi8ELc67ELc84ELc76ELb0ELb0EffPKPKfPKPfEviT_T9_T10_S7_lS9_S7_lS8_T11_S7_li.num_named_barrier, 0
	.set _ZL29rocblas_internal_gemmt_kernelIlLi16ELi32ELi8ELc67ELc84ELc76ELb0ELb0EffPKPKfPKPfEviT_T9_T10_S7_lS9_S7_lS8_T11_S7_li.private_seg_size, 0
	.set _ZL29rocblas_internal_gemmt_kernelIlLi16ELi32ELi8ELc67ELc84ELc76ELb0ELb0EffPKPKfPKPfEviT_T9_T10_S7_lS9_S7_lS8_T11_S7_li.uses_vcc, 1
	.set _ZL29rocblas_internal_gemmt_kernelIlLi16ELi32ELi8ELc67ELc84ELc76ELb0ELb0EffPKPKfPKPfEviT_T9_T10_S7_lS9_S7_lS8_T11_S7_li.uses_flat_scratch, 0
	.set _ZL29rocblas_internal_gemmt_kernelIlLi16ELi32ELi8ELc67ELc84ELc76ELb0ELb0EffPKPKfPKPfEviT_T9_T10_S7_lS9_S7_lS8_T11_S7_li.has_dyn_sized_stack, 0
	.set _ZL29rocblas_internal_gemmt_kernelIlLi16ELi32ELi8ELc67ELc84ELc76ELb0ELb0EffPKPKfPKPfEviT_T9_T10_S7_lS9_S7_lS8_T11_S7_li.has_recursion, 0
	.set _ZL29rocblas_internal_gemmt_kernelIlLi16ELi32ELi8ELc67ELc84ELc76ELb0ELb0EffPKPKfPKPfEviT_T9_T10_S7_lS9_S7_lS8_T11_S7_li.has_indirect_call, 0
	.section	.AMDGPU.csdata,"",@progbits
; Kernel info:
; codeLenInByte = 1336
; TotalNumSgprs: 37
; NumVgprs: 50
; NumAgprs: 0
; TotalNumVgprs: 50
; ScratchSize: 0
; MemoryBound: 0
; FloatMode: 240
; IeeeMode: 1
; LDSByteSize: 2048 bytes/workgroup (compile time only)
; SGPRBlocks: 4
; VGPRBlocks: 6
; NumSGPRsForWavesPerEU: 37
; NumVGPRsForWavesPerEU: 50
; AccumOffset: 52
; Occupancy: 8
; WaveLimiterHint : 1
; COMPUTE_PGM_RSRC2:SCRATCH_EN: 0
; COMPUTE_PGM_RSRC2:USER_SGPR: 2
; COMPUTE_PGM_RSRC2:TRAP_HANDLER: 0
; COMPUTE_PGM_RSRC2:TGID_X_EN: 1
; COMPUTE_PGM_RSRC2:TGID_Y_EN: 1
; COMPUTE_PGM_RSRC2:TGID_Z_EN: 1
; COMPUTE_PGM_RSRC2:TIDIG_COMP_CNT: 1
; COMPUTE_PGM_RSRC3_GFX90A:ACCUM_OFFSET: 12
; COMPUTE_PGM_RSRC3_GFX90A:TG_SPLIT: 0
	.section	.text._ZL29rocblas_internal_gemmt_kernelIlLi16ELi32ELi8ELc67ELc67ELc76ELb0ELb0EffPKPKfPKPfEviT_T9_T10_S7_lS9_S7_lS8_T11_S7_li,"axG",@progbits,_ZL29rocblas_internal_gemmt_kernelIlLi16ELi32ELi8ELc67ELc67ELc76ELb0ELb0EffPKPKfPKPfEviT_T9_T10_S7_lS9_S7_lS8_T11_S7_li,comdat
	.globl	_ZL29rocblas_internal_gemmt_kernelIlLi16ELi32ELi8ELc67ELc67ELc76ELb0ELb0EffPKPKfPKPfEviT_T9_T10_S7_lS9_S7_lS8_T11_S7_li ; -- Begin function _ZL29rocblas_internal_gemmt_kernelIlLi16ELi32ELi8ELc67ELc67ELc76ELb0ELb0EffPKPKfPKPfEviT_T9_T10_S7_lS9_S7_lS8_T11_S7_li
	.p2align	8
	.type	_ZL29rocblas_internal_gemmt_kernelIlLi16ELi32ELi8ELc67ELc67ELc76ELb0ELb0EffPKPKfPKPfEviT_T9_T10_S7_lS9_S7_lS8_T11_S7_li,@function
_ZL29rocblas_internal_gemmt_kernelIlLi16ELi32ELi8ELc67ELc67ELc76ELb0ELb0EffPKPKfPKPfEviT_T9_T10_S7_lS9_S7_lS8_T11_S7_li: ; @_ZL29rocblas_internal_gemmt_kernelIlLi16ELi32ELi8ELc67ELc67ELc76ELb0ELb0EffPKPKfPKPfEviT_T9_T10_S7_lS9_S7_lS8_T11_S7_li
; %bb.0:
	s_load_dword s26, s[0:1], 0x48
	s_load_dwordx2 s[20:21], s[0:1], 0x8
	s_load_dword s27, s[0:1], 0x10
	s_waitcnt lgkmcnt(0)
	v_cmp_neq_f32_e64 s[6:7], s26, 1.0
	s_and_b64 vcc, exec, s[6:7]
	s_cbranch_vccnz .LBB467_2
; %bb.1:
	s_cmp_lg_u64 s[20:21], 0
	s_cselect_b64 s[6:7], -1, 0
	v_cmp_neq_f32_e64 s[8:9], s27, 0
	s_and_b64 s[6:7], s[6:7], s[8:9]
.LBB467_2:
	s_andn2_b64 vcc, exec, s[6:7]
	s_cbranch_vccnz .LBB467_28
; %bb.3:
	s_load_dwordx2 s[22:23], s[0:1], 0x60
	s_load_dword s28, s[0:1], 0x0
	s_load_dwordx4 s[12:15], s[0:1], 0x50
	s_mov_b32 s5, 0
	s_lshl_b64 s[24:25], s[4:5], 3
	v_mov_b32_e32 v7, 0
	v_and_b32_e32 v3, 0x3ff, v0
	s_waitcnt lgkmcnt(0)
	s_add_u32 s4, s12, s24
	s_addc_u32 s5, s13, s25
	s_load_dwordx2 s[12:13], s[4:5], 0x0
	s_lshl_b32 s29, s2, 5
	s_lshl_b32 s30, s3, 5
	v_cmp_eq_f32_e64 s[2:3], s27, 0
	v_cmp_lt_i64_e64 s[4:5], s[20:21], 1
	s_or_b64 s[2:3], s[2:3], s[4:5]
	v_bfe_u32 v5, v0, 10, 10
	s_and_b64 vcc, exec, s[2:3]
	v_mov_b32_e32 v6, v7
	v_mov_b32_e32 v1, v7
	;; [unrolled: 1-line block ×3, first 2 shown]
	s_cbranch_vccnz .LBB467_12
; %bb.4:
	s_load_dwordx8 s[4:11], s[0:1], 0x18
	s_load_dwordx4 s[16:19], s[0:1], 0x38
	v_lshl_add_u32 v0, v5, 4, v3
	v_and_b32_e32 v6, 31, v0
	v_lshrrev_b32_e32 v4, 5, v0
	s_waitcnt lgkmcnt(0)
	s_add_u32 s0, s10, s24
	s_addc_u32 s1, s11, s25
	s_load_dwordx2 s[0:1], s[0:1], 0x0
	s_lshl_b64 s[2:3], s[18:19], 2
	v_or_b32_e32 v7, s29, v6
	v_lshlrev_b32_e32 v6, 2, v6
	v_lshl_or_b32 v14, v4, 7, v6
	s_waitcnt lgkmcnt(0)
	s_add_u32 s10, s0, s2
	s_addc_u32 s11, s1, s3
	s_add_u32 s0, s4, s24
	s_addc_u32 s1, s5, s25
	s_load_dwordx2 s[2:3], s[0:1], 0x0
	s_lshl_b64 s[4:5], s[8:9], 2
	v_cmp_gt_i32_e64 s[0:1], s28, v7
	v_mul_lo_u32 v8, s7, v7
	v_and_b32_e32 v2, 7, v3
	s_waitcnt lgkmcnt(0)
	s_add_u32 s2, s2, s4
	s_addc_u32 s3, s3, s5
	s_ashr_i32 s8, s29, 31
	v_mad_u64_u32 v[6:7], s[4:5], s6, v7, 0
	s_mul_i32 s4, s6, s8
	s_nop 0
	v_add3_u32 v7, v7, s4, v8
	v_lshrrev_b32_e32 v1, 3, v0
	v_lshl_add_u64 v[8:9], v[6:7], 2, s[2:3]
	v_lshlrev_b32_e32 v6, 2, v2
	v_add_u32_e32 v0, s30, v1
	v_lshl_or_b32 v1, v1, 5, v6
	v_add_u32_e32 v15, 0x400, v1
	v_ashrrev_i32_e32 v1, 31, v0
	v_cmp_gt_i32_e64 s[2:3], s28, v0
	v_lshl_add_u64 v[10:11], v[0:1], 2, s[10:11]
	v_mov_b32_e32 v0, 0x400
	v_mov_b32_e32 v13, 0
	v_lshlrev_b32_e32 v16, 2, v3
	v_lshl_add_u32 v17, v5, 5, v0
	s_mov_b64 s[4:5], 0
	v_mov_b32_e32 v0, v13
	v_mov_b32_e32 v1, v13
	;; [unrolled: 1-line block ×4, first 2 shown]
	s_branch .LBB467_6
.LBB467_5:                              ;   in Loop: Header=BB467_6 Depth=1
	s_or_b64 exec, exec, s[6:7]
	s_waitcnt vmcnt(0) lgkmcnt(0)
	ds_write_b32 v15, v18
	s_waitcnt lgkmcnt(0)
	s_barrier
	ds_read_b128 v[18:21], v17
	ds_read_b128 v[22:25], v17 offset:16
	ds_read2_b32 v[34:35], v16 offset1:16
	ds_read2_b32 v[36:37], v16 offset0:32 offset1:48
	ds_read2_b32 v[38:39], v16 offset0:64 offset1:80
	;; [unrolled: 1-line block ×4, first 2 shown]
	ds_read_b128 v[26:29], v17 offset:512
	ds_read_b128 v[30:33], v17 offset:528
	ds_read2_b32 v[44:45], v16 offset0:160 offset1:176
	ds_read2_b32 v[46:47], v16 offset0:192 offset1:208
	ds_read2_b32 v[48:49], v16 offset0:224 offset1:240
	s_waitcnt lgkmcnt(9)
	v_pk_fma_f32 v[6:7], v[34:35], v[18:19], v[6:7] op_sel_hi:[1,0,1]
	v_mov_b32_e32 v12, v21
	s_waitcnt lgkmcnt(8)
	v_pk_fma_f32 v[6:7], v[36:37], v[18:19], v[6:7] op_sel:[0,1,0]
	s_waitcnt lgkmcnt(4)
	v_pk_fma_f32 v[0:1], v[34:35], v[26:27], v[0:1] op_sel_hi:[1,0,1]
	v_pk_fma_f32 v[6:7], v[38:39], v[20:21], v[6:7] op_sel_hi:[1,0,1]
	v_pk_fma_f32 v[0:1], v[36:37], v[26:27], v[0:1] op_sel:[0,1,0]
	v_pk_fma_f32 v[6:7], v[40:41], v[12:13], v[6:7] op_sel_hi:[1,0,1]
	v_mov_b32_e32 v12, v25
	v_pk_fma_f32 v[6:7], v[42:43], v[22:23], v[6:7] op_sel_hi:[1,0,1]
	v_pk_fma_f32 v[0:1], v[38:39], v[28:29], v[0:1] op_sel_hi:[1,0,1]
	s_waitcnt lgkmcnt(2)
	v_pk_fma_f32 v[6:7], v[44:45], v[22:23], v[6:7] op_sel:[0,1,0]
	s_add_u32 s4, s4, 8
	s_waitcnt lgkmcnt(1)
	v_pk_fma_f32 v[6:7], v[46:47], v[24:25], v[6:7] op_sel_hi:[1,0,1]
	s_addc_u32 s5, s5, 0
	s_waitcnt lgkmcnt(0)
	v_pk_fma_f32 v[6:7], v[48:49], v[12:13], v[6:7] op_sel_hi:[1,0,1]
	v_mov_b32_e32 v12, v29
	v_pk_fma_f32 v[0:1], v[40:41], v[12:13], v[0:1] op_sel_hi:[1,0,1]
	v_mov_b64_e32 v[18:19], s[4:5]
	v_pk_fma_f32 v[0:1], v[42:43], v[30:31], v[0:1] op_sel_hi:[1,0,1]
	v_mov_b32_e32 v12, v33
	v_pk_fma_f32 v[0:1], v[44:45], v[30:31], v[0:1] op_sel:[0,1,0]
	v_cmp_gt_i64_e32 vcc, s[20:21], v[18:19]
	v_pk_fma_f32 v[0:1], v[46:47], v[32:33], v[0:1] op_sel_hi:[1,0,1]
	s_nop 0
	v_pk_fma_f32 v[0:1], v[48:49], v[12:13], v[0:1] op_sel_hi:[1,0,1]
	s_barrier
	s_cbranch_vccz .LBB467_12
.LBB467_6:                              ; =>This Inner Loop Header: Depth=1
	v_mov_b32_e32 v18, 0
	s_and_saveexec_b64 s[6:7], s[0:1]
	s_cbranch_execz .LBB467_10
; %bb.7:                                ;   in Loop: Header=BB467_6 Depth=1
	v_add_u32_e32 v12, s4, v4
	v_cmp_gt_u64_e32 vcc, s[20:21], v[12:13]
	v_mov_b32_e32 v18, 0
	s_and_saveexec_b64 s[8:9], vcc
	s_cbranch_execz .LBB467_9
; %bb.8:                                ;   in Loop: Header=BB467_6 Depth=1
	v_lshl_add_u64 v[18:19], v[12:13], 2, v[8:9]
	flat_load_dword v18, v[18:19]
.LBB467_9:                              ;   in Loop: Header=BB467_6 Depth=1
	s_or_b64 exec, exec, s[8:9]
.LBB467_10:                             ;   in Loop: Header=BB467_6 Depth=1
	s_or_b64 exec, exec, s[6:7]
	v_add_u32_e32 v12, s4, v2
	v_cmp_gt_u64_e32 vcc, s[20:21], v[12:13]
	s_waitcnt vmcnt(0) lgkmcnt(0)
	ds_write_b32 v14, v18
	s_and_b64 s[8:9], vcc, s[2:3]
	v_mov_b32_e32 v18, 0
	s_and_saveexec_b64 s[6:7], s[8:9]
	s_cbranch_execz .LBB467_5
; %bb.11:                               ;   in Loop: Header=BB467_6 Depth=1
	v_mad_u64_u32 v[18:19], s[8:9], s16, v12, 0
	v_mov_b32_e32 v20, v19
	v_mad_u64_u32 v[20:21], s[8:9], s17, v12, v[20:21]
	v_mov_b32_e32 v19, v20
	v_lshl_add_u64 v[18:19], v[18:19], 2, v[10:11]
	flat_load_dword v18, v[18:19]
	s_branch .LBB467_5
.LBB467_12:
	s_lshl_b64 s[0:1], s[22:23], 2
	v_add_u32_e32 v10, s30, v5
	s_waitcnt lgkmcnt(0)
	s_add_u32 s6, s12, s0
	v_add_u32_e32 v2, s29, v3
	v_ashrrev_i32_e32 v3, 31, v10
	s_addc_u32 s7, s13, s1
	v_mul_lo_u32 v3, s14, v3
	v_mul_lo_u32 v8, s15, v10
	v_mad_u64_u32 v[4:5], s[0:1], s14, v10, 0
	v_add3_u32 v5, v5, v3, v8
	v_cmp_neq_f32_e64 s[0:1], s26, 0
	v_lshl_add_u64 v[8:9], v[4:5], 2, s[6:7]
	v_cmp_le_i32_e32 vcc, v10, v2
	v_cmp_gt_i32_e64 s[2:3], s28, v2
	v_cndmask_b32_e64 v4, 0, 1, s[0:1]
	s_and_b64 s[8:9], vcc, s[2:3]
	v_ashrrev_i32_e32 v3, 31, v2
	v_cmp_ne_u32_e64 s[0:1], 1, v4
	s_and_saveexec_b64 s[4:5], s[8:9]
	s_cbranch_execz .LBB467_16
; %bb.13:
	v_mul_f32_e32 v6, s27, v6
	s_and_b64 vcc, exec, s[0:1]
	v_lshl_add_u64 v[4:5], v[2:3], 2, v[8:9]
	s_cbranch_vccnz .LBB467_15
; %bb.14:
	flat_load_dword v11, v[4:5]
	s_waitcnt vmcnt(0) lgkmcnt(0)
	v_fmac_f32_e32 v6, s26, v11
.LBB467_15:
	flat_store_dword v[4:5], v6
.LBB467_16:
	s_or_b64 exec, exec, s[4:5]
	v_add_u32_e32 v4, 16, v2
	v_cmp_le_i32_e32 vcc, v10, v4
	v_cmp_gt_i32_e64 s[4:5], s28, v4
	s_and_b64 s[10:11], vcc, s[4:5]
	v_ashrrev_i32_e32 v5, 31, v4
	s_and_saveexec_b64 s[8:9], s[10:11]
	s_cbranch_execz .LBB467_20
; %bb.17:
	v_mul_f32_e32 v11, s27, v7
	s_and_b64 vcc, exec, s[0:1]
	v_lshl_add_u64 v[6:7], v[4:5], 2, v[8:9]
	s_cbranch_vccnz .LBB467_19
; %bb.18:
	flat_load_dword v8, v[6:7]
	s_waitcnt vmcnt(0) lgkmcnt(0)
	v_fmac_f32_e32 v11, s26, v8
.LBB467_19:
	flat_store_dword v[6:7], v11
.LBB467_20:
	s_or_b64 exec, exec, s[8:9]
	v_add_u32_e32 v8, 16, v10
	v_ashrrev_i32_e32 v6, 31, v8
	v_mul_lo_u32 v9, s14, v6
	v_mul_lo_u32 v10, s15, v8
	v_mad_u64_u32 v[6:7], s[8:9], s14, v8, 0
	v_add3_u32 v7, v7, v9, v10
	v_cmp_le_i32_e32 vcc, v8, v2
	v_lshl_add_u64 v[6:7], v[6:7], 2, s[6:7]
	s_and_b64 s[6:7], vcc, s[2:3]
	s_and_saveexec_b64 s[2:3], s[6:7]
	s_cbranch_execz .LBB467_24
; %bb.21:
	v_mul_f32_e32 v0, s27, v0
	s_and_b64 vcc, exec, s[0:1]
	v_lshl_add_u64 v[2:3], v[2:3], 2, v[6:7]
	s_cbranch_vccnz .LBB467_23
; %bb.22:
	flat_load_dword v9, v[2:3]
	s_waitcnt vmcnt(0) lgkmcnt(0)
	v_fmac_f32_e32 v0, s26, v9
.LBB467_23:
	flat_store_dword v[2:3], v0
.LBB467_24:
	s_or_b64 exec, exec, s[2:3]
	v_cmp_le_i32_e32 vcc, v8, v4
	s_and_b64 s[2:3], vcc, s[4:5]
	s_and_saveexec_b64 s[4:5], s[2:3]
	s_cbranch_execz .LBB467_28
; %bb.25:
	v_mul_f32_e32 v2, s27, v1
	s_and_b64 vcc, exec, s[0:1]
	v_lshl_add_u64 v[0:1], v[4:5], 2, v[6:7]
	s_cbranch_vccnz .LBB467_27
; %bb.26:
	flat_load_dword v3, v[0:1]
	s_waitcnt vmcnt(0) lgkmcnt(0)
	v_fmac_f32_e32 v2, s26, v3
.LBB467_27:
	flat_store_dword v[0:1], v2
.LBB467_28:
	s_endpgm
	.section	.rodata,"a",@progbits
	.p2align	6, 0x0
	.amdhsa_kernel _ZL29rocblas_internal_gemmt_kernelIlLi16ELi32ELi8ELc67ELc67ELc76ELb0ELb0EffPKPKfPKPfEviT_T9_T10_S7_lS9_S7_lS8_T11_S7_li
		.amdhsa_group_segment_fixed_size 2048
		.amdhsa_private_segment_fixed_size 0
		.amdhsa_kernarg_size 108
		.amdhsa_user_sgpr_count 2
		.amdhsa_user_sgpr_dispatch_ptr 0
		.amdhsa_user_sgpr_queue_ptr 0
		.amdhsa_user_sgpr_kernarg_segment_ptr 1
		.amdhsa_user_sgpr_dispatch_id 0
		.amdhsa_user_sgpr_kernarg_preload_length 0
		.amdhsa_user_sgpr_kernarg_preload_offset 0
		.amdhsa_user_sgpr_private_segment_size 0
		.amdhsa_uses_dynamic_stack 0
		.amdhsa_enable_private_segment 0
		.amdhsa_system_sgpr_workgroup_id_x 1
		.amdhsa_system_sgpr_workgroup_id_y 1
		.amdhsa_system_sgpr_workgroup_id_z 1
		.amdhsa_system_sgpr_workgroup_info 0
		.amdhsa_system_vgpr_workitem_id 1
		.amdhsa_next_free_vgpr 50
		.amdhsa_next_free_sgpr 31
		.amdhsa_accum_offset 52
		.amdhsa_reserve_vcc 1
		.amdhsa_float_round_mode_32 0
		.amdhsa_float_round_mode_16_64 0
		.amdhsa_float_denorm_mode_32 3
		.amdhsa_float_denorm_mode_16_64 3
		.amdhsa_dx10_clamp 1
		.amdhsa_ieee_mode 1
		.amdhsa_fp16_overflow 0
		.amdhsa_tg_split 0
		.amdhsa_exception_fp_ieee_invalid_op 0
		.amdhsa_exception_fp_denorm_src 0
		.amdhsa_exception_fp_ieee_div_zero 0
		.amdhsa_exception_fp_ieee_overflow 0
		.amdhsa_exception_fp_ieee_underflow 0
		.amdhsa_exception_fp_ieee_inexact 0
		.amdhsa_exception_int_div_zero 0
	.end_amdhsa_kernel
	.section	.text._ZL29rocblas_internal_gemmt_kernelIlLi16ELi32ELi8ELc67ELc67ELc76ELb0ELb0EffPKPKfPKPfEviT_T9_T10_S7_lS9_S7_lS8_T11_S7_li,"axG",@progbits,_ZL29rocblas_internal_gemmt_kernelIlLi16ELi32ELi8ELc67ELc67ELc76ELb0ELb0EffPKPKfPKPfEviT_T9_T10_S7_lS9_S7_lS8_T11_S7_li,comdat
.Lfunc_end467:
	.size	_ZL29rocblas_internal_gemmt_kernelIlLi16ELi32ELi8ELc67ELc67ELc76ELb0ELb0EffPKPKfPKPfEviT_T9_T10_S7_lS9_S7_lS8_T11_S7_li, .Lfunc_end467-_ZL29rocblas_internal_gemmt_kernelIlLi16ELi32ELi8ELc67ELc67ELc76ELb0ELb0EffPKPKfPKPfEviT_T9_T10_S7_lS9_S7_lS8_T11_S7_li
                                        ; -- End function
	.set _ZL29rocblas_internal_gemmt_kernelIlLi16ELi32ELi8ELc67ELc67ELc76ELb0ELb0EffPKPKfPKPfEviT_T9_T10_S7_lS9_S7_lS8_T11_S7_li.num_vgpr, 50
	.set _ZL29rocblas_internal_gemmt_kernelIlLi16ELi32ELi8ELc67ELc67ELc76ELb0ELb0EffPKPKfPKPfEviT_T9_T10_S7_lS9_S7_lS8_T11_S7_li.num_agpr, 0
	.set _ZL29rocblas_internal_gemmt_kernelIlLi16ELi32ELi8ELc67ELc67ELc76ELb0ELb0EffPKPKfPKPfEviT_T9_T10_S7_lS9_S7_lS8_T11_S7_li.numbered_sgpr, 31
	.set _ZL29rocblas_internal_gemmt_kernelIlLi16ELi32ELi8ELc67ELc67ELc76ELb0ELb0EffPKPKfPKPfEviT_T9_T10_S7_lS9_S7_lS8_T11_S7_li.num_named_barrier, 0
	.set _ZL29rocblas_internal_gemmt_kernelIlLi16ELi32ELi8ELc67ELc67ELc76ELb0ELb0EffPKPKfPKPfEviT_T9_T10_S7_lS9_S7_lS8_T11_S7_li.private_seg_size, 0
	.set _ZL29rocblas_internal_gemmt_kernelIlLi16ELi32ELi8ELc67ELc67ELc76ELb0ELb0EffPKPKfPKPfEviT_T9_T10_S7_lS9_S7_lS8_T11_S7_li.uses_vcc, 1
	.set _ZL29rocblas_internal_gemmt_kernelIlLi16ELi32ELi8ELc67ELc67ELc76ELb0ELb0EffPKPKfPKPfEviT_T9_T10_S7_lS9_S7_lS8_T11_S7_li.uses_flat_scratch, 0
	.set _ZL29rocblas_internal_gemmt_kernelIlLi16ELi32ELi8ELc67ELc67ELc76ELb0ELb0EffPKPKfPKPfEviT_T9_T10_S7_lS9_S7_lS8_T11_S7_li.has_dyn_sized_stack, 0
	.set _ZL29rocblas_internal_gemmt_kernelIlLi16ELi32ELi8ELc67ELc67ELc76ELb0ELb0EffPKPKfPKPfEviT_T9_T10_S7_lS9_S7_lS8_T11_S7_li.has_recursion, 0
	.set _ZL29rocblas_internal_gemmt_kernelIlLi16ELi32ELi8ELc67ELc67ELc76ELb0ELb0EffPKPKfPKPfEviT_T9_T10_S7_lS9_S7_lS8_T11_S7_li.has_indirect_call, 0
	.section	.AMDGPU.csdata,"",@progbits
; Kernel info:
; codeLenInByte = 1336
; TotalNumSgprs: 37
; NumVgprs: 50
; NumAgprs: 0
; TotalNumVgprs: 50
; ScratchSize: 0
; MemoryBound: 0
; FloatMode: 240
; IeeeMode: 1
; LDSByteSize: 2048 bytes/workgroup (compile time only)
; SGPRBlocks: 4
; VGPRBlocks: 6
; NumSGPRsForWavesPerEU: 37
; NumVGPRsForWavesPerEU: 50
; AccumOffset: 52
; Occupancy: 8
; WaveLimiterHint : 1
; COMPUTE_PGM_RSRC2:SCRATCH_EN: 0
; COMPUTE_PGM_RSRC2:USER_SGPR: 2
; COMPUTE_PGM_RSRC2:TRAP_HANDLER: 0
; COMPUTE_PGM_RSRC2:TGID_X_EN: 1
; COMPUTE_PGM_RSRC2:TGID_Y_EN: 1
; COMPUTE_PGM_RSRC2:TGID_Z_EN: 1
; COMPUTE_PGM_RSRC2:TIDIG_COMP_CNT: 1
; COMPUTE_PGM_RSRC3_GFX90A:ACCUM_OFFSET: 12
; COMPUTE_PGM_RSRC3_GFX90A:TG_SPLIT: 0
	.section	.text._ZL29rocblas_internal_gemmt_kernelIlLi16ELi32ELi8ELc78ELc78ELc85ELb0ELb0EdPKdPKS1_PKPdEviT_T9_T10_S7_lS9_S7_lS8_T11_S7_li,"axG",@progbits,_ZL29rocblas_internal_gemmt_kernelIlLi16ELi32ELi8ELc78ELc78ELc85ELb0ELb0EdPKdPKS1_PKPdEviT_T9_T10_S7_lS9_S7_lS8_T11_S7_li,comdat
	.globl	_ZL29rocblas_internal_gemmt_kernelIlLi16ELi32ELi8ELc78ELc78ELc85ELb0ELb0EdPKdPKS1_PKPdEviT_T9_T10_S7_lS9_S7_lS8_T11_S7_li ; -- Begin function _ZL29rocblas_internal_gemmt_kernelIlLi16ELi32ELi8ELc78ELc78ELc85ELb0ELb0EdPKdPKS1_PKPdEviT_T9_T10_S7_lS9_S7_lS8_T11_S7_li
	.p2align	8
	.type	_ZL29rocblas_internal_gemmt_kernelIlLi16ELi32ELi8ELc78ELc78ELc85ELb0ELb0EdPKdPKS1_PKPdEviT_T9_T10_S7_lS9_S7_lS8_T11_S7_li,@function
_ZL29rocblas_internal_gemmt_kernelIlLi16ELi32ELi8ELc78ELc78ELc85ELb0ELb0EdPKdPKS1_PKPdEviT_T9_T10_S7_lS9_S7_lS8_T11_S7_li: ; @_ZL29rocblas_internal_gemmt_kernelIlLi16ELi32ELi8ELc78ELc78ELc85ELb0ELb0EdPKdPKS1_PKPdEviT_T9_T10_S7_lS9_S7_lS8_T11_S7_li
; %bb.0:
	s_load_dwordx8 s[24:31], s[0:1], 0x48
	s_load_dwordx16 s[8:23], s[0:1], 0x8
	s_waitcnt lgkmcnt(0)
	s_load_dwordx2 s[6:7], s[24:25], 0x0
	s_load_dwordx2 s[34:35], s[10:11], 0x0
	s_waitcnt lgkmcnt(0)
	v_cmp_neq_f64_e64 s[10:11], s[6:7], 1.0
	s_and_b64 vcc, exec, s[10:11]
	s_cbranch_vccnz .LBB468_2
; %bb.1:
	s_cmp_lg_u64 s[8:9], 0
	s_cselect_b64 s[10:11], -1, 0
	v_cmp_neq_f64_e64 s[24:25], s[34:35], 0
	s_and_b64 s[10:11], s[10:11], s[24:25]
.LBB468_2:
	s_andn2_b64 vcc, exec, s[10:11]
	s_cbranch_vccnz .LBB468_28
; %bb.3:
	s_mov_b32 s5, 0
	s_load_dword s24, s[0:1], 0x0
	s_lshl_b64 s[0:1], s[4:5], 3
	s_add_u32 s4, s26, s0
	s_addc_u32 s5, s27, s1
	s_load_dwordx2 s[4:5], s[4:5], 0x0
	s_lshl_b32 s25, s2, 5
	s_lshl_b32 s26, s3, 5
	v_cmp_eq_f64_e64 s[2:3], s[34:35], 0
	v_cmp_lt_i64_e64 s[10:11], s[8:9], 1
	s_or_b64 s[2:3], s[2:3], s[10:11]
	v_and_b32_e32 v9, 0x3ff, v0
	v_bfe_u32 v11, v0, 10, 10
	v_mov_b64_e32 v[6:7], 0
	s_and_b64 vcc, exec, s[2:3]
	v_mov_b64_e32 v[4:5], 0
	v_mov_b64_e32 v[2:3], 0
	v_mov_b64_e32 v[0:1], 0
	s_cbranch_vccnz .LBB468_12
; %bb.4:
	s_add_u32 s2, s18, s0
	s_addc_u32 s3, s19, s1
	s_load_dwordx2 s[2:3], s[2:3], 0x0
	s_lshl_b64 s[10:11], s[22:23], 3
	v_lshl_add_u32 v0, v11, 4, v9
	v_and_b32_e32 v1, 31, v0
	v_lshrrev_b32_e32 v10, 5, v0
	s_waitcnt lgkmcnt(0)
	s_add_u32 s10, s2, s10
	s_addc_u32 s11, s3, s11
	s_add_u32 s0, s12, s0
	s_addc_u32 s1, s13, s1
	s_load_dwordx2 s[0:1], s[0:1], 0x0
	s_lshl_b64 s[2:3], s[16:17], 3
	v_lshrrev_b32_e32 v2, 3, v0
	v_or_b32_e32 v0, s25, v1
	v_lshlrev_b32_e32 v1, 3, v1
	s_waitcnt lgkmcnt(0)
	s_add_u32 s2, s0, s2
	v_and_b32_e32 v8, 7, v9
	s_addc_u32 s3, s1, s3
	v_lshl_or_b32 v18, v10, 8, v1
	v_ashrrev_i32_e32 v1, 31, v0
	v_cmp_gt_i32_e64 s[0:1], s24, v0
	v_lshl_add_u64 v[12:13], v[0:1], 3, s[2:3]
	v_lshlrev_b32_e32 v0, 3, v8
	v_add_u32_e32 v3, s26, v2
	v_lshl_or_b32 v0, v2, 6, v0
	v_add_u32_e32 v19, 0x800, v0
	v_ashrrev_i32_e32 v0, 31, v3
	v_mul_lo_u32 v2, s20, v0
	v_mul_lo_u32 v4, s21, v3
	v_mad_u64_u32 v[0:1], s[12:13], s20, v3, 0
	v_add3_u32 v1, v1, v2, v4
	v_lshl_add_u64 v[14:15], v[0:1], 3, s[10:11]
	v_mov_b32_e32 v0, 0x800
	v_cmp_gt_i32_e64 s[2:3], s24, v3
	v_lshlrev_b32_e32 v20, 3, v9
	v_lshl_add_u32 v21, v11, 6, v0
	v_mov_b32_e32 v17, 0
	v_mov_b64_e32 v[0:1], 0
	s_mov_b64 s[10:11], 0
	v_mov_b64_e32 v[2:3], 0
	v_mov_b64_e32 v[4:5], 0
	;; [unrolled: 1-line block ×3, first 2 shown]
	s_branch .LBB468_6
.LBB468_5:                              ;   in Loop: Header=BB468_6 Depth=1
	s_or_b64 exec, exec, s[12:13]
	s_waitcnt vmcnt(0) lgkmcnt(0)
	ds_write_b64 v19, v[22:23]
	s_waitcnt lgkmcnt(0)
	s_barrier
	ds_read2_b64 v[22:25], v20 offset1:16
	ds_read_b128 v[26:29], v21
	ds_read_b128 v[30:33], v21 offset:16
	ds_read_b128 v[34:37], v21 offset:32
	;; [unrolled: 1-line block ×4, first 2 shown]
	ds_read2_b64 v[46:49], v20 offset0:32 offset1:48
	s_waitcnt lgkmcnt(5)
	v_fmac_f64_e32 v[6:7], v[22:23], v[26:27]
	v_fmac_f64_e32 v[4:5], v[24:25], v[26:27]
	ds_read_b128 v[50:53], v21 offset:1040
	s_waitcnt lgkmcnt(2)
	v_fmac_f64_e32 v[2:3], v[22:23], v[42:43]
	v_fmac_f64_e32 v[0:1], v[24:25], v[42:43]
	ds_read2_b64 v[22:25], v20 offset0:64 offset1:80
	s_waitcnt lgkmcnt(2)
	v_fmac_f64_e32 v[6:7], v[46:47], v[28:29]
	v_fmac_f64_e32 v[4:5], v[48:49], v[28:29]
	ds_read2_b64 v[26:29], v20 offset0:96 offset1:112
	v_fmac_f64_e32 v[2:3], v[46:47], v[44:45]
	v_fmac_f64_e32 v[0:1], v[48:49], v[44:45]
	s_waitcnt lgkmcnt(1)
	v_fmac_f64_e32 v[6:7], v[22:23], v[30:31]
	v_fmac_f64_e32 v[4:5], v[24:25], v[30:31]
	ds_read_b128 v[42:45], v21 offset:1072
	v_fmac_f64_e32 v[2:3], v[22:23], v[50:51]
	v_fmac_f64_e32 v[0:1], v[24:25], v[50:51]
	s_waitcnt lgkmcnt(1)
	v_fmac_f64_e32 v[6:7], v[26:27], v[32:33]
	ds_read2_b64 v[22:25], v20 offset0:128 offset1:144
	v_fmac_f64_e32 v[4:5], v[28:29], v[32:33]
	v_fmac_f64_e32 v[2:3], v[26:27], v[52:53]
	;; [unrolled: 1-line block ×3, first 2 shown]
	ds_read_b128 v[26:29], v21 offset:1056
	ds_read2_b64 v[30:33], v20 offset0:160 offset1:176
	s_waitcnt lgkmcnt(2)
	v_fmac_f64_e32 v[6:7], v[22:23], v[34:35]
	v_fmac_f64_e32 v[4:5], v[24:25], v[34:35]
	s_add_u32 s10, s10, 8
	s_waitcnt lgkmcnt(1)
	v_fmac_f64_e32 v[2:3], v[22:23], v[26:27]
	v_fmac_f64_e32 v[0:1], v[24:25], v[26:27]
	ds_read2_b64 v[22:25], v20 offset0:192 offset1:208
	s_waitcnt lgkmcnt(1)
	v_fmac_f64_e32 v[2:3], v[30:31], v[28:29]
	v_fmac_f64_e32 v[0:1], v[32:33], v[28:29]
	ds_read2_b64 v[26:29], v20 offset0:224 offset1:240
	v_fmac_f64_e32 v[6:7], v[30:31], v[36:37]
	s_addc_u32 s11, s11, 0
	v_fmac_f64_e32 v[4:5], v[32:33], v[36:37]
	s_waitcnt lgkmcnt(1)
	v_fmac_f64_e32 v[6:7], v[22:23], v[38:39]
	v_fmac_f64_e32 v[2:3], v[22:23], v[42:43]
	v_mov_b64_e32 v[22:23], s[10:11]
	v_fmac_f64_e32 v[4:5], v[24:25], v[38:39]
	v_fmac_f64_e32 v[0:1], v[24:25], v[42:43]
	v_cmp_gt_i64_e32 vcc, s[8:9], v[22:23]
	s_waitcnt lgkmcnt(0)
	v_fmac_f64_e32 v[6:7], v[26:27], v[40:41]
	v_fmac_f64_e32 v[4:5], v[28:29], v[40:41]
	;; [unrolled: 1-line block ×4, first 2 shown]
	s_barrier
	s_cbranch_vccz .LBB468_12
.LBB468_6:                              ; =>This Inner Loop Header: Depth=1
	v_mov_b64_e32 v[22:23], 0
	s_and_saveexec_b64 s[12:13], s[0:1]
	s_cbranch_execz .LBB468_10
; %bb.7:                                ;   in Loop: Header=BB468_6 Depth=1
	v_add_u32_e32 v16, s10, v10
	v_cmp_gt_u64_e32 vcc, s[8:9], v[16:17]
	v_mov_b64_e32 v[22:23], 0
	s_and_saveexec_b64 s[16:17], vcc
	s_cbranch_execz .LBB468_9
; %bb.8:                                ;   in Loop: Header=BB468_6 Depth=1
	v_mad_u64_u32 v[22:23], s[18:19], s14, v16, 0
	v_mov_b32_e32 v24, v23
	v_mad_u64_u32 v[24:25], s[18:19], s15, v16, v[24:25]
	v_mov_b32_e32 v23, v24
	v_lshl_add_u64 v[22:23], v[22:23], 3, v[12:13]
	flat_load_dwordx2 v[22:23], v[22:23]
.LBB468_9:                              ;   in Loop: Header=BB468_6 Depth=1
	s_or_b64 exec, exec, s[16:17]
.LBB468_10:                             ;   in Loop: Header=BB468_6 Depth=1
	s_or_b64 exec, exec, s[12:13]
	v_add_u32_e32 v16, s10, v8
	v_cmp_gt_u64_e32 vcc, s[8:9], v[16:17]
	s_waitcnt vmcnt(0) lgkmcnt(0)
	ds_write_b64 v18, v[22:23]
	s_and_b64 s[16:17], vcc, s[2:3]
	v_mov_b64_e32 v[22:23], 0
	s_and_saveexec_b64 s[12:13], s[16:17]
	s_cbranch_execz .LBB468_5
; %bb.11:                               ;   in Loop: Header=BB468_6 Depth=1
	v_lshl_add_u64 v[22:23], v[16:17], 3, v[14:15]
	flat_load_dwordx2 v[22:23], v[22:23]
	s_branch .LBB468_5
.LBB468_12:
	s_lshl_b64 s[0:1], s[30:31], 3
	s_waitcnt lgkmcnt(0)
	s_add_u32 s4, s4, s0
	v_add_u32_e32 v14, s26, v11
	s_addc_u32 s5, s5, s1
	v_add_u32_e32 v8, s25, v9
	v_ashrrev_i32_e32 v9, 31, v14
	v_mad_u64_u32 v[10:11], s[0:1], s28, v14, 0
	v_mul_lo_u32 v9, s28, v9
	v_mul_lo_u32 v12, s29, v14
	v_cmp_neq_f64_e64 s[0:1], s[6:7], 0
	v_cmp_gt_i32_e64 s[2:3], s24, v14
	v_add3_u32 v11, v11, v9, v12
	v_cmp_le_i32_e32 vcc, v8, v14
	v_cndmask_b32_e64 v12, 0, 1, s[0:1]
	v_lshl_add_u64 v[10:11], v[10:11], 3, s[4:5]
	s_and_b64 s[10:11], s[2:3], vcc
	v_ashrrev_i32_e32 v9, 31, v8
	v_cmp_ne_u32_e64 s[0:1], 1, v12
	s_and_saveexec_b64 s[8:9], s[10:11]
	s_cbranch_execz .LBB468_16
; %bb.13:
	v_mul_f64 v[6:7], s[34:35], v[6:7]
	s_and_b64 vcc, exec, s[0:1]
	v_lshl_add_u64 v[12:13], v[8:9], 3, v[10:11]
	s_cbranch_vccnz .LBB468_15
; %bb.14:
	flat_load_dwordx2 v[16:17], v[12:13]
	s_waitcnt vmcnt(0) lgkmcnt(0)
	v_fmac_f64_e32 v[6:7], s[6:7], v[16:17]
.LBB468_15:
	flat_store_dwordx2 v[12:13], v[6:7]
.LBB468_16:
	s_or_b64 exec, exec, s[8:9]
	v_add_u32_e32 v6, 16, v8
	v_cmp_le_i32_e32 vcc, v6, v14
	s_and_b64 s[8:9], s[2:3], vcc
	v_ashrrev_i32_e32 v7, 31, v6
	s_and_saveexec_b64 s[2:3], s[8:9]
	s_cbranch_execz .LBB468_20
; %bb.17:
	v_mul_f64 v[4:5], s[34:35], v[4:5]
	s_and_b64 vcc, exec, s[0:1]
	v_lshl_add_u64 v[10:11], v[6:7], 3, v[10:11]
	s_cbranch_vccnz .LBB468_19
; %bb.18:
	flat_load_dwordx2 v[12:13], v[10:11]
	s_waitcnt vmcnt(0) lgkmcnt(0)
	v_fmac_f64_e32 v[4:5], s[6:7], v[12:13]
.LBB468_19:
	flat_store_dwordx2 v[10:11], v[4:5]
.LBB468_20:
	s_or_b64 exec, exec, s[2:3]
	v_add_u32_e32 v10, 16, v14
	v_ashrrev_i32_e32 v4, 31, v10
	v_mul_lo_u32 v11, s28, v4
	v_mul_lo_u32 v12, s29, v10
	v_mad_u64_u32 v[4:5], s[8:9], s28, v10, 0
	v_cmp_gt_i32_e64 s[2:3], s24, v10
	v_add3_u32 v5, v5, v11, v12
	v_cmp_le_i32_e32 vcc, v8, v10
	v_lshl_add_u64 v[4:5], v[4:5], 3, s[4:5]
	s_and_b64 s[8:9], s[2:3], vcc
	s_and_saveexec_b64 s[4:5], s[8:9]
	s_cbranch_execz .LBB468_24
; %bb.21:
	v_mul_f64 v[2:3], s[34:35], v[2:3]
	s_and_b64 vcc, exec, s[0:1]
	v_lshl_add_u64 v[8:9], v[8:9], 3, v[4:5]
	s_cbranch_vccnz .LBB468_23
; %bb.22:
	flat_load_dwordx2 v[12:13], v[8:9]
	s_waitcnt vmcnt(0) lgkmcnt(0)
	v_fmac_f64_e32 v[2:3], s[6:7], v[12:13]
.LBB468_23:
	flat_store_dwordx2 v[8:9], v[2:3]
.LBB468_24:
	s_or_b64 exec, exec, s[4:5]
	v_cmp_le_i32_e32 vcc, v6, v10
	s_and_b64 s[2:3], s[2:3], vcc
	s_and_saveexec_b64 s[4:5], s[2:3]
	s_cbranch_execz .LBB468_28
; %bb.25:
	v_mul_f64 v[0:1], s[34:35], v[0:1]
	s_and_b64 vcc, exec, s[0:1]
	v_lshl_add_u64 v[2:3], v[6:7], 3, v[4:5]
	s_cbranch_vccnz .LBB468_27
; %bb.26:
	flat_load_dwordx2 v[4:5], v[2:3]
	s_waitcnt vmcnt(0) lgkmcnt(0)
	v_fmac_f64_e32 v[0:1], s[6:7], v[4:5]
.LBB468_27:
	flat_store_dwordx2 v[2:3], v[0:1]
.LBB468_28:
	s_endpgm
	.section	.rodata,"a",@progbits
	.p2align	6, 0x0
	.amdhsa_kernel _ZL29rocblas_internal_gemmt_kernelIlLi16ELi32ELi8ELc78ELc78ELc85ELb0ELb0EdPKdPKS1_PKPdEviT_T9_T10_S7_lS9_S7_lS8_T11_S7_li
		.amdhsa_group_segment_fixed_size 4096
		.amdhsa_private_segment_fixed_size 0
		.amdhsa_kernarg_size 108
		.amdhsa_user_sgpr_count 2
		.amdhsa_user_sgpr_dispatch_ptr 0
		.amdhsa_user_sgpr_queue_ptr 0
		.amdhsa_user_sgpr_kernarg_segment_ptr 1
		.amdhsa_user_sgpr_dispatch_id 0
		.amdhsa_user_sgpr_kernarg_preload_length 0
		.amdhsa_user_sgpr_kernarg_preload_offset 0
		.amdhsa_user_sgpr_private_segment_size 0
		.amdhsa_uses_dynamic_stack 0
		.amdhsa_enable_private_segment 0
		.amdhsa_system_sgpr_workgroup_id_x 1
		.amdhsa_system_sgpr_workgroup_id_y 1
		.amdhsa_system_sgpr_workgroup_id_z 1
		.amdhsa_system_sgpr_workgroup_info 0
		.amdhsa_system_vgpr_workitem_id 1
		.amdhsa_next_free_vgpr 54
		.amdhsa_next_free_sgpr 36
		.amdhsa_accum_offset 56
		.amdhsa_reserve_vcc 1
		.amdhsa_float_round_mode_32 0
		.amdhsa_float_round_mode_16_64 0
		.amdhsa_float_denorm_mode_32 3
		.amdhsa_float_denorm_mode_16_64 3
		.amdhsa_dx10_clamp 1
		.amdhsa_ieee_mode 1
		.amdhsa_fp16_overflow 0
		.amdhsa_tg_split 0
		.amdhsa_exception_fp_ieee_invalid_op 0
		.amdhsa_exception_fp_denorm_src 0
		.amdhsa_exception_fp_ieee_div_zero 0
		.amdhsa_exception_fp_ieee_overflow 0
		.amdhsa_exception_fp_ieee_underflow 0
		.amdhsa_exception_fp_ieee_inexact 0
		.amdhsa_exception_int_div_zero 0
	.end_amdhsa_kernel
	.section	.text._ZL29rocblas_internal_gemmt_kernelIlLi16ELi32ELi8ELc78ELc78ELc85ELb0ELb0EdPKdPKS1_PKPdEviT_T9_T10_S7_lS9_S7_lS8_T11_S7_li,"axG",@progbits,_ZL29rocblas_internal_gemmt_kernelIlLi16ELi32ELi8ELc78ELc78ELc85ELb0ELb0EdPKdPKS1_PKPdEviT_T9_T10_S7_lS9_S7_lS8_T11_S7_li,comdat
.Lfunc_end468:
	.size	_ZL29rocblas_internal_gemmt_kernelIlLi16ELi32ELi8ELc78ELc78ELc85ELb0ELb0EdPKdPKS1_PKPdEviT_T9_T10_S7_lS9_S7_lS8_T11_S7_li, .Lfunc_end468-_ZL29rocblas_internal_gemmt_kernelIlLi16ELi32ELi8ELc78ELc78ELc85ELb0ELb0EdPKdPKS1_PKPdEviT_T9_T10_S7_lS9_S7_lS8_T11_S7_li
                                        ; -- End function
	.set _ZL29rocblas_internal_gemmt_kernelIlLi16ELi32ELi8ELc78ELc78ELc85ELb0ELb0EdPKdPKS1_PKPdEviT_T9_T10_S7_lS9_S7_lS8_T11_S7_li.num_vgpr, 54
	.set _ZL29rocblas_internal_gemmt_kernelIlLi16ELi32ELi8ELc78ELc78ELc85ELb0ELb0EdPKdPKS1_PKPdEviT_T9_T10_S7_lS9_S7_lS8_T11_S7_li.num_agpr, 0
	.set _ZL29rocblas_internal_gemmt_kernelIlLi16ELi32ELi8ELc78ELc78ELc85ELb0ELb0EdPKdPKS1_PKPdEviT_T9_T10_S7_lS9_S7_lS8_T11_S7_li.numbered_sgpr, 36
	.set _ZL29rocblas_internal_gemmt_kernelIlLi16ELi32ELi8ELc78ELc78ELc85ELb0ELb0EdPKdPKS1_PKPdEviT_T9_T10_S7_lS9_S7_lS8_T11_S7_li.num_named_barrier, 0
	.set _ZL29rocblas_internal_gemmt_kernelIlLi16ELi32ELi8ELc78ELc78ELc85ELb0ELb0EdPKdPKS1_PKPdEviT_T9_T10_S7_lS9_S7_lS8_T11_S7_li.private_seg_size, 0
	.set _ZL29rocblas_internal_gemmt_kernelIlLi16ELi32ELi8ELc78ELc78ELc85ELb0ELb0EdPKdPKS1_PKPdEviT_T9_T10_S7_lS9_S7_lS8_T11_S7_li.uses_vcc, 1
	.set _ZL29rocblas_internal_gemmt_kernelIlLi16ELi32ELi8ELc78ELc78ELc85ELb0ELb0EdPKdPKS1_PKPdEviT_T9_T10_S7_lS9_S7_lS8_T11_S7_li.uses_flat_scratch, 0
	.set _ZL29rocblas_internal_gemmt_kernelIlLi16ELi32ELi8ELc78ELc78ELc85ELb0ELb0EdPKdPKS1_PKPdEviT_T9_T10_S7_lS9_S7_lS8_T11_S7_li.has_dyn_sized_stack, 0
	.set _ZL29rocblas_internal_gemmt_kernelIlLi16ELi32ELi8ELc78ELc78ELc85ELb0ELb0EdPKdPKS1_PKPdEviT_T9_T10_S7_lS9_S7_lS8_T11_S7_li.has_recursion, 0
	.set _ZL29rocblas_internal_gemmt_kernelIlLi16ELi32ELi8ELc78ELc78ELc85ELb0ELb0EdPKdPKS1_PKPdEviT_T9_T10_S7_lS9_S7_lS8_T11_S7_li.has_indirect_call, 0
	.section	.AMDGPU.csdata,"",@progbits
; Kernel info:
; codeLenInByte = 1352
; TotalNumSgprs: 42
; NumVgprs: 54
; NumAgprs: 0
; TotalNumVgprs: 54
; ScratchSize: 0
; MemoryBound: 0
; FloatMode: 240
; IeeeMode: 1
; LDSByteSize: 4096 bytes/workgroup (compile time only)
; SGPRBlocks: 5
; VGPRBlocks: 6
; NumSGPRsForWavesPerEU: 42
; NumVGPRsForWavesPerEU: 54
; AccumOffset: 56
; Occupancy: 8
; WaveLimiterHint : 1
; COMPUTE_PGM_RSRC2:SCRATCH_EN: 0
; COMPUTE_PGM_RSRC2:USER_SGPR: 2
; COMPUTE_PGM_RSRC2:TRAP_HANDLER: 0
; COMPUTE_PGM_RSRC2:TGID_X_EN: 1
; COMPUTE_PGM_RSRC2:TGID_Y_EN: 1
; COMPUTE_PGM_RSRC2:TGID_Z_EN: 1
; COMPUTE_PGM_RSRC2:TIDIG_COMP_CNT: 1
; COMPUTE_PGM_RSRC3_GFX90A:ACCUM_OFFSET: 13
; COMPUTE_PGM_RSRC3_GFX90A:TG_SPLIT: 0
	.section	.text._ZL29rocblas_internal_gemmt_kernelIlLi16ELi32ELi8ELc78ELc84ELc85ELb0ELb0EdPKdPKS1_PKPdEviT_T9_T10_S7_lS9_S7_lS8_T11_S7_li,"axG",@progbits,_ZL29rocblas_internal_gemmt_kernelIlLi16ELi32ELi8ELc78ELc84ELc85ELb0ELb0EdPKdPKS1_PKPdEviT_T9_T10_S7_lS9_S7_lS8_T11_S7_li,comdat
	.globl	_ZL29rocblas_internal_gemmt_kernelIlLi16ELi32ELi8ELc78ELc84ELc85ELb0ELb0EdPKdPKS1_PKPdEviT_T9_T10_S7_lS9_S7_lS8_T11_S7_li ; -- Begin function _ZL29rocblas_internal_gemmt_kernelIlLi16ELi32ELi8ELc78ELc84ELc85ELb0ELb0EdPKdPKS1_PKPdEviT_T9_T10_S7_lS9_S7_lS8_T11_S7_li
	.p2align	8
	.type	_ZL29rocblas_internal_gemmt_kernelIlLi16ELi32ELi8ELc78ELc84ELc85ELb0ELb0EdPKdPKS1_PKPdEviT_T9_T10_S7_lS9_S7_lS8_T11_S7_li,@function
_ZL29rocblas_internal_gemmt_kernelIlLi16ELi32ELi8ELc78ELc84ELc85ELb0ELb0EdPKdPKS1_PKPdEviT_T9_T10_S7_lS9_S7_lS8_T11_S7_li: ; @_ZL29rocblas_internal_gemmt_kernelIlLi16ELi32ELi8ELc78ELc84ELc85ELb0ELb0EdPKdPKS1_PKPdEviT_T9_T10_S7_lS9_S7_lS8_T11_S7_li
; %bb.0:
	s_load_dwordx8 s[24:31], s[0:1], 0x48
	s_load_dwordx16 s[8:23], s[0:1], 0x8
	s_waitcnt lgkmcnt(0)
	s_load_dwordx2 s[6:7], s[24:25], 0x0
	s_load_dwordx2 s[34:35], s[10:11], 0x0
	s_waitcnt lgkmcnt(0)
	v_cmp_neq_f64_e64 s[10:11], s[6:7], 1.0
	s_and_b64 vcc, exec, s[10:11]
	s_cbranch_vccnz .LBB469_2
; %bb.1:
	s_cmp_lg_u64 s[8:9], 0
	s_cselect_b64 s[10:11], -1, 0
	v_cmp_neq_f64_e64 s[24:25], s[34:35], 0
	s_and_b64 s[10:11], s[10:11], s[24:25]
.LBB469_2:
	s_andn2_b64 vcc, exec, s[10:11]
	s_cbranch_vccnz .LBB469_28
; %bb.3:
	s_mov_b32 s5, 0
	s_load_dword s24, s[0:1], 0x0
	s_lshl_b64 s[0:1], s[4:5], 3
	s_add_u32 s4, s26, s0
	s_addc_u32 s5, s27, s1
	s_load_dwordx2 s[4:5], s[4:5], 0x0
	s_lshl_b32 s25, s2, 5
	s_lshl_b32 s26, s3, 5
	v_cmp_eq_f64_e64 s[2:3], s[34:35], 0
	v_cmp_lt_i64_e64 s[10:11], s[8:9], 1
	s_or_b64 s[2:3], s[2:3], s[10:11]
	v_and_b32_e32 v9, 0x3ff, v0
	v_bfe_u32 v11, v0, 10, 10
	v_mov_b64_e32 v[6:7], 0
	s_and_b64 vcc, exec, s[2:3]
	v_mov_b64_e32 v[4:5], 0
	v_mov_b64_e32 v[2:3], 0
	;; [unrolled: 1-line block ×3, first 2 shown]
	s_cbranch_vccnz .LBB469_12
; %bb.4:
	s_add_u32 s2, s18, s0
	s_addc_u32 s3, s19, s1
	s_load_dwordx2 s[2:3], s[2:3], 0x0
	s_lshl_b64 s[10:11], s[22:23], 3
	v_lshl_add_u32 v1, v11, 4, v9
	v_lshrrev_b32_e32 v10, 5, v1
	v_lshrrev_b32_e32 v4, 3, v1
	s_waitcnt lgkmcnt(0)
	s_add_u32 s10, s2, s10
	s_addc_u32 s11, s3, s11
	s_add_u32 s0, s12, s0
	s_addc_u32 s1, s13, s1
	s_load_dwordx2 s[0:1], s[0:1], 0x0
	v_and_b32_e32 v1, 31, v1
	v_and_b32_e32 v8, 7, v9
	v_or_b32_e32 v2, s25, v1
	v_lshlrev_b32_e32 v1, 3, v1
	s_lshl_b64 s[2:3], s[16:17], 3
	v_lshl_or_b32 v18, v10, 8, v1
	v_lshlrev_b32_e32 v1, 3, v8
	v_add_u32_e32 v0, s26, v4
	s_waitcnt lgkmcnt(0)
	s_add_u32 s2, s0, s2
	v_lshl_or_b32 v1, v4, 6, v1
	s_addc_u32 s3, s1, s3
	v_ashrrev_i32_e32 v3, 31, v2
	v_add_u32_e32 v19, 0x800, v1
	v_ashrrev_i32_e32 v1, 31, v0
	v_lshl_add_u64 v[12:13], v[2:3], 3, s[2:3]
	v_cmp_gt_i32_e64 s[2:3], s24, v0
	v_lshl_add_u64 v[14:15], v[0:1], 3, s[10:11]
	v_mov_b32_e32 v0, 0x800
	v_cmp_gt_i32_e64 s[0:1], s24, v2
	v_lshlrev_b32_e32 v20, 3, v9
	v_lshl_add_u32 v21, v11, 6, v0
	v_mov_b32_e32 v17, 0
	v_mov_b64_e32 v[0:1], 0
	s_mov_b64 s[10:11], 0
	v_mov_b64_e32 v[2:3], 0
	v_mov_b64_e32 v[4:5], 0
	v_mov_b64_e32 v[6:7], 0
	s_branch .LBB469_6
.LBB469_5:                              ;   in Loop: Header=BB469_6 Depth=1
	s_or_b64 exec, exec, s[12:13]
	s_waitcnt vmcnt(0) lgkmcnt(0)
	ds_write_b64 v19, v[22:23]
	s_waitcnt lgkmcnt(0)
	s_barrier
	ds_read2_b64 v[22:25], v20 offset1:16
	ds_read_b128 v[26:29], v21
	ds_read_b128 v[30:33], v21 offset:16
	ds_read_b128 v[34:37], v21 offset:32
	ds_read_b128 v[38:41], v21 offset:48
	ds_read_b128 v[42:45], v21 offset:1024
	ds_read2_b64 v[46:49], v20 offset0:32 offset1:48
	s_waitcnt lgkmcnt(5)
	v_fmac_f64_e32 v[6:7], v[22:23], v[26:27]
	v_fmac_f64_e32 v[4:5], v[24:25], v[26:27]
	ds_read_b128 v[50:53], v21 offset:1040
	s_waitcnt lgkmcnt(2)
	v_fmac_f64_e32 v[2:3], v[22:23], v[42:43]
	v_fmac_f64_e32 v[0:1], v[24:25], v[42:43]
	ds_read2_b64 v[22:25], v20 offset0:64 offset1:80
	s_waitcnt lgkmcnt(2)
	v_fmac_f64_e32 v[6:7], v[46:47], v[28:29]
	v_fmac_f64_e32 v[4:5], v[48:49], v[28:29]
	ds_read2_b64 v[26:29], v20 offset0:96 offset1:112
	v_fmac_f64_e32 v[2:3], v[46:47], v[44:45]
	v_fmac_f64_e32 v[0:1], v[48:49], v[44:45]
	s_waitcnt lgkmcnt(1)
	v_fmac_f64_e32 v[6:7], v[22:23], v[30:31]
	v_fmac_f64_e32 v[4:5], v[24:25], v[30:31]
	ds_read_b128 v[42:45], v21 offset:1072
	v_fmac_f64_e32 v[2:3], v[22:23], v[50:51]
	v_fmac_f64_e32 v[0:1], v[24:25], v[50:51]
	s_waitcnt lgkmcnt(1)
	v_fmac_f64_e32 v[6:7], v[26:27], v[32:33]
	ds_read2_b64 v[22:25], v20 offset0:128 offset1:144
	v_fmac_f64_e32 v[4:5], v[28:29], v[32:33]
	v_fmac_f64_e32 v[2:3], v[26:27], v[52:53]
	;; [unrolled: 1-line block ×3, first 2 shown]
	ds_read_b128 v[26:29], v21 offset:1056
	ds_read2_b64 v[30:33], v20 offset0:160 offset1:176
	s_waitcnt lgkmcnt(2)
	v_fmac_f64_e32 v[6:7], v[22:23], v[34:35]
	v_fmac_f64_e32 v[4:5], v[24:25], v[34:35]
	s_add_u32 s10, s10, 8
	s_waitcnt lgkmcnt(1)
	v_fmac_f64_e32 v[2:3], v[22:23], v[26:27]
	v_fmac_f64_e32 v[0:1], v[24:25], v[26:27]
	ds_read2_b64 v[22:25], v20 offset0:192 offset1:208
	s_waitcnt lgkmcnt(1)
	v_fmac_f64_e32 v[2:3], v[30:31], v[28:29]
	v_fmac_f64_e32 v[0:1], v[32:33], v[28:29]
	ds_read2_b64 v[26:29], v20 offset0:224 offset1:240
	v_fmac_f64_e32 v[6:7], v[30:31], v[36:37]
	s_addc_u32 s11, s11, 0
	v_fmac_f64_e32 v[4:5], v[32:33], v[36:37]
	s_waitcnt lgkmcnt(1)
	v_fmac_f64_e32 v[6:7], v[22:23], v[38:39]
	v_fmac_f64_e32 v[2:3], v[22:23], v[42:43]
	v_mov_b64_e32 v[22:23], s[10:11]
	v_fmac_f64_e32 v[4:5], v[24:25], v[38:39]
	v_fmac_f64_e32 v[0:1], v[24:25], v[42:43]
	v_cmp_gt_i64_e32 vcc, s[8:9], v[22:23]
	s_waitcnt lgkmcnt(0)
	v_fmac_f64_e32 v[6:7], v[26:27], v[40:41]
	v_fmac_f64_e32 v[4:5], v[28:29], v[40:41]
	;; [unrolled: 1-line block ×4, first 2 shown]
	s_barrier
	s_cbranch_vccz .LBB469_12
.LBB469_6:                              ; =>This Inner Loop Header: Depth=1
	v_mov_b64_e32 v[22:23], 0
	s_and_saveexec_b64 s[12:13], s[0:1]
	s_cbranch_execz .LBB469_10
; %bb.7:                                ;   in Loop: Header=BB469_6 Depth=1
	v_add_u32_e32 v16, s10, v10
	v_cmp_gt_u64_e32 vcc, s[8:9], v[16:17]
	v_mov_b64_e32 v[22:23], 0
	s_and_saveexec_b64 s[16:17], vcc
	s_cbranch_execz .LBB469_9
; %bb.8:                                ;   in Loop: Header=BB469_6 Depth=1
	v_mad_u64_u32 v[22:23], s[18:19], s14, v16, 0
	v_mov_b32_e32 v24, v23
	v_mad_u64_u32 v[24:25], s[18:19], s15, v16, v[24:25]
	v_mov_b32_e32 v23, v24
	v_lshl_add_u64 v[22:23], v[22:23], 3, v[12:13]
	flat_load_dwordx2 v[22:23], v[22:23]
.LBB469_9:                              ;   in Loop: Header=BB469_6 Depth=1
	s_or_b64 exec, exec, s[16:17]
.LBB469_10:                             ;   in Loop: Header=BB469_6 Depth=1
	s_or_b64 exec, exec, s[12:13]
	v_add_u32_e32 v16, s10, v8
	v_cmp_gt_u64_e32 vcc, s[8:9], v[16:17]
	s_waitcnt vmcnt(0) lgkmcnt(0)
	ds_write_b64 v18, v[22:23]
	s_and_b64 s[16:17], vcc, s[2:3]
	v_mov_b64_e32 v[22:23], 0
	s_and_saveexec_b64 s[12:13], s[16:17]
	s_cbranch_execz .LBB469_5
; %bb.11:                               ;   in Loop: Header=BB469_6 Depth=1
	v_mad_u64_u32 v[22:23], s[16:17], s20, v16, 0
	v_mov_b32_e32 v24, v23
	v_mad_u64_u32 v[24:25], s[16:17], s21, v16, v[24:25]
	v_mov_b32_e32 v23, v24
	v_lshl_add_u64 v[22:23], v[22:23], 3, v[14:15]
	flat_load_dwordx2 v[22:23], v[22:23]
	s_branch .LBB469_5
.LBB469_12:
	s_lshl_b64 s[0:1], s[30:31], 3
	s_waitcnt lgkmcnt(0)
	s_add_u32 s4, s4, s0
	v_add_u32_e32 v14, s26, v11
	s_addc_u32 s5, s5, s1
	v_add_u32_e32 v8, s25, v9
	v_ashrrev_i32_e32 v9, 31, v14
	v_mad_u64_u32 v[10:11], s[0:1], s28, v14, 0
	v_mul_lo_u32 v9, s28, v9
	v_mul_lo_u32 v12, s29, v14
	v_cmp_neq_f64_e64 s[0:1], s[6:7], 0
	v_cmp_gt_i32_e64 s[2:3], s24, v14
	v_add3_u32 v11, v11, v9, v12
	v_cmp_le_i32_e32 vcc, v8, v14
	v_cndmask_b32_e64 v12, 0, 1, s[0:1]
	v_lshl_add_u64 v[10:11], v[10:11], 3, s[4:5]
	s_and_b64 s[10:11], s[2:3], vcc
	v_ashrrev_i32_e32 v9, 31, v8
	v_cmp_ne_u32_e64 s[0:1], 1, v12
	s_and_saveexec_b64 s[8:9], s[10:11]
	s_cbranch_execz .LBB469_16
; %bb.13:
	v_mul_f64 v[6:7], s[34:35], v[6:7]
	s_and_b64 vcc, exec, s[0:1]
	v_lshl_add_u64 v[12:13], v[8:9], 3, v[10:11]
	s_cbranch_vccnz .LBB469_15
; %bb.14:
	flat_load_dwordx2 v[16:17], v[12:13]
	s_waitcnt vmcnt(0) lgkmcnt(0)
	v_fmac_f64_e32 v[6:7], s[6:7], v[16:17]
.LBB469_15:
	flat_store_dwordx2 v[12:13], v[6:7]
.LBB469_16:
	s_or_b64 exec, exec, s[8:9]
	v_add_u32_e32 v6, 16, v8
	v_cmp_le_i32_e32 vcc, v6, v14
	s_and_b64 s[8:9], s[2:3], vcc
	v_ashrrev_i32_e32 v7, 31, v6
	s_and_saveexec_b64 s[2:3], s[8:9]
	s_cbranch_execz .LBB469_20
; %bb.17:
	v_mul_f64 v[4:5], s[34:35], v[4:5]
	s_and_b64 vcc, exec, s[0:1]
	v_lshl_add_u64 v[10:11], v[6:7], 3, v[10:11]
	s_cbranch_vccnz .LBB469_19
; %bb.18:
	flat_load_dwordx2 v[12:13], v[10:11]
	s_waitcnt vmcnt(0) lgkmcnt(0)
	v_fmac_f64_e32 v[4:5], s[6:7], v[12:13]
.LBB469_19:
	flat_store_dwordx2 v[10:11], v[4:5]
.LBB469_20:
	s_or_b64 exec, exec, s[2:3]
	v_add_u32_e32 v10, 16, v14
	v_ashrrev_i32_e32 v4, 31, v10
	v_mul_lo_u32 v11, s28, v4
	v_mul_lo_u32 v12, s29, v10
	v_mad_u64_u32 v[4:5], s[8:9], s28, v10, 0
	v_cmp_gt_i32_e64 s[2:3], s24, v10
	v_add3_u32 v5, v5, v11, v12
	v_cmp_le_i32_e32 vcc, v8, v10
	v_lshl_add_u64 v[4:5], v[4:5], 3, s[4:5]
	s_and_b64 s[8:9], s[2:3], vcc
	s_and_saveexec_b64 s[4:5], s[8:9]
	s_cbranch_execz .LBB469_24
; %bb.21:
	v_mul_f64 v[2:3], s[34:35], v[2:3]
	s_and_b64 vcc, exec, s[0:1]
	v_lshl_add_u64 v[8:9], v[8:9], 3, v[4:5]
	s_cbranch_vccnz .LBB469_23
; %bb.22:
	flat_load_dwordx2 v[12:13], v[8:9]
	s_waitcnt vmcnt(0) lgkmcnt(0)
	v_fmac_f64_e32 v[2:3], s[6:7], v[12:13]
.LBB469_23:
	flat_store_dwordx2 v[8:9], v[2:3]
.LBB469_24:
	s_or_b64 exec, exec, s[4:5]
	v_cmp_le_i32_e32 vcc, v6, v10
	s_and_b64 s[2:3], s[2:3], vcc
	s_and_saveexec_b64 s[4:5], s[2:3]
	s_cbranch_execz .LBB469_28
; %bb.25:
	v_mul_f64 v[0:1], s[34:35], v[0:1]
	s_and_b64 vcc, exec, s[0:1]
	v_lshl_add_u64 v[2:3], v[6:7], 3, v[4:5]
	s_cbranch_vccnz .LBB469_27
; %bb.26:
	flat_load_dwordx2 v[4:5], v[2:3]
	s_waitcnt vmcnt(0) lgkmcnt(0)
	v_fmac_f64_e32 v[0:1], s[6:7], v[4:5]
.LBB469_27:
	flat_store_dwordx2 v[2:3], v[0:1]
.LBB469_28:
	s_endpgm
	.section	.rodata,"a",@progbits
	.p2align	6, 0x0
	.amdhsa_kernel _ZL29rocblas_internal_gemmt_kernelIlLi16ELi32ELi8ELc78ELc84ELc85ELb0ELb0EdPKdPKS1_PKPdEviT_T9_T10_S7_lS9_S7_lS8_T11_S7_li
		.amdhsa_group_segment_fixed_size 4096
		.amdhsa_private_segment_fixed_size 0
		.amdhsa_kernarg_size 108
		.amdhsa_user_sgpr_count 2
		.amdhsa_user_sgpr_dispatch_ptr 0
		.amdhsa_user_sgpr_queue_ptr 0
		.amdhsa_user_sgpr_kernarg_segment_ptr 1
		.amdhsa_user_sgpr_dispatch_id 0
		.amdhsa_user_sgpr_kernarg_preload_length 0
		.amdhsa_user_sgpr_kernarg_preload_offset 0
		.amdhsa_user_sgpr_private_segment_size 0
		.amdhsa_uses_dynamic_stack 0
		.amdhsa_enable_private_segment 0
		.amdhsa_system_sgpr_workgroup_id_x 1
		.amdhsa_system_sgpr_workgroup_id_y 1
		.amdhsa_system_sgpr_workgroup_id_z 1
		.amdhsa_system_sgpr_workgroup_info 0
		.amdhsa_system_vgpr_workitem_id 1
		.amdhsa_next_free_vgpr 54
		.amdhsa_next_free_sgpr 36
		.amdhsa_accum_offset 56
		.amdhsa_reserve_vcc 1
		.amdhsa_float_round_mode_32 0
		.amdhsa_float_round_mode_16_64 0
		.amdhsa_float_denorm_mode_32 3
		.amdhsa_float_denorm_mode_16_64 3
		.amdhsa_dx10_clamp 1
		.amdhsa_ieee_mode 1
		.amdhsa_fp16_overflow 0
		.amdhsa_tg_split 0
		.amdhsa_exception_fp_ieee_invalid_op 0
		.amdhsa_exception_fp_denorm_src 0
		.amdhsa_exception_fp_ieee_div_zero 0
		.amdhsa_exception_fp_ieee_overflow 0
		.amdhsa_exception_fp_ieee_underflow 0
		.amdhsa_exception_fp_ieee_inexact 0
		.amdhsa_exception_int_div_zero 0
	.end_amdhsa_kernel
	.section	.text._ZL29rocblas_internal_gemmt_kernelIlLi16ELi32ELi8ELc78ELc84ELc85ELb0ELb0EdPKdPKS1_PKPdEviT_T9_T10_S7_lS9_S7_lS8_T11_S7_li,"axG",@progbits,_ZL29rocblas_internal_gemmt_kernelIlLi16ELi32ELi8ELc78ELc84ELc85ELb0ELb0EdPKdPKS1_PKPdEviT_T9_T10_S7_lS9_S7_lS8_T11_S7_li,comdat
.Lfunc_end469:
	.size	_ZL29rocblas_internal_gemmt_kernelIlLi16ELi32ELi8ELc78ELc84ELc85ELb0ELb0EdPKdPKS1_PKPdEviT_T9_T10_S7_lS9_S7_lS8_T11_S7_li, .Lfunc_end469-_ZL29rocblas_internal_gemmt_kernelIlLi16ELi32ELi8ELc78ELc84ELc85ELb0ELb0EdPKdPKS1_PKPdEviT_T9_T10_S7_lS9_S7_lS8_T11_S7_li
                                        ; -- End function
	.set _ZL29rocblas_internal_gemmt_kernelIlLi16ELi32ELi8ELc78ELc84ELc85ELb0ELb0EdPKdPKS1_PKPdEviT_T9_T10_S7_lS9_S7_lS8_T11_S7_li.num_vgpr, 54
	.set _ZL29rocblas_internal_gemmt_kernelIlLi16ELi32ELi8ELc78ELc84ELc85ELb0ELb0EdPKdPKS1_PKPdEviT_T9_T10_S7_lS9_S7_lS8_T11_S7_li.num_agpr, 0
	.set _ZL29rocblas_internal_gemmt_kernelIlLi16ELi32ELi8ELc78ELc84ELc85ELb0ELb0EdPKdPKS1_PKPdEviT_T9_T10_S7_lS9_S7_lS8_T11_S7_li.numbered_sgpr, 36
	.set _ZL29rocblas_internal_gemmt_kernelIlLi16ELi32ELi8ELc78ELc84ELc85ELb0ELb0EdPKdPKS1_PKPdEviT_T9_T10_S7_lS9_S7_lS8_T11_S7_li.num_named_barrier, 0
	.set _ZL29rocblas_internal_gemmt_kernelIlLi16ELi32ELi8ELc78ELc84ELc85ELb0ELb0EdPKdPKS1_PKPdEviT_T9_T10_S7_lS9_S7_lS8_T11_S7_li.private_seg_size, 0
	.set _ZL29rocblas_internal_gemmt_kernelIlLi16ELi32ELi8ELc78ELc84ELc85ELb0ELb0EdPKdPKS1_PKPdEviT_T9_T10_S7_lS9_S7_lS8_T11_S7_li.uses_vcc, 1
	.set _ZL29rocblas_internal_gemmt_kernelIlLi16ELi32ELi8ELc78ELc84ELc85ELb0ELb0EdPKdPKS1_PKPdEviT_T9_T10_S7_lS9_S7_lS8_T11_S7_li.uses_flat_scratch, 0
	.set _ZL29rocblas_internal_gemmt_kernelIlLi16ELi32ELi8ELc78ELc84ELc85ELb0ELb0EdPKdPKS1_PKPdEviT_T9_T10_S7_lS9_S7_lS8_T11_S7_li.has_dyn_sized_stack, 0
	.set _ZL29rocblas_internal_gemmt_kernelIlLi16ELi32ELi8ELc78ELc84ELc85ELb0ELb0EdPKdPKS1_PKPdEviT_T9_T10_S7_lS9_S7_lS8_T11_S7_li.has_recursion, 0
	.set _ZL29rocblas_internal_gemmt_kernelIlLi16ELi32ELi8ELc78ELc84ELc85ELb0ELb0EdPKdPKS1_PKPdEviT_T9_T10_S7_lS9_S7_lS8_T11_S7_li.has_indirect_call, 0
	.section	.AMDGPU.csdata,"",@progbits
; Kernel info:
; codeLenInByte = 1344
; TotalNumSgprs: 42
; NumVgprs: 54
; NumAgprs: 0
; TotalNumVgprs: 54
; ScratchSize: 0
; MemoryBound: 0
; FloatMode: 240
; IeeeMode: 1
; LDSByteSize: 4096 bytes/workgroup (compile time only)
; SGPRBlocks: 5
; VGPRBlocks: 6
; NumSGPRsForWavesPerEU: 42
; NumVGPRsForWavesPerEU: 54
; AccumOffset: 56
; Occupancy: 8
; WaveLimiterHint : 1
; COMPUTE_PGM_RSRC2:SCRATCH_EN: 0
; COMPUTE_PGM_RSRC2:USER_SGPR: 2
; COMPUTE_PGM_RSRC2:TRAP_HANDLER: 0
; COMPUTE_PGM_RSRC2:TGID_X_EN: 1
; COMPUTE_PGM_RSRC2:TGID_Y_EN: 1
; COMPUTE_PGM_RSRC2:TGID_Z_EN: 1
; COMPUTE_PGM_RSRC2:TIDIG_COMP_CNT: 1
; COMPUTE_PGM_RSRC3_GFX90A:ACCUM_OFFSET: 13
; COMPUTE_PGM_RSRC3_GFX90A:TG_SPLIT: 0
	.section	.text._ZL29rocblas_internal_gemmt_kernelIlLi16ELi32ELi8ELc78ELc67ELc85ELb0ELb0EdPKdPKS1_PKPdEviT_T9_T10_S7_lS9_S7_lS8_T11_S7_li,"axG",@progbits,_ZL29rocblas_internal_gemmt_kernelIlLi16ELi32ELi8ELc78ELc67ELc85ELb0ELb0EdPKdPKS1_PKPdEviT_T9_T10_S7_lS9_S7_lS8_T11_S7_li,comdat
	.globl	_ZL29rocblas_internal_gemmt_kernelIlLi16ELi32ELi8ELc78ELc67ELc85ELb0ELb0EdPKdPKS1_PKPdEviT_T9_T10_S7_lS9_S7_lS8_T11_S7_li ; -- Begin function _ZL29rocblas_internal_gemmt_kernelIlLi16ELi32ELi8ELc78ELc67ELc85ELb0ELb0EdPKdPKS1_PKPdEviT_T9_T10_S7_lS9_S7_lS8_T11_S7_li
	.p2align	8
	.type	_ZL29rocblas_internal_gemmt_kernelIlLi16ELi32ELi8ELc78ELc67ELc85ELb0ELb0EdPKdPKS1_PKPdEviT_T9_T10_S7_lS9_S7_lS8_T11_S7_li,@function
_ZL29rocblas_internal_gemmt_kernelIlLi16ELi32ELi8ELc78ELc67ELc85ELb0ELb0EdPKdPKS1_PKPdEviT_T9_T10_S7_lS9_S7_lS8_T11_S7_li: ; @_ZL29rocblas_internal_gemmt_kernelIlLi16ELi32ELi8ELc78ELc67ELc85ELb0ELb0EdPKdPKS1_PKPdEviT_T9_T10_S7_lS9_S7_lS8_T11_S7_li
; %bb.0:
	s_load_dwordx8 s[24:31], s[0:1], 0x48
	s_load_dwordx16 s[8:23], s[0:1], 0x8
	s_waitcnt lgkmcnt(0)
	s_load_dwordx2 s[6:7], s[24:25], 0x0
	s_load_dwordx2 s[34:35], s[10:11], 0x0
	s_waitcnt lgkmcnt(0)
	v_cmp_neq_f64_e64 s[10:11], s[6:7], 1.0
	s_and_b64 vcc, exec, s[10:11]
	s_cbranch_vccnz .LBB470_2
; %bb.1:
	s_cmp_lg_u64 s[8:9], 0
	s_cselect_b64 s[10:11], -1, 0
	v_cmp_neq_f64_e64 s[24:25], s[34:35], 0
	s_and_b64 s[10:11], s[10:11], s[24:25]
.LBB470_2:
	s_andn2_b64 vcc, exec, s[10:11]
	s_cbranch_vccnz .LBB470_28
; %bb.3:
	s_mov_b32 s5, 0
	s_load_dword s24, s[0:1], 0x0
	s_lshl_b64 s[0:1], s[4:5], 3
	s_add_u32 s4, s26, s0
	s_addc_u32 s5, s27, s1
	s_load_dwordx2 s[4:5], s[4:5], 0x0
	s_lshl_b32 s25, s2, 5
	s_lshl_b32 s26, s3, 5
	v_cmp_eq_f64_e64 s[2:3], s[34:35], 0
	v_cmp_lt_i64_e64 s[10:11], s[8:9], 1
	s_or_b64 s[2:3], s[2:3], s[10:11]
	v_and_b32_e32 v9, 0x3ff, v0
	v_bfe_u32 v11, v0, 10, 10
	v_mov_b64_e32 v[6:7], 0
	s_and_b64 vcc, exec, s[2:3]
	v_mov_b64_e32 v[4:5], 0
	v_mov_b64_e32 v[2:3], 0
	;; [unrolled: 1-line block ×3, first 2 shown]
	s_cbranch_vccnz .LBB470_12
; %bb.4:
	s_add_u32 s2, s18, s0
	s_addc_u32 s3, s19, s1
	s_load_dwordx2 s[2:3], s[2:3], 0x0
	s_lshl_b64 s[10:11], s[22:23], 3
	v_lshl_add_u32 v1, v11, 4, v9
	v_lshrrev_b32_e32 v10, 5, v1
	v_lshrrev_b32_e32 v4, 3, v1
	s_waitcnt lgkmcnt(0)
	s_add_u32 s10, s2, s10
	s_addc_u32 s11, s3, s11
	s_add_u32 s0, s12, s0
	s_addc_u32 s1, s13, s1
	s_load_dwordx2 s[0:1], s[0:1], 0x0
	v_and_b32_e32 v1, 31, v1
	v_and_b32_e32 v8, 7, v9
	v_or_b32_e32 v2, s25, v1
	v_lshlrev_b32_e32 v1, 3, v1
	s_lshl_b64 s[2:3], s[16:17], 3
	v_lshl_or_b32 v18, v10, 8, v1
	v_lshlrev_b32_e32 v1, 3, v8
	v_add_u32_e32 v0, s26, v4
	s_waitcnt lgkmcnt(0)
	s_add_u32 s2, s0, s2
	v_lshl_or_b32 v1, v4, 6, v1
	s_addc_u32 s3, s1, s3
	v_ashrrev_i32_e32 v3, 31, v2
	v_add_u32_e32 v19, 0x800, v1
	v_ashrrev_i32_e32 v1, 31, v0
	v_lshl_add_u64 v[12:13], v[2:3], 3, s[2:3]
	v_cmp_gt_i32_e64 s[2:3], s24, v0
	v_lshl_add_u64 v[14:15], v[0:1], 3, s[10:11]
	v_mov_b32_e32 v0, 0x800
	v_cmp_gt_i32_e64 s[0:1], s24, v2
	v_lshlrev_b32_e32 v20, 3, v9
	v_lshl_add_u32 v21, v11, 6, v0
	v_mov_b32_e32 v17, 0
	v_mov_b64_e32 v[0:1], 0
	s_mov_b64 s[10:11], 0
	v_mov_b64_e32 v[2:3], 0
	v_mov_b64_e32 v[4:5], 0
	;; [unrolled: 1-line block ×3, first 2 shown]
	s_branch .LBB470_6
.LBB470_5:                              ;   in Loop: Header=BB470_6 Depth=1
	s_or_b64 exec, exec, s[12:13]
	s_waitcnt vmcnt(0) lgkmcnt(0)
	ds_write_b64 v19, v[22:23]
	s_waitcnt lgkmcnt(0)
	s_barrier
	ds_read2_b64 v[22:25], v20 offset1:16
	ds_read_b128 v[26:29], v21
	ds_read_b128 v[30:33], v21 offset:16
	ds_read_b128 v[34:37], v21 offset:32
	ds_read_b128 v[38:41], v21 offset:48
	ds_read_b128 v[42:45], v21 offset:1024
	ds_read2_b64 v[46:49], v20 offset0:32 offset1:48
	s_waitcnt lgkmcnt(5)
	v_fmac_f64_e32 v[6:7], v[22:23], v[26:27]
	v_fmac_f64_e32 v[4:5], v[24:25], v[26:27]
	ds_read_b128 v[50:53], v21 offset:1040
	s_waitcnt lgkmcnt(2)
	v_fmac_f64_e32 v[2:3], v[22:23], v[42:43]
	v_fmac_f64_e32 v[0:1], v[24:25], v[42:43]
	ds_read2_b64 v[22:25], v20 offset0:64 offset1:80
	s_waitcnt lgkmcnt(2)
	v_fmac_f64_e32 v[6:7], v[46:47], v[28:29]
	v_fmac_f64_e32 v[4:5], v[48:49], v[28:29]
	ds_read2_b64 v[26:29], v20 offset0:96 offset1:112
	v_fmac_f64_e32 v[2:3], v[46:47], v[44:45]
	v_fmac_f64_e32 v[0:1], v[48:49], v[44:45]
	s_waitcnt lgkmcnt(1)
	v_fmac_f64_e32 v[6:7], v[22:23], v[30:31]
	v_fmac_f64_e32 v[4:5], v[24:25], v[30:31]
	ds_read_b128 v[42:45], v21 offset:1072
	v_fmac_f64_e32 v[2:3], v[22:23], v[50:51]
	v_fmac_f64_e32 v[0:1], v[24:25], v[50:51]
	s_waitcnt lgkmcnt(1)
	v_fmac_f64_e32 v[6:7], v[26:27], v[32:33]
	ds_read2_b64 v[22:25], v20 offset0:128 offset1:144
	v_fmac_f64_e32 v[4:5], v[28:29], v[32:33]
	v_fmac_f64_e32 v[2:3], v[26:27], v[52:53]
	;; [unrolled: 1-line block ×3, first 2 shown]
	ds_read_b128 v[26:29], v21 offset:1056
	ds_read2_b64 v[30:33], v20 offset0:160 offset1:176
	s_waitcnt lgkmcnt(2)
	v_fmac_f64_e32 v[6:7], v[22:23], v[34:35]
	v_fmac_f64_e32 v[4:5], v[24:25], v[34:35]
	s_add_u32 s10, s10, 8
	s_waitcnt lgkmcnt(1)
	v_fmac_f64_e32 v[2:3], v[22:23], v[26:27]
	v_fmac_f64_e32 v[0:1], v[24:25], v[26:27]
	ds_read2_b64 v[22:25], v20 offset0:192 offset1:208
	s_waitcnt lgkmcnt(1)
	v_fmac_f64_e32 v[2:3], v[30:31], v[28:29]
	v_fmac_f64_e32 v[0:1], v[32:33], v[28:29]
	ds_read2_b64 v[26:29], v20 offset0:224 offset1:240
	v_fmac_f64_e32 v[6:7], v[30:31], v[36:37]
	s_addc_u32 s11, s11, 0
	v_fmac_f64_e32 v[4:5], v[32:33], v[36:37]
	s_waitcnt lgkmcnt(1)
	v_fmac_f64_e32 v[6:7], v[22:23], v[38:39]
	v_fmac_f64_e32 v[2:3], v[22:23], v[42:43]
	v_mov_b64_e32 v[22:23], s[10:11]
	v_fmac_f64_e32 v[4:5], v[24:25], v[38:39]
	v_fmac_f64_e32 v[0:1], v[24:25], v[42:43]
	v_cmp_gt_i64_e32 vcc, s[8:9], v[22:23]
	s_waitcnt lgkmcnt(0)
	v_fmac_f64_e32 v[6:7], v[26:27], v[40:41]
	v_fmac_f64_e32 v[4:5], v[28:29], v[40:41]
	v_fmac_f64_e32 v[2:3], v[26:27], v[44:45]
	v_fmac_f64_e32 v[0:1], v[28:29], v[44:45]
	s_barrier
	s_cbranch_vccz .LBB470_12
.LBB470_6:                              ; =>This Inner Loop Header: Depth=1
	v_mov_b64_e32 v[22:23], 0
	s_and_saveexec_b64 s[12:13], s[0:1]
	s_cbranch_execz .LBB470_10
; %bb.7:                                ;   in Loop: Header=BB470_6 Depth=1
	v_add_u32_e32 v16, s10, v10
	v_cmp_gt_u64_e32 vcc, s[8:9], v[16:17]
	v_mov_b64_e32 v[22:23], 0
	s_and_saveexec_b64 s[16:17], vcc
	s_cbranch_execz .LBB470_9
; %bb.8:                                ;   in Loop: Header=BB470_6 Depth=1
	v_mad_u64_u32 v[22:23], s[18:19], s14, v16, 0
	v_mov_b32_e32 v24, v23
	v_mad_u64_u32 v[24:25], s[18:19], s15, v16, v[24:25]
	v_mov_b32_e32 v23, v24
	v_lshl_add_u64 v[22:23], v[22:23], 3, v[12:13]
	flat_load_dwordx2 v[22:23], v[22:23]
.LBB470_9:                              ;   in Loop: Header=BB470_6 Depth=1
	s_or_b64 exec, exec, s[16:17]
.LBB470_10:                             ;   in Loop: Header=BB470_6 Depth=1
	s_or_b64 exec, exec, s[12:13]
	v_add_u32_e32 v16, s10, v8
	v_cmp_gt_u64_e32 vcc, s[8:9], v[16:17]
	s_waitcnt vmcnt(0) lgkmcnt(0)
	ds_write_b64 v18, v[22:23]
	s_and_b64 s[16:17], vcc, s[2:3]
	v_mov_b64_e32 v[22:23], 0
	s_and_saveexec_b64 s[12:13], s[16:17]
	s_cbranch_execz .LBB470_5
; %bb.11:                               ;   in Loop: Header=BB470_6 Depth=1
	v_mad_u64_u32 v[22:23], s[16:17], s20, v16, 0
	v_mov_b32_e32 v24, v23
	v_mad_u64_u32 v[24:25], s[16:17], s21, v16, v[24:25]
	v_mov_b32_e32 v23, v24
	v_lshl_add_u64 v[22:23], v[22:23], 3, v[14:15]
	flat_load_dwordx2 v[22:23], v[22:23]
	s_branch .LBB470_5
.LBB470_12:
	s_lshl_b64 s[0:1], s[30:31], 3
	s_waitcnt lgkmcnt(0)
	s_add_u32 s4, s4, s0
	v_add_u32_e32 v14, s26, v11
	s_addc_u32 s5, s5, s1
	v_add_u32_e32 v8, s25, v9
	v_ashrrev_i32_e32 v9, 31, v14
	v_mad_u64_u32 v[10:11], s[0:1], s28, v14, 0
	v_mul_lo_u32 v9, s28, v9
	v_mul_lo_u32 v12, s29, v14
	v_cmp_neq_f64_e64 s[0:1], s[6:7], 0
	v_cmp_gt_i32_e64 s[2:3], s24, v14
	v_add3_u32 v11, v11, v9, v12
	v_cmp_le_i32_e32 vcc, v8, v14
	v_cndmask_b32_e64 v12, 0, 1, s[0:1]
	v_lshl_add_u64 v[10:11], v[10:11], 3, s[4:5]
	s_and_b64 s[10:11], s[2:3], vcc
	v_ashrrev_i32_e32 v9, 31, v8
	v_cmp_ne_u32_e64 s[0:1], 1, v12
	s_and_saveexec_b64 s[8:9], s[10:11]
	s_cbranch_execz .LBB470_16
; %bb.13:
	v_mul_f64 v[6:7], s[34:35], v[6:7]
	s_and_b64 vcc, exec, s[0:1]
	v_lshl_add_u64 v[12:13], v[8:9], 3, v[10:11]
	s_cbranch_vccnz .LBB470_15
; %bb.14:
	flat_load_dwordx2 v[16:17], v[12:13]
	s_waitcnt vmcnt(0) lgkmcnt(0)
	v_fmac_f64_e32 v[6:7], s[6:7], v[16:17]
.LBB470_15:
	flat_store_dwordx2 v[12:13], v[6:7]
.LBB470_16:
	s_or_b64 exec, exec, s[8:9]
	v_add_u32_e32 v6, 16, v8
	v_cmp_le_i32_e32 vcc, v6, v14
	s_and_b64 s[8:9], s[2:3], vcc
	v_ashrrev_i32_e32 v7, 31, v6
	s_and_saveexec_b64 s[2:3], s[8:9]
	s_cbranch_execz .LBB470_20
; %bb.17:
	v_mul_f64 v[4:5], s[34:35], v[4:5]
	s_and_b64 vcc, exec, s[0:1]
	v_lshl_add_u64 v[10:11], v[6:7], 3, v[10:11]
	s_cbranch_vccnz .LBB470_19
; %bb.18:
	flat_load_dwordx2 v[12:13], v[10:11]
	s_waitcnt vmcnt(0) lgkmcnt(0)
	v_fmac_f64_e32 v[4:5], s[6:7], v[12:13]
.LBB470_19:
	flat_store_dwordx2 v[10:11], v[4:5]
.LBB470_20:
	s_or_b64 exec, exec, s[2:3]
	v_add_u32_e32 v10, 16, v14
	v_ashrrev_i32_e32 v4, 31, v10
	v_mul_lo_u32 v11, s28, v4
	v_mul_lo_u32 v12, s29, v10
	v_mad_u64_u32 v[4:5], s[8:9], s28, v10, 0
	v_cmp_gt_i32_e64 s[2:3], s24, v10
	v_add3_u32 v5, v5, v11, v12
	v_cmp_le_i32_e32 vcc, v8, v10
	v_lshl_add_u64 v[4:5], v[4:5], 3, s[4:5]
	s_and_b64 s[8:9], s[2:3], vcc
	s_and_saveexec_b64 s[4:5], s[8:9]
	s_cbranch_execz .LBB470_24
; %bb.21:
	v_mul_f64 v[2:3], s[34:35], v[2:3]
	s_and_b64 vcc, exec, s[0:1]
	v_lshl_add_u64 v[8:9], v[8:9], 3, v[4:5]
	s_cbranch_vccnz .LBB470_23
; %bb.22:
	flat_load_dwordx2 v[12:13], v[8:9]
	s_waitcnt vmcnt(0) lgkmcnt(0)
	v_fmac_f64_e32 v[2:3], s[6:7], v[12:13]
.LBB470_23:
	flat_store_dwordx2 v[8:9], v[2:3]
.LBB470_24:
	s_or_b64 exec, exec, s[4:5]
	v_cmp_le_i32_e32 vcc, v6, v10
	s_and_b64 s[2:3], s[2:3], vcc
	s_and_saveexec_b64 s[4:5], s[2:3]
	s_cbranch_execz .LBB470_28
; %bb.25:
	v_mul_f64 v[0:1], s[34:35], v[0:1]
	s_and_b64 vcc, exec, s[0:1]
	v_lshl_add_u64 v[2:3], v[6:7], 3, v[4:5]
	s_cbranch_vccnz .LBB470_27
; %bb.26:
	flat_load_dwordx2 v[4:5], v[2:3]
	s_waitcnt vmcnt(0) lgkmcnt(0)
	v_fmac_f64_e32 v[0:1], s[6:7], v[4:5]
.LBB470_27:
	flat_store_dwordx2 v[2:3], v[0:1]
.LBB470_28:
	s_endpgm
	.section	.rodata,"a",@progbits
	.p2align	6, 0x0
	.amdhsa_kernel _ZL29rocblas_internal_gemmt_kernelIlLi16ELi32ELi8ELc78ELc67ELc85ELb0ELb0EdPKdPKS1_PKPdEviT_T9_T10_S7_lS9_S7_lS8_T11_S7_li
		.amdhsa_group_segment_fixed_size 4096
		.amdhsa_private_segment_fixed_size 0
		.amdhsa_kernarg_size 108
		.amdhsa_user_sgpr_count 2
		.amdhsa_user_sgpr_dispatch_ptr 0
		.amdhsa_user_sgpr_queue_ptr 0
		.amdhsa_user_sgpr_kernarg_segment_ptr 1
		.amdhsa_user_sgpr_dispatch_id 0
		.amdhsa_user_sgpr_kernarg_preload_length 0
		.amdhsa_user_sgpr_kernarg_preload_offset 0
		.amdhsa_user_sgpr_private_segment_size 0
		.amdhsa_uses_dynamic_stack 0
		.amdhsa_enable_private_segment 0
		.amdhsa_system_sgpr_workgroup_id_x 1
		.amdhsa_system_sgpr_workgroup_id_y 1
		.amdhsa_system_sgpr_workgroup_id_z 1
		.amdhsa_system_sgpr_workgroup_info 0
		.amdhsa_system_vgpr_workitem_id 1
		.amdhsa_next_free_vgpr 54
		.amdhsa_next_free_sgpr 36
		.amdhsa_accum_offset 56
		.amdhsa_reserve_vcc 1
		.amdhsa_float_round_mode_32 0
		.amdhsa_float_round_mode_16_64 0
		.amdhsa_float_denorm_mode_32 3
		.amdhsa_float_denorm_mode_16_64 3
		.amdhsa_dx10_clamp 1
		.amdhsa_ieee_mode 1
		.amdhsa_fp16_overflow 0
		.amdhsa_tg_split 0
		.amdhsa_exception_fp_ieee_invalid_op 0
		.amdhsa_exception_fp_denorm_src 0
		.amdhsa_exception_fp_ieee_div_zero 0
		.amdhsa_exception_fp_ieee_overflow 0
		.amdhsa_exception_fp_ieee_underflow 0
		.amdhsa_exception_fp_ieee_inexact 0
		.amdhsa_exception_int_div_zero 0
	.end_amdhsa_kernel
	.section	.text._ZL29rocblas_internal_gemmt_kernelIlLi16ELi32ELi8ELc78ELc67ELc85ELb0ELb0EdPKdPKS1_PKPdEviT_T9_T10_S7_lS9_S7_lS8_T11_S7_li,"axG",@progbits,_ZL29rocblas_internal_gemmt_kernelIlLi16ELi32ELi8ELc78ELc67ELc85ELb0ELb0EdPKdPKS1_PKPdEviT_T9_T10_S7_lS9_S7_lS8_T11_S7_li,comdat
.Lfunc_end470:
	.size	_ZL29rocblas_internal_gemmt_kernelIlLi16ELi32ELi8ELc78ELc67ELc85ELb0ELb0EdPKdPKS1_PKPdEviT_T9_T10_S7_lS9_S7_lS8_T11_S7_li, .Lfunc_end470-_ZL29rocblas_internal_gemmt_kernelIlLi16ELi32ELi8ELc78ELc67ELc85ELb0ELb0EdPKdPKS1_PKPdEviT_T9_T10_S7_lS9_S7_lS8_T11_S7_li
                                        ; -- End function
	.set _ZL29rocblas_internal_gemmt_kernelIlLi16ELi32ELi8ELc78ELc67ELc85ELb0ELb0EdPKdPKS1_PKPdEviT_T9_T10_S7_lS9_S7_lS8_T11_S7_li.num_vgpr, 54
	.set _ZL29rocblas_internal_gemmt_kernelIlLi16ELi32ELi8ELc78ELc67ELc85ELb0ELb0EdPKdPKS1_PKPdEviT_T9_T10_S7_lS9_S7_lS8_T11_S7_li.num_agpr, 0
	.set _ZL29rocblas_internal_gemmt_kernelIlLi16ELi32ELi8ELc78ELc67ELc85ELb0ELb0EdPKdPKS1_PKPdEviT_T9_T10_S7_lS9_S7_lS8_T11_S7_li.numbered_sgpr, 36
	.set _ZL29rocblas_internal_gemmt_kernelIlLi16ELi32ELi8ELc78ELc67ELc85ELb0ELb0EdPKdPKS1_PKPdEviT_T9_T10_S7_lS9_S7_lS8_T11_S7_li.num_named_barrier, 0
	.set _ZL29rocblas_internal_gemmt_kernelIlLi16ELi32ELi8ELc78ELc67ELc85ELb0ELb0EdPKdPKS1_PKPdEviT_T9_T10_S7_lS9_S7_lS8_T11_S7_li.private_seg_size, 0
	.set _ZL29rocblas_internal_gemmt_kernelIlLi16ELi32ELi8ELc78ELc67ELc85ELb0ELb0EdPKdPKS1_PKPdEviT_T9_T10_S7_lS9_S7_lS8_T11_S7_li.uses_vcc, 1
	.set _ZL29rocblas_internal_gemmt_kernelIlLi16ELi32ELi8ELc78ELc67ELc85ELb0ELb0EdPKdPKS1_PKPdEviT_T9_T10_S7_lS9_S7_lS8_T11_S7_li.uses_flat_scratch, 0
	.set _ZL29rocblas_internal_gemmt_kernelIlLi16ELi32ELi8ELc78ELc67ELc85ELb0ELb0EdPKdPKS1_PKPdEviT_T9_T10_S7_lS9_S7_lS8_T11_S7_li.has_dyn_sized_stack, 0
	.set _ZL29rocblas_internal_gemmt_kernelIlLi16ELi32ELi8ELc78ELc67ELc85ELb0ELb0EdPKdPKS1_PKPdEviT_T9_T10_S7_lS9_S7_lS8_T11_S7_li.has_recursion, 0
	.set _ZL29rocblas_internal_gemmt_kernelIlLi16ELi32ELi8ELc78ELc67ELc85ELb0ELb0EdPKdPKS1_PKPdEviT_T9_T10_S7_lS9_S7_lS8_T11_S7_li.has_indirect_call, 0
	.section	.AMDGPU.csdata,"",@progbits
; Kernel info:
; codeLenInByte = 1344
; TotalNumSgprs: 42
; NumVgprs: 54
; NumAgprs: 0
; TotalNumVgprs: 54
; ScratchSize: 0
; MemoryBound: 0
; FloatMode: 240
; IeeeMode: 1
; LDSByteSize: 4096 bytes/workgroup (compile time only)
; SGPRBlocks: 5
; VGPRBlocks: 6
; NumSGPRsForWavesPerEU: 42
; NumVGPRsForWavesPerEU: 54
; AccumOffset: 56
; Occupancy: 8
; WaveLimiterHint : 1
; COMPUTE_PGM_RSRC2:SCRATCH_EN: 0
; COMPUTE_PGM_RSRC2:USER_SGPR: 2
; COMPUTE_PGM_RSRC2:TRAP_HANDLER: 0
; COMPUTE_PGM_RSRC2:TGID_X_EN: 1
; COMPUTE_PGM_RSRC2:TGID_Y_EN: 1
; COMPUTE_PGM_RSRC2:TGID_Z_EN: 1
; COMPUTE_PGM_RSRC2:TIDIG_COMP_CNT: 1
; COMPUTE_PGM_RSRC3_GFX90A:ACCUM_OFFSET: 13
; COMPUTE_PGM_RSRC3_GFX90A:TG_SPLIT: 0
	.section	.text._ZL29rocblas_internal_gemmt_kernelIlLi16ELi32ELi8ELc84ELc78ELc85ELb0ELb0EdPKdPKS1_PKPdEviT_T9_T10_S7_lS9_S7_lS8_T11_S7_li,"axG",@progbits,_ZL29rocblas_internal_gemmt_kernelIlLi16ELi32ELi8ELc84ELc78ELc85ELb0ELb0EdPKdPKS1_PKPdEviT_T9_T10_S7_lS9_S7_lS8_T11_S7_li,comdat
	.globl	_ZL29rocblas_internal_gemmt_kernelIlLi16ELi32ELi8ELc84ELc78ELc85ELb0ELb0EdPKdPKS1_PKPdEviT_T9_T10_S7_lS9_S7_lS8_T11_S7_li ; -- Begin function _ZL29rocblas_internal_gemmt_kernelIlLi16ELi32ELi8ELc84ELc78ELc85ELb0ELb0EdPKdPKS1_PKPdEviT_T9_T10_S7_lS9_S7_lS8_T11_S7_li
	.p2align	8
	.type	_ZL29rocblas_internal_gemmt_kernelIlLi16ELi32ELi8ELc84ELc78ELc85ELb0ELb0EdPKdPKS1_PKPdEviT_T9_T10_S7_lS9_S7_lS8_T11_S7_li,@function
_ZL29rocblas_internal_gemmt_kernelIlLi16ELi32ELi8ELc84ELc78ELc85ELb0ELb0EdPKdPKS1_PKPdEviT_T9_T10_S7_lS9_S7_lS8_T11_S7_li: ; @_ZL29rocblas_internal_gemmt_kernelIlLi16ELi32ELi8ELc84ELc78ELc85ELb0ELb0EdPKdPKS1_PKPdEviT_T9_T10_S7_lS9_S7_lS8_T11_S7_li
; %bb.0:
	s_load_dwordx8 s[24:31], s[0:1], 0x48
	s_load_dwordx16 s[8:23], s[0:1], 0x8
	s_waitcnt lgkmcnt(0)
	s_load_dwordx2 s[6:7], s[24:25], 0x0
	s_load_dwordx2 s[34:35], s[10:11], 0x0
	s_waitcnt lgkmcnt(0)
	v_cmp_neq_f64_e64 s[10:11], s[6:7], 1.0
	s_and_b64 vcc, exec, s[10:11]
	s_cbranch_vccnz .LBB471_2
; %bb.1:
	s_cmp_lg_u64 s[8:9], 0
	s_cselect_b64 s[10:11], -1, 0
	v_cmp_neq_f64_e64 s[24:25], s[34:35], 0
	s_and_b64 s[10:11], s[10:11], s[24:25]
.LBB471_2:
	s_andn2_b64 vcc, exec, s[10:11]
	s_cbranch_vccnz .LBB471_28
; %bb.3:
	s_mov_b32 s5, 0
	s_load_dword s24, s[0:1], 0x0
	s_lshl_b64 s[0:1], s[4:5], 3
	s_add_u32 s4, s26, s0
	s_addc_u32 s5, s27, s1
	s_load_dwordx2 s[4:5], s[4:5], 0x0
	s_lshl_b32 s25, s2, 5
	s_lshl_b32 s26, s3, 5
	v_cmp_eq_f64_e64 s[2:3], s[34:35], 0
	v_cmp_lt_i64_e64 s[10:11], s[8:9], 1
	s_or_b64 s[2:3], s[2:3], s[10:11]
	v_and_b32_e32 v9, 0x3ff, v0
	v_bfe_u32 v11, v0, 10, 10
	v_mov_b64_e32 v[6:7], 0
	s_and_b64 vcc, exec, s[2:3]
	v_mov_b64_e32 v[4:5], 0
	v_mov_b64_e32 v[2:3], 0
	;; [unrolled: 1-line block ×3, first 2 shown]
	s_cbranch_vccnz .LBB471_12
; %bb.4:
	s_add_u32 s2, s18, s0
	s_addc_u32 s3, s19, s1
	s_load_dwordx2 s[2:3], s[2:3], 0x0
	s_lshl_b64 s[10:11], s[22:23], 3
	v_lshl_add_u32 v0, v11, 4, v9
	v_lshrrev_b32_e32 v10, 5, v0
	v_lshrrev_b32_e32 v2, 3, v0
	s_waitcnt lgkmcnt(0)
	s_add_u32 s10, s2, s10
	s_addc_u32 s11, s3, s11
	s_add_u32 s0, s12, s0
	s_addc_u32 s1, s13, s1
	s_load_dwordx2 s[0:1], s[0:1], 0x0
	v_and_b32_e32 v0, 31, v0
	s_lshl_b64 s[2:3], s[16:17], 3
	v_or_b32_e32 v1, s25, v0
	v_lshlrev_b32_e32 v0, 3, v0
	s_waitcnt lgkmcnt(0)
	s_add_u32 s2, s0, s2
	s_addc_u32 s3, s1, s3
	v_cmp_gt_i32_e64 s[0:1], s24, v1
	v_lshl_or_b32 v18, v10, 8, v0
	s_ashr_i32 s16, s25, 31
	v_mul_lo_u32 v4, s15, v1
	v_mad_u64_u32 v[0:1], s[12:13], s14, v1, 0
	s_mul_i32 s12, s14, s16
	v_and_b32_e32 v8, 7, v9
	v_add3_u32 v1, v1, s12, v4
	v_lshl_add_u64 v[12:13], v[0:1], 3, s[2:3]
	v_lshlrev_b32_e32 v0, 3, v8
	v_add_u32_e32 v3, s26, v2
	v_lshl_or_b32 v0, v2, 6, v0
	v_add_u32_e32 v19, 0x800, v0
	v_ashrrev_i32_e32 v0, 31, v3
	v_mul_lo_u32 v2, s20, v0
	v_mul_lo_u32 v4, s21, v3
	v_mad_u64_u32 v[0:1], s[12:13], s20, v3, 0
	v_add3_u32 v1, v1, v2, v4
	v_lshl_add_u64 v[14:15], v[0:1], 3, s[10:11]
	v_mov_b32_e32 v0, 0x800
	v_cmp_gt_i32_e64 s[2:3], s24, v3
	v_lshlrev_b32_e32 v20, 3, v9
	v_lshl_add_u32 v21, v11, 6, v0
	v_mov_b32_e32 v17, 0
	v_mov_b64_e32 v[0:1], 0
	s_mov_b64 s[10:11], 0
	v_mov_b64_e32 v[2:3], 0
	v_mov_b64_e32 v[4:5], 0
	v_mov_b64_e32 v[6:7], 0
	s_branch .LBB471_6
.LBB471_5:                              ;   in Loop: Header=BB471_6 Depth=1
	s_or_b64 exec, exec, s[12:13]
	s_waitcnt vmcnt(0) lgkmcnt(0)
	ds_write_b64 v19, v[22:23]
	s_waitcnt lgkmcnt(0)
	s_barrier
	ds_read2_b64 v[22:25], v20 offset1:16
	ds_read_b128 v[26:29], v21
	ds_read_b128 v[30:33], v21 offset:16
	ds_read_b128 v[34:37], v21 offset:32
	;; [unrolled: 1-line block ×4, first 2 shown]
	ds_read2_b64 v[46:49], v20 offset0:32 offset1:48
	s_waitcnt lgkmcnt(5)
	v_fmac_f64_e32 v[6:7], v[22:23], v[26:27]
	v_fmac_f64_e32 v[4:5], v[24:25], v[26:27]
	ds_read_b128 v[50:53], v21 offset:1040
	s_waitcnt lgkmcnt(2)
	v_fmac_f64_e32 v[2:3], v[22:23], v[42:43]
	v_fmac_f64_e32 v[0:1], v[24:25], v[42:43]
	ds_read2_b64 v[22:25], v20 offset0:64 offset1:80
	s_waitcnt lgkmcnt(2)
	v_fmac_f64_e32 v[6:7], v[46:47], v[28:29]
	v_fmac_f64_e32 v[4:5], v[48:49], v[28:29]
	ds_read2_b64 v[26:29], v20 offset0:96 offset1:112
	v_fmac_f64_e32 v[2:3], v[46:47], v[44:45]
	v_fmac_f64_e32 v[0:1], v[48:49], v[44:45]
	s_waitcnt lgkmcnt(1)
	v_fmac_f64_e32 v[6:7], v[22:23], v[30:31]
	v_fmac_f64_e32 v[4:5], v[24:25], v[30:31]
	ds_read_b128 v[42:45], v21 offset:1072
	v_fmac_f64_e32 v[2:3], v[22:23], v[50:51]
	v_fmac_f64_e32 v[0:1], v[24:25], v[50:51]
	s_waitcnt lgkmcnt(1)
	v_fmac_f64_e32 v[6:7], v[26:27], v[32:33]
	ds_read2_b64 v[22:25], v20 offset0:128 offset1:144
	v_fmac_f64_e32 v[4:5], v[28:29], v[32:33]
	v_fmac_f64_e32 v[2:3], v[26:27], v[52:53]
	v_fmac_f64_e32 v[0:1], v[28:29], v[52:53]
	ds_read_b128 v[26:29], v21 offset:1056
	ds_read2_b64 v[30:33], v20 offset0:160 offset1:176
	s_waitcnt lgkmcnt(2)
	v_fmac_f64_e32 v[6:7], v[22:23], v[34:35]
	v_fmac_f64_e32 v[4:5], v[24:25], v[34:35]
	s_add_u32 s10, s10, 8
	s_waitcnt lgkmcnt(1)
	v_fmac_f64_e32 v[2:3], v[22:23], v[26:27]
	v_fmac_f64_e32 v[0:1], v[24:25], v[26:27]
	ds_read2_b64 v[22:25], v20 offset0:192 offset1:208
	s_waitcnt lgkmcnt(1)
	v_fmac_f64_e32 v[2:3], v[30:31], v[28:29]
	v_fmac_f64_e32 v[0:1], v[32:33], v[28:29]
	ds_read2_b64 v[26:29], v20 offset0:224 offset1:240
	v_fmac_f64_e32 v[6:7], v[30:31], v[36:37]
	s_addc_u32 s11, s11, 0
	v_fmac_f64_e32 v[4:5], v[32:33], v[36:37]
	s_waitcnt lgkmcnt(1)
	v_fmac_f64_e32 v[6:7], v[22:23], v[38:39]
	v_fmac_f64_e32 v[2:3], v[22:23], v[42:43]
	v_mov_b64_e32 v[22:23], s[10:11]
	v_fmac_f64_e32 v[4:5], v[24:25], v[38:39]
	v_fmac_f64_e32 v[0:1], v[24:25], v[42:43]
	v_cmp_gt_i64_e32 vcc, s[8:9], v[22:23]
	s_waitcnt lgkmcnt(0)
	v_fmac_f64_e32 v[6:7], v[26:27], v[40:41]
	v_fmac_f64_e32 v[4:5], v[28:29], v[40:41]
	;; [unrolled: 1-line block ×4, first 2 shown]
	s_barrier
	s_cbranch_vccz .LBB471_12
.LBB471_6:                              ; =>This Inner Loop Header: Depth=1
	v_mov_b64_e32 v[22:23], 0
	s_and_saveexec_b64 s[12:13], s[0:1]
	s_cbranch_execz .LBB471_10
; %bb.7:                                ;   in Loop: Header=BB471_6 Depth=1
	v_add_u32_e32 v16, s10, v10
	v_cmp_gt_u64_e32 vcc, s[8:9], v[16:17]
	v_mov_b64_e32 v[22:23], 0
	s_and_saveexec_b64 s[14:15], vcc
	s_cbranch_execz .LBB471_9
; %bb.8:                                ;   in Loop: Header=BB471_6 Depth=1
	v_lshl_add_u64 v[22:23], v[16:17], 3, v[12:13]
	flat_load_dwordx2 v[22:23], v[22:23]
.LBB471_9:                              ;   in Loop: Header=BB471_6 Depth=1
	s_or_b64 exec, exec, s[14:15]
.LBB471_10:                             ;   in Loop: Header=BB471_6 Depth=1
	s_or_b64 exec, exec, s[12:13]
	v_add_u32_e32 v16, s10, v8
	v_cmp_gt_u64_e32 vcc, s[8:9], v[16:17]
	s_waitcnt vmcnt(0) lgkmcnt(0)
	ds_write_b64 v18, v[22:23]
	s_and_b64 s[14:15], vcc, s[2:3]
	v_mov_b64_e32 v[22:23], 0
	s_and_saveexec_b64 s[12:13], s[14:15]
	s_cbranch_execz .LBB471_5
; %bb.11:                               ;   in Loop: Header=BB471_6 Depth=1
	v_lshl_add_u64 v[22:23], v[16:17], 3, v[14:15]
	flat_load_dwordx2 v[22:23], v[22:23]
	s_branch .LBB471_5
.LBB471_12:
	s_lshl_b64 s[0:1], s[30:31], 3
	s_waitcnt lgkmcnt(0)
	s_add_u32 s4, s4, s0
	v_add_u32_e32 v14, s26, v11
	s_addc_u32 s5, s5, s1
	v_add_u32_e32 v8, s25, v9
	v_ashrrev_i32_e32 v9, 31, v14
	v_mad_u64_u32 v[10:11], s[0:1], s28, v14, 0
	v_mul_lo_u32 v9, s28, v9
	v_mul_lo_u32 v12, s29, v14
	v_cmp_neq_f64_e64 s[0:1], s[6:7], 0
	v_cmp_gt_i32_e64 s[2:3], s24, v14
	v_add3_u32 v11, v11, v9, v12
	v_cmp_le_i32_e32 vcc, v8, v14
	v_cndmask_b32_e64 v12, 0, 1, s[0:1]
	v_lshl_add_u64 v[10:11], v[10:11], 3, s[4:5]
	s_and_b64 s[10:11], s[2:3], vcc
	v_ashrrev_i32_e32 v9, 31, v8
	v_cmp_ne_u32_e64 s[0:1], 1, v12
	s_and_saveexec_b64 s[8:9], s[10:11]
	s_cbranch_execz .LBB471_16
; %bb.13:
	v_mul_f64 v[6:7], s[34:35], v[6:7]
	s_and_b64 vcc, exec, s[0:1]
	v_lshl_add_u64 v[12:13], v[8:9], 3, v[10:11]
	s_cbranch_vccnz .LBB471_15
; %bb.14:
	flat_load_dwordx2 v[16:17], v[12:13]
	s_waitcnt vmcnt(0) lgkmcnt(0)
	v_fmac_f64_e32 v[6:7], s[6:7], v[16:17]
.LBB471_15:
	flat_store_dwordx2 v[12:13], v[6:7]
.LBB471_16:
	s_or_b64 exec, exec, s[8:9]
	v_add_u32_e32 v6, 16, v8
	v_cmp_le_i32_e32 vcc, v6, v14
	s_and_b64 s[8:9], s[2:3], vcc
	v_ashrrev_i32_e32 v7, 31, v6
	s_and_saveexec_b64 s[2:3], s[8:9]
	s_cbranch_execz .LBB471_20
; %bb.17:
	v_mul_f64 v[4:5], s[34:35], v[4:5]
	s_and_b64 vcc, exec, s[0:1]
	v_lshl_add_u64 v[10:11], v[6:7], 3, v[10:11]
	s_cbranch_vccnz .LBB471_19
; %bb.18:
	flat_load_dwordx2 v[12:13], v[10:11]
	s_waitcnt vmcnt(0) lgkmcnt(0)
	v_fmac_f64_e32 v[4:5], s[6:7], v[12:13]
.LBB471_19:
	flat_store_dwordx2 v[10:11], v[4:5]
.LBB471_20:
	s_or_b64 exec, exec, s[2:3]
	v_add_u32_e32 v10, 16, v14
	v_ashrrev_i32_e32 v4, 31, v10
	v_mul_lo_u32 v11, s28, v4
	v_mul_lo_u32 v12, s29, v10
	v_mad_u64_u32 v[4:5], s[8:9], s28, v10, 0
	v_cmp_gt_i32_e64 s[2:3], s24, v10
	v_add3_u32 v5, v5, v11, v12
	v_cmp_le_i32_e32 vcc, v8, v10
	v_lshl_add_u64 v[4:5], v[4:5], 3, s[4:5]
	s_and_b64 s[8:9], s[2:3], vcc
	s_and_saveexec_b64 s[4:5], s[8:9]
	s_cbranch_execz .LBB471_24
; %bb.21:
	v_mul_f64 v[2:3], s[34:35], v[2:3]
	s_and_b64 vcc, exec, s[0:1]
	v_lshl_add_u64 v[8:9], v[8:9], 3, v[4:5]
	s_cbranch_vccnz .LBB471_23
; %bb.22:
	flat_load_dwordx2 v[12:13], v[8:9]
	s_waitcnt vmcnt(0) lgkmcnt(0)
	v_fmac_f64_e32 v[2:3], s[6:7], v[12:13]
.LBB471_23:
	flat_store_dwordx2 v[8:9], v[2:3]
.LBB471_24:
	s_or_b64 exec, exec, s[4:5]
	v_cmp_le_i32_e32 vcc, v6, v10
	s_and_b64 s[2:3], s[2:3], vcc
	s_and_saveexec_b64 s[4:5], s[2:3]
	s_cbranch_execz .LBB471_28
; %bb.25:
	v_mul_f64 v[0:1], s[34:35], v[0:1]
	s_and_b64 vcc, exec, s[0:1]
	v_lshl_add_u64 v[2:3], v[6:7], 3, v[4:5]
	s_cbranch_vccnz .LBB471_27
; %bb.26:
	flat_load_dwordx2 v[4:5], v[2:3]
	s_waitcnt vmcnt(0) lgkmcnt(0)
	v_fmac_f64_e32 v[0:1], s[6:7], v[4:5]
.LBB471_27:
	flat_store_dwordx2 v[2:3], v[0:1]
.LBB471_28:
	s_endpgm
	.section	.rodata,"a",@progbits
	.p2align	6, 0x0
	.amdhsa_kernel _ZL29rocblas_internal_gemmt_kernelIlLi16ELi32ELi8ELc84ELc78ELc85ELb0ELb0EdPKdPKS1_PKPdEviT_T9_T10_S7_lS9_S7_lS8_T11_S7_li
		.amdhsa_group_segment_fixed_size 4096
		.amdhsa_private_segment_fixed_size 0
		.amdhsa_kernarg_size 108
		.amdhsa_user_sgpr_count 2
		.amdhsa_user_sgpr_dispatch_ptr 0
		.amdhsa_user_sgpr_queue_ptr 0
		.amdhsa_user_sgpr_kernarg_segment_ptr 1
		.amdhsa_user_sgpr_dispatch_id 0
		.amdhsa_user_sgpr_kernarg_preload_length 0
		.amdhsa_user_sgpr_kernarg_preload_offset 0
		.amdhsa_user_sgpr_private_segment_size 0
		.amdhsa_uses_dynamic_stack 0
		.amdhsa_enable_private_segment 0
		.amdhsa_system_sgpr_workgroup_id_x 1
		.amdhsa_system_sgpr_workgroup_id_y 1
		.amdhsa_system_sgpr_workgroup_id_z 1
		.amdhsa_system_sgpr_workgroup_info 0
		.amdhsa_system_vgpr_workitem_id 1
		.amdhsa_next_free_vgpr 54
		.amdhsa_next_free_sgpr 36
		.amdhsa_accum_offset 56
		.amdhsa_reserve_vcc 1
		.amdhsa_float_round_mode_32 0
		.amdhsa_float_round_mode_16_64 0
		.amdhsa_float_denorm_mode_32 3
		.amdhsa_float_denorm_mode_16_64 3
		.amdhsa_dx10_clamp 1
		.amdhsa_ieee_mode 1
		.amdhsa_fp16_overflow 0
		.amdhsa_tg_split 0
		.amdhsa_exception_fp_ieee_invalid_op 0
		.amdhsa_exception_fp_denorm_src 0
		.amdhsa_exception_fp_ieee_div_zero 0
		.amdhsa_exception_fp_ieee_overflow 0
		.amdhsa_exception_fp_ieee_underflow 0
		.amdhsa_exception_fp_ieee_inexact 0
		.amdhsa_exception_int_div_zero 0
	.end_amdhsa_kernel
	.section	.text._ZL29rocblas_internal_gemmt_kernelIlLi16ELi32ELi8ELc84ELc78ELc85ELb0ELb0EdPKdPKS1_PKPdEviT_T9_T10_S7_lS9_S7_lS8_T11_S7_li,"axG",@progbits,_ZL29rocblas_internal_gemmt_kernelIlLi16ELi32ELi8ELc84ELc78ELc85ELb0ELb0EdPKdPKS1_PKPdEviT_T9_T10_S7_lS9_S7_lS8_T11_S7_li,comdat
.Lfunc_end471:
	.size	_ZL29rocblas_internal_gemmt_kernelIlLi16ELi32ELi8ELc84ELc78ELc85ELb0ELb0EdPKdPKS1_PKPdEviT_T9_T10_S7_lS9_S7_lS8_T11_S7_li, .Lfunc_end471-_ZL29rocblas_internal_gemmt_kernelIlLi16ELi32ELi8ELc84ELc78ELc85ELb0ELb0EdPKdPKS1_PKPdEviT_T9_T10_S7_lS9_S7_lS8_T11_S7_li
                                        ; -- End function
	.set _ZL29rocblas_internal_gemmt_kernelIlLi16ELi32ELi8ELc84ELc78ELc85ELb0ELb0EdPKdPKS1_PKPdEviT_T9_T10_S7_lS9_S7_lS8_T11_S7_li.num_vgpr, 54
	.set _ZL29rocblas_internal_gemmt_kernelIlLi16ELi32ELi8ELc84ELc78ELc85ELb0ELb0EdPKdPKS1_PKPdEviT_T9_T10_S7_lS9_S7_lS8_T11_S7_li.num_agpr, 0
	.set _ZL29rocblas_internal_gemmt_kernelIlLi16ELi32ELi8ELc84ELc78ELc85ELb0ELb0EdPKdPKS1_PKPdEviT_T9_T10_S7_lS9_S7_lS8_T11_S7_li.numbered_sgpr, 36
	.set _ZL29rocblas_internal_gemmt_kernelIlLi16ELi32ELi8ELc84ELc78ELc85ELb0ELb0EdPKdPKS1_PKPdEviT_T9_T10_S7_lS9_S7_lS8_T11_S7_li.num_named_barrier, 0
	.set _ZL29rocblas_internal_gemmt_kernelIlLi16ELi32ELi8ELc84ELc78ELc85ELb0ELb0EdPKdPKS1_PKPdEviT_T9_T10_S7_lS9_S7_lS8_T11_S7_li.private_seg_size, 0
	.set _ZL29rocblas_internal_gemmt_kernelIlLi16ELi32ELi8ELc84ELc78ELc85ELb0ELb0EdPKdPKS1_PKPdEviT_T9_T10_S7_lS9_S7_lS8_T11_S7_li.uses_vcc, 1
	.set _ZL29rocblas_internal_gemmt_kernelIlLi16ELi32ELi8ELc84ELc78ELc85ELb0ELb0EdPKdPKS1_PKPdEviT_T9_T10_S7_lS9_S7_lS8_T11_S7_li.uses_flat_scratch, 0
	.set _ZL29rocblas_internal_gemmt_kernelIlLi16ELi32ELi8ELc84ELc78ELc85ELb0ELb0EdPKdPKS1_PKPdEviT_T9_T10_S7_lS9_S7_lS8_T11_S7_li.has_dyn_sized_stack, 0
	.set _ZL29rocblas_internal_gemmt_kernelIlLi16ELi32ELi8ELc84ELc78ELc85ELb0ELb0EdPKdPKS1_PKPdEviT_T9_T10_S7_lS9_S7_lS8_T11_S7_li.has_recursion, 0
	.set _ZL29rocblas_internal_gemmt_kernelIlLi16ELi32ELi8ELc84ELc78ELc85ELb0ELb0EdPKdPKS1_PKPdEviT_T9_T10_S7_lS9_S7_lS8_T11_S7_li.has_indirect_call, 0
	.section	.AMDGPU.csdata,"",@progbits
; Kernel info:
; codeLenInByte = 1356
; TotalNumSgprs: 42
; NumVgprs: 54
; NumAgprs: 0
; TotalNumVgprs: 54
; ScratchSize: 0
; MemoryBound: 0
; FloatMode: 240
; IeeeMode: 1
; LDSByteSize: 4096 bytes/workgroup (compile time only)
; SGPRBlocks: 5
; VGPRBlocks: 6
; NumSGPRsForWavesPerEU: 42
; NumVGPRsForWavesPerEU: 54
; AccumOffset: 56
; Occupancy: 8
; WaveLimiterHint : 1
; COMPUTE_PGM_RSRC2:SCRATCH_EN: 0
; COMPUTE_PGM_RSRC2:USER_SGPR: 2
; COMPUTE_PGM_RSRC2:TRAP_HANDLER: 0
; COMPUTE_PGM_RSRC2:TGID_X_EN: 1
; COMPUTE_PGM_RSRC2:TGID_Y_EN: 1
; COMPUTE_PGM_RSRC2:TGID_Z_EN: 1
; COMPUTE_PGM_RSRC2:TIDIG_COMP_CNT: 1
; COMPUTE_PGM_RSRC3_GFX90A:ACCUM_OFFSET: 13
; COMPUTE_PGM_RSRC3_GFX90A:TG_SPLIT: 0
	.section	.text._ZL29rocblas_internal_gemmt_kernelIlLi16ELi32ELi8ELc84ELc84ELc85ELb0ELb0EdPKdPKS1_PKPdEviT_T9_T10_S7_lS9_S7_lS8_T11_S7_li,"axG",@progbits,_ZL29rocblas_internal_gemmt_kernelIlLi16ELi32ELi8ELc84ELc84ELc85ELb0ELb0EdPKdPKS1_PKPdEviT_T9_T10_S7_lS9_S7_lS8_T11_S7_li,comdat
	.globl	_ZL29rocblas_internal_gemmt_kernelIlLi16ELi32ELi8ELc84ELc84ELc85ELb0ELb0EdPKdPKS1_PKPdEviT_T9_T10_S7_lS9_S7_lS8_T11_S7_li ; -- Begin function _ZL29rocblas_internal_gemmt_kernelIlLi16ELi32ELi8ELc84ELc84ELc85ELb0ELb0EdPKdPKS1_PKPdEviT_T9_T10_S7_lS9_S7_lS8_T11_S7_li
	.p2align	8
	.type	_ZL29rocblas_internal_gemmt_kernelIlLi16ELi32ELi8ELc84ELc84ELc85ELb0ELb0EdPKdPKS1_PKPdEviT_T9_T10_S7_lS9_S7_lS8_T11_S7_li,@function
_ZL29rocblas_internal_gemmt_kernelIlLi16ELi32ELi8ELc84ELc84ELc85ELb0ELb0EdPKdPKS1_PKPdEviT_T9_T10_S7_lS9_S7_lS8_T11_S7_li: ; @_ZL29rocblas_internal_gemmt_kernelIlLi16ELi32ELi8ELc84ELc84ELc85ELb0ELb0EdPKdPKS1_PKPdEviT_T9_T10_S7_lS9_S7_lS8_T11_S7_li
; %bb.0:
	s_load_dwordx8 s[24:31], s[0:1], 0x48
	s_load_dwordx16 s[8:23], s[0:1], 0x8
	s_waitcnt lgkmcnt(0)
	s_load_dwordx2 s[6:7], s[24:25], 0x0
	s_load_dwordx2 s[34:35], s[10:11], 0x0
	s_waitcnt lgkmcnt(0)
	v_cmp_neq_f64_e64 s[10:11], s[6:7], 1.0
	s_and_b64 vcc, exec, s[10:11]
	s_cbranch_vccnz .LBB472_2
; %bb.1:
	s_cmp_lg_u64 s[8:9], 0
	s_cselect_b64 s[10:11], -1, 0
	v_cmp_neq_f64_e64 s[24:25], s[34:35], 0
	s_and_b64 s[10:11], s[10:11], s[24:25]
.LBB472_2:
	s_andn2_b64 vcc, exec, s[10:11]
	s_cbranch_vccnz .LBB472_28
; %bb.3:
	s_mov_b32 s5, 0
	s_load_dword s24, s[0:1], 0x0
	s_lshl_b64 s[0:1], s[4:5], 3
	s_add_u32 s4, s26, s0
	s_addc_u32 s5, s27, s1
	s_load_dwordx2 s[4:5], s[4:5], 0x0
	s_lshl_b32 s25, s2, 5
	s_lshl_b32 s26, s3, 5
	v_cmp_eq_f64_e64 s[2:3], s[34:35], 0
	v_cmp_lt_i64_e64 s[10:11], s[8:9], 1
	s_or_b64 s[2:3], s[2:3], s[10:11]
	v_and_b32_e32 v9, 0x3ff, v0
	v_bfe_u32 v11, v0, 10, 10
	v_mov_b64_e32 v[6:7], 0
	s_and_b64 vcc, exec, s[2:3]
	v_mov_b64_e32 v[4:5], 0
	v_mov_b64_e32 v[2:3], 0
	v_mov_b64_e32 v[0:1], 0
	s_cbranch_vccnz .LBB472_12
; %bb.4:
	s_add_u32 s2, s18, s0
	s_addc_u32 s3, s19, s1
	s_load_dwordx2 s[2:3], s[2:3], 0x0
	s_lshl_b64 s[10:11], s[22:23], 3
	v_lshl_add_u32 v1, v11, 4, v9
	v_lshrrev_b32_e32 v10, 5, v1
	v_lshrrev_b32_e32 v4, 3, v1
	s_waitcnt lgkmcnt(0)
	s_add_u32 s10, s2, s10
	s_addc_u32 s11, s3, s11
	s_add_u32 s0, s12, s0
	s_addc_u32 s1, s13, s1
	s_load_dwordx2 s[0:1], s[0:1], 0x0
	v_and_b32_e32 v1, 31, v1
	s_lshl_b64 s[2:3], s[16:17], 3
	v_or_b32_e32 v2, s25, v1
	v_lshlrev_b32_e32 v1, 3, v1
	s_waitcnt lgkmcnt(0)
	s_add_u32 s2, s0, s2
	s_addc_u32 s3, s1, s3
	v_cmp_gt_i32_e64 s[0:1], s24, v2
	v_lshl_or_b32 v18, v10, 8, v1
	s_ashr_i32 s16, s25, 31
	v_mul_lo_u32 v1, s15, v2
	v_mad_u64_u32 v[2:3], s[12:13], s14, v2, 0
	v_and_b32_e32 v8, 7, v9
	s_mul_i32 s12, s14, s16
	v_add3_u32 v3, v3, s12, v1
	v_lshlrev_b32_e32 v1, 3, v8
	v_add_u32_e32 v0, s26, v4
	v_lshl_or_b32 v1, v4, 6, v1
	v_add_u32_e32 v19, 0x800, v1
	v_ashrrev_i32_e32 v1, 31, v0
	v_lshl_add_u64 v[12:13], v[2:3], 3, s[2:3]
	v_cmp_gt_i32_e64 s[2:3], s24, v0
	v_lshl_add_u64 v[14:15], v[0:1], 3, s[10:11]
	v_mov_b32_e32 v0, 0x800
	v_lshlrev_b32_e32 v20, 3, v9
	v_lshl_add_u32 v21, v11, 6, v0
	v_mov_b32_e32 v17, 0
	v_mov_b64_e32 v[0:1], 0
	s_mov_b64 s[10:11], 0
	v_mov_b64_e32 v[2:3], 0
	v_mov_b64_e32 v[4:5], 0
	;; [unrolled: 1-line block ×3, first 2 shown]
	s_branch .LBB472_6
.LBB472_5:                              ;   in Loop: Header=BB472_6 Depth=1
	s_or_b64 exec, exec, s[12:13]
	s_waitcnt vmcnt(0) lgkmcnt(0)
	ds_write_b64 v19, v[22:23]
	s_waitcnt lgkmcnt(0)
	s_barrier
	ds_read2_b64 v[22:25], v20 offset1:16
	ds_read_b128 v[26:29], v21
	ds_read_b128 v[30:33], v21 offset:16
	ds_read_b128 v[34:37], v21 offset:32
	;; [unrolled: 1-line block ×4, first 2 shown]
	ds_read2_b64 v[46:49], v20 offset0:32 offset1:48
	s_waitcnt lgkmcnt(5)
	v_fmac_f64_e32 v[6:7], v[22:23], v[26:27]
	v_fmac_f64_e32 v[4:5], v[24:25], v[26:27]
	ds_read_b128 v[50:53], v21 offset:1040
	s_waitcnt lgkmcnt(2)
	v_fmac_f64_e32 v[2:3], v[22:23], v[42:43]
	v_fmac_f64_e32 v[0:1], v[24:25], v[42:43]
	ds_read2_b64 v[22:25], v20 offset0:64 offset1:80
	s_waitcnt lgkmcnt(2)
	v_fmac_f64_e32 v[6:7], v[46:47], v[28:29]
	v_fmac_f64_e32 v[4:5], v[48:49], v[28:29]
	ds_read2_b64 v[26:29], v20 offset0:96 offset1:112
	v_fmac_f64_e32 v[2:3], v[46:47], v[44:45]
	v_fmac_f64_e32 v[0:1], v[48:49], v[44:45]
	s_waitcnt lgkmcnt(1)
	v_fmac_f64_e32 v[6:7], v[22:23], v[30:31]
	v_fmac_f64_e32 v[4:5], v[24:25], v[30:31]
	ds_read_b128 v[42:45], v21 offset:1072
	v_fmac_f64_e32 v[2:3], v[22:23], v[50:51]
	v_fmac_f64_e32 v[0:1], v[24:25], v[50:51]
	s_waitcnt lgkmcnt(1)
	v_fmac_f64_e32 v[6:7], v[26:27], v[32:33]
	ds_read2_b64 v[22:25], v20 offset0:128 offset1:144
	v_fmac_f64_e32 v[4:5], v[28:29], v[32:33]
	v_fmac_f64_e32 v[2:3], v[26:27], v[52:53]
	;; [unrolled: 1-line block ×3, first 2 shown]
	ds_read_b128 v[26:29], v21 offset:1056
	ds_read2_b64 v[30:33], v20 offset0:160 offset1:176
	s_waitcnt lgkmcnt(2)
	v_fmac_f64_e32 v[6:7], v[22:23], v[34:35]
	v_fmac_f64_e32 v[4:5], v[24:25], v[34:35]
	s_add_u32 s10, s10, 8
	s_waitcnt lgkmcnt(1)
	v_fmac_f64_e32 v[2:3], v[22:23], v[26:27]
	v_fmac_f64_e32 v[0:1], v[24:25], v[26:27]
	ds_read2_b64 v[22:25], v20 offset0:192 offset1:208
	s_waitcnt lgkmcnt(1)
	v_fmac_f64_e32 v[2:3], v[30:31], v[28:29]
	v_fmac_f64_e32 v[0:1], v[32:33], v[28:29]
	ds_read2_b64 v[26:29], v20 offset0:224 offset1:240
	v_fmac_f64_e32 v[6:7], v[30:31], v[36:37]
	s_addc_u32 s11, s11, 0
	v_fmac_f64_e32 v[4:5], v[32:33], v[36:37]
	s_waitcnt lgkmcnt(1)
	v_fmac_f64_e32 v[6:7], v[22:23], v[38:39]
	v_fmac_f64_e32 v[2:3], v[22:23], v[42:43]
	v_mov_b64_e32 v[22:23], s[10:11]
	v_fmac_f64_e32 v[4:5], v[24:25], v[38:39]
	v_fmac_f64_e32 v[0:1], v[24:25], v[42:43]
	v_cmp_gt_i64_e32 vcc, s[8:9], v[22:23]
	s_waitcnt lgkmcnt(0)
	v_fmac_f64_e32 v[6:7], v[26:27], v[40:41]
	v_fmac_f64_e32 v[4:5], v[28:29], v[40:41]
	;; [unrolled: 1-line block ×4, first 2 shown]
	s_barrier
	s_cbranch_vccz .LBB472_12
.LBB472_6:                              ; =>This Inner Loop Header: Depth=1
	v_mov_b64_e32 v[22:23], 0
	s_and_saveexec_b64 s[12:13], s[0:1]
	s_cbranch_execz .LBB472_10
; %bb.7:                                ;   in Loop: Header=BB472_6 Depth=1
	v_add_u32_e32 v16, s10, v10
	v_cmp_gt_u64_e32 vcc, s[8:9], v[16:17]
	v_mov_b64_e32 v[22:23], 0
	s_and_saveexec_b64 s[14:15], vcc
	s_cbranch_execz .LBB472_9
; %bb.8:                                ;   in Loop: Header=BB472_6 Depth=1
	v_lshl_add_u64 v[22:23], v[16:17], 3, v[12:13]
	flat_load_dwordx2 v[22:23], v[22:23]
.LBB472_9:                              ;   in Loop: Header=BB472_6 Depth=1
	s_or_b64 exec, exec, s[14:15]
.LBB472_10:                             ;   in Loop: Header=BB472_6 Depth=1
	s_or_b64 exec, exec, s[12:13]
	v_add_u32_e32 v16, s10, v8
	v_cmp_gt_u64_e32 vcc, s[8:9], v[16:17]
	s_waitcnt vmcnt(0) lgkmcnt(0)
	ds_write_b64 v18, v[22:23]
	s_and_b64 s[14:15], vcc, s[2:3]
	v_mov_b64_e32 v[22:23], 0
	s_and_saveexec_b64 s[12:13], s[14:15]
	s_cbranch_execz .LBB472_5
; %bb.11:                               ;   in Loop: Header=BB472_6 Depth=1
	v_mad_u64_u32 v[22:23], s[14:15], s20, v16, 0
	v_mov_b32_e32 v24, v23
	v_mad_u64_u32 v[24:25], s[14:15], s21, v16, v[24:25]
	v_mov_b32_e32 v23, v24
	v_lshl_add_u64 v[22:23], v[22:23], 3, v[14:15]
	flat_load_dwordx2 v[22:23], v[22:23]
	s_branch .LBB472_5
.LBB472_12:
	s_lshl_b64 s[0:1], s[30:31], 3
	s_waitcnt lgkmcnt(0)
	s_add_u32 s4, s4, s0
	v_add_u32_e32 v14, s26, v11
	s_addc_u32 s5, s5, s1
	v_add_u32_e32 v8, s25, v9
	v_ashrrev_i32_e32 v9, 31, v14
	v_mad_u64_u32 v[10:11], s[0:1], s28, v14, 0
	v_mul_lo_u32 v9, s28, v9
	v_mul_lo_u32 v12, s29, v14
	v_cmp_neq_f64_e64 s[0:1], s[6:7], 0
	v_cmp_gt_i32_e64 s[2:3], s24, v14
	v_add3_u32 v11, v11, v9, v12
	v_cmp_le_i32_e32 vcc, v8, v14
	v_cndmask_b32_e64 v12, 0, 1, s[0:1]
	v_lshl_add_u64 v[10:11], v[10:11], 3, s[4:5]
	s_and_b64 s[10:11], s[2:3], vcc
	v_ashrrev_i32_e32 v9, 31, v8
	v_cmp_ne_u32_e64 s[0:1], 1, v12
	s_and_saveexec_b64 s[8:9], s[10:11]
	s_cbranch_execz .LBB472_16
; %bb.13:
	v_mul_f64 v[6:7], s[34:35], v[6:7]
	s_and_b64 vcc, exec, s[0:1]
	v_lshl_add_u64 v[12:13], v[8:9], 3, v[10:11]
	s_cbranch_vccnz .LBB472_15
; %bb.14:
	flat_load_dwordx2 v[16:17], v[12:13]
	s_waitcnt vmcnt(0) lgkmcnt(0)
	v_fmac_f64_e32 v[6:7], s[6:7], v[16:17]
.LBB472_15:
	flat_store_dwordx2 v[12:13], v[6:7]
.LBB472_16:
	s_or_b64 exec, exec, s[8:9]
	v_add_u32_e32 v6, 16, v8
	v_cmp_le_i32_e32 vcc, v6, v14
	s_and_b64 s[8:9], s[2:3], vcc
	v_ashrrev_i32_e32 v7, 31, v6
	s_and_saveexec_b64 s[2:3], s[8:9]
	s_cbranch_execz .LBB472_20
; %bb.17:
	v_mul_f64 v[4:5], s[34:35], v[4:5]
	s_and_b64 vcc, exec, s[0:1]
	v_lshl_add_u64 v[10:11], v[6:7], 3, v[10:11]
	s_cbranch_vccnz .LBB472_19
; %bb.18:
	flat_load_dwordx2 v[12:13], v[10:11]
	s_waitcnt vmcnt(0) lgkmcnt(0)
	v_fmac_f64_e32 v[4:5], s[6:7], v[12:13]
.LBB472_19:
	flat_store_dwordx2 v[10:11], v[4:5]
.LBB472_20:
	s_or_b64 exec, exec, s[2:3]
	v_add_u32_e32 v10, 16, v14
	v_ashrrev_i32_e32 v4, 31, v10
	v_mul_lo_u32 v11, s28, v4
	v_mul_lo_u32 v12, s29, v10
	v_mad_u64_u32 v[4:5], s[8:9], s28, v10, 0
	v_cmp_gt_i32_e64 s[2:3], s24, v10
	v_add3_u32 v5, v5, v11, v12
	v_cmp_le_i32_e32 vcc, v8, v10
	v_lshl_add_u64 v[4:5], v[4:5], 3, s[4:5]
	s_and_b64 s[8:9], s[2:3], vcc
	s_and_saveexec_b64 s[4:5], s[8:9]
	s_cbranch_execz .LBB472_24
; %bb.21:
	v_mul_f64 v[2:3], s[34:35], v[2:3]
	s_and_b64 vcc, exec, s[0:1]
	v_lshl_add_u64 v[8:9], v[8:9], 3, v[4:5]
	s_cbranch_vccnz .LBB472_23
; %bb.22:
	flat_load_dwordx2 v[12:13], v[8:9]
	s_waitcnt vmcnt(0) lgkmcnt(0)
	v_fmac_f64_e32 v[2:3], s[6:7], v[12:13]
.LBB472_23:
	flat_store_dwordx2 v[8:9], v[2:3]
.LBB472_24:
	s_or_b64 exec, exec, s[4:5]
	v_cmp_le_i32_e32 vcc, v6, v10
	s_and_b64 s[2:3], s[2:3], vcc
	s_and_saveexec_b64 s[4:5], s[2:3]
	s_cbranch_execz .LBB472_28
; %bb.25:
	v_mul_f64 v[0:1], s[34:35], v[0:1]
	s_and_b64 vcc, exec, s[0:1]
	v_lshl_add_u64 v[2:3], v[6:7], 3, v[4:5]
	s_cbranch_vccnz .LBB472_27
; %bb.26:
	flat_load_dwordx2 v[4:5], v[2:3]
	s_waitcnt vmcnt(0) lgkmcnt(0)
	v_fmac_f64_e32 v[0:1], s[6:7], v[4:5]
.LBB472_27:
	flat_store_dwordx2 v[2:3], v[0:1]
.LBB472_28:
	s_endpgm
	.section	.rodata,"a",@progbits
	.p2align	6, 0x0
	.amdhsa_kernel _ZL29rocblas_internal_gemmt_kernelIlLi16ELi32ELi8ELc84ELc84ELc85ELb0ELb0EdPKdPKS1_PKPdEviT_T9_T10_S7_lS9_S7_lS8_T11_S7_li
		.amdhsa_group_segment_fixed_size 4096
		.amdhsa_private_segment_fixed_size 0
		.amdhsa_kernarg_size 108
		.amdhsa_user_sgpr_count 2
		.amdhsa_user_sgpr_dispatch_ptr 0
		.amdhsa_user_sgpr_queue_ptr 0
		.amdhsa_user_sgpr_kernarg_segment_ptr 1
		.amdhsa_user_sgpr_dispatch_id 0
		.amdhsa_user_sgpr_kernarg_preload_length 0
		.amdhsa_user_sgpr_kernarg_preload_offset 0
		.amdhsa_user_sgpr_private_segment_size 0
		.amdhsa_uses_dynamic_stack 0
		.amdhsa_enable_private_segment 0
		.amdhsa_system_sgpr_workgroup_id_x 1
		.amdhsa_system_sgpr_workgroup_id_y 1
		.amdhsa_system_sgpr_workgroup_id_z 1
		.amdhsa_system_sgpr_workgroup_info 0
		.amdhsa_system_vgpr_workitem_id 1
		.amdhsa_next_free_vgpr 54
		.amdhsa_next_free_sgpr 36
		.amdhsa_accum_offset 56
		.amdhsa_reserve_vcc 1
		.amdhsa_float_round_mode_32 0
		.amdhsa_float_round_mode_16_64 0
		.amdhsa_float_denorm_mode_32 3
		.amdhsa_float_denorm_mode_16_64 3
		.amdhsa_dx10_clamp 1
		.amdhsa_ieee_mode 1
		.amdhsa_fp16_overflow 0
		.amdhsa_tg_split 0
		.amdhsa_exception_fp_ieee_invalid_op 0
		.amdhsa_exception_fp_denorm_src 0
		.amdhsa_exception_fp_ieee_div_zero 0
		.amdhsa_exception_fp_ieee_overflow 0
		.amdhsa_exception_fp_ieee_underflow 0
		.amdhsa_exception_fp_ieee_inexact 0
		.amdhsa_exception_int_div_zero 0
	.end_amdhsa_kernel
	.section	.text._ZL29rocblas_internal_gemmt_kernelIlLi16ELi32ELi8ELc84ELc84ELc85ELb0ELb0EdPKdPKS1_PKPdEviT_T9_T10_S7_lS9_S7_lS8_T11_S7_li,"axG",@progbits,_ZL29rocblas_internal_gemmt_kernelIlLi16ELi32ELi8ELc84ELc84ELc85ELb0ELb0EdPKdPKS1_PKPdEviT_T9_T10_S7_lS9_S7_lS8_T11_S7_li,comdat
.Lfunc_end472:
	.size	_ZL29rocblas_internal_gemmt_kernelIlLi16ELi32ELi8ELc84ELc84ELc85ELb0ELb0EdPKdPKS1_PKPdEviT_T9_T10_S7_lS9_S7_lS8_T11_S7_li, .Lfunc_end472-_ZL29rocblas_internal_gemmt_kernelIlLi16ELi32ELi8ELc84ELc84ELc85ELb0ELb0EdPKdPKS1_PKPdEviT_T9_T10_S7_lS9_S7_lS8_T11_S7_li
                                        ; -- End function
	.set _ZL29rocblas_internal_gemmt_kernelIlLi16ELi32ELi8ELc84ELc84ELc85ELb0ELb0EdPKdPKS1_PKPdEviT_T9_T10_S7_lS9_S7_lS8_T11_S7_li.num_vgpr, 54
	.set _ZL29rocblas_internal_gemmt_kernelIlLi16ELi32ELi8ELc84ELc84ELc85ELb0ELb0EdPKdPKS1_PKPdEviT_T9_T10_S7_lS9_S7_lS8_T11_S7_li.num_agpr, 0
	.set _ZL29rocblas_internal_gemmt_kernelIlLi16ELi32ELi8ELc84ELc84ELc85ELb0ELb0EdPKdPKS1_PKPdEviT_T9_T10_S7_lS9_S7_lS8_T11_S7_li.numbered_sgpr, 36
	.set _ZL29rocblas_internal_gemmt_kernelIlLi16ELi32ELi8ELc84ELc84ELc85ELb0ELb0EdPKdPKS1_PKPdEviT_T9_T10_S7_lS9_S7_lS8_T11_S7_li.num_named_barrier, 0
	.set _ZL29rocblas_internal_gemmt_kernelIlLi16ELi32ELi8ELc84ELc84ELc85ELb0ELb0EdPKdPKS1_PKPdEviT_T9_T10_S7_lS9_S7_lS8_T11_S7_li.private_seg_size, 0
	.set _ZL29rocblas_internal_gemmt_kernelIlLi16ELi32ELi8ELc84ELc84ELc85ELb0ELb0EdPKdPKS1_PKPdEviT_T9_T10_S7_lS9_S7_lS8_T11_S7_li.uses_vcc, 1
	.set _ZL29rocblas_internal_gemmt_kernelIlLi16ELi32ELi8ELc84ELc84ELc85ELb0ELb0EdPKdPKS1_PKPdEviT_T9_T10_S7_lS9_S7_lS8_T11_S7_li.uses_flat_scratch, 0
	.set _ZL29rocblas_internal_gemmt_kernelIlLi16ELi32ELi8ELc84ELc84ELc85ELb0ELb0EdPKdPKS1_PKPdEviT_T9_T10_S7_lS9_S7_lS8_T11_S7_li.has_dyn_sized_stack, 0
	.set _ZL29rocblas_internal_gemmt_kernelIlLi16ELi32ELi8ELc84ELc84ELc85ELb0ELb0EdPKdPKS1_PKPdEviT_T9_T10_S7_lS9_S7_lS8_T11_S7_li.has_recursion, 0
	.set _ZL29rocblas_internal_gemmt_kernelIlLi16ELi32ELi8ELc84ELc84ELc85ELb0ELb0EdPKdPKS1_PKPdEviT_T9_T10_S7_lS9_S7_lS8_T11_S7_li.has_indirect_call, 0
	.section	.AMDGPU.csdata,"",@progbits
; Kernel info:
; codeLenInByte = 1348
; TotalNumSgprs: 42
; NumVgprs: 54
; NumAgprs: 0
; TotalNumVgprs: 54
; ScratchSize: 0
; MemoryBound: 0
; FloatMode: 240
; IeeeMode: 1
; LDSByteSize: 4096 bytes/workgroup (compile time only)
; SGPRBlocks: 5
; VGPRBlocks: 6
; NumSGPRsForWavesPerEU: 42
; NumVGPRsForWavesPerEU: 54
; AccumOffset: 56
; Occupancy: 8
; WaveLimiterHint : 1
; COMPUTE_PGM_RSRC2:SCRATCH_EN: 0
; COMPUTE_PGM_RSRC2:USER_SGPR: 2
; COMPUTE_PGM_RSRC2:TRAP_HANDLER: 0
; COMPUTE_PGM_RSRC2:TGID_X_EN: 1
; COMPUTE_PGM_RSRC2:TGID_Y_EN: 1
; COMPUTE_PGM_RSRC2:TGID_Z_EN: 1
; COMPUTE_PGM_RSRC2:TIDIG_COMP_CNT: 1
; COMPUTE_PGM_RSRC3_GFX90A:ACCUM_OFFSET: 13
; COMPUTE_PGM_RSRC3_GFX90A:TG_SPLIT: 0
	.section	.text._ZL29rocblas_internal_gemmt_kernelIlLi16ELi32ELi8ELc84ELc67ELc85ELb0ELb0EdPKdPKS1_PKPdEviT_T9_T10_S7_lS9_S7_lS8_T11_S7_li,"axG",@progbits,_ZL29rocblas_internal_gemmt_kernelIlLi16ELi32ELi8ELc84ELc67ELc85ELb0ELb0EdPKdPKS1_PKPdEviT_T9_T10_S7_lS9_S7_lS8_T11_S7_li,comdat
	.globl	_ZL29rocblas_internal_gemmt_kernelIlLi16ELi32ELi8ELc84ELc67ELc85ELb0ELb0EdPKdPKS1_PKPdEviT_T9_T10_S7_lS9_S7_lS8_T11_S7_li ; -- Begin function _ZL29rocblas_internal_gemmt_kernelIlLi16ELi32ELi8ELc84ELc67ELc85ELb0ELb0EdPKdPKS1_PKPdEviT_T9_T10_S7_lS9_S7_lS8_T11_S7_li
	.p2align	8
	.type	_ZL29rocblas_internal_gemmt_kernelIlLi16ELi32ELi8ELc84ELc67ELc85ELb0ELb0EdPKdPKS1_PKPdEviT_T9_T10_S7_lS9_S7_lS8_T11_S7_li,@function
_ZL29rocblas_internal_gemmt_kernelIlLi16ELi32ELi8ELc84ELc67ELc85ELb0ELb0EdPKdPKS1_PKPdEviT_T9_T10_S7_lS9_S7_lS8_T11_S7_li: ; @_ZL29rocblas_internal_gemmt_kernelIlLi16ELi32ELi8ELc84ELc67ELc85ELb0ELb0EdPKdPKS1_PKPdEviT_T9_T10_S7_lS9_S7_lS8_T11_S7_li
; %bb.0:
	s_load_dwordx8 s[24:31], s[0:1], 0x48
	s_load_dwordx16 s[8:23], s[0:1], 0x8
	s_waitcnt lgkmcnt(0)
	s_load_dwordx2 s[6:7], s[24:25], 0x0
	s_load_dwordx2 s[34:35], s[10:11], 0x0
	s_waitcnt lgkmcnt(0)
	v_cmp_neq_f64_e64 s[10:11], s[6:7], 1.0
	s_and_b64 vcc, exec, s[10:11]
	s_cbranch_vccnz .LBB473_2
; %bb.1:
	s_cmp_lg_u64 s[8:9], 0
	s_cselect_b64 s[10:11], -1, 0
	v_cmp_neq_f64_e64 s[24:25], s[34:35], 0
	s_and_b64 s[10:11], s[10:11], s[24:25]
.LBB473_2:
	s_andn2_b64 vcc, exec, s[10:11]
	s_cbranch_vccnz .LBB473_28
; %bb.3:
	s_mov_b32 s5, 0
	s_load_dword s24, s[0:1], 0x0
	s_lshl_b64 s[0:1], s[4:5], 3
	s_add_u32 s4, s26, s0
	s_addc_u32 s5, s27, s1
	s_load_dwordx2 s[4:5], s[4:5], 0x0
	s_lshl_b32 s25, s2, 5
	s_lshl_b32 s26, s3, 5
	v_cmp_eq_f64_e64 s[2:3], s[34:35], 0
	v_cmp_lt_i64_e64 s[10:11], s[8:9], 1
	s_or_b64 s[2:3], s[2:3], s[10:11]
	v_and_b32_e32 v9, 0x3ff, v0
	v_bfe_u32 v11, v0, 10, 10
	v_mov_b64_e32 v[6:7], 0
	s_and_b64 vcc, exec, s[2:3]
	v_mov_b64_e32 v[4:5], 0
	v_mov_b64_e32 v[2:3], 0
	;; [unrolled: 1-line block ×3, first 2 shown]
	s_cbranch_vccnz .LBB473_12
; %bb.4:
	s_add_u32 s2, s18, s0
	s_addc_u32 s3, s19, s1
	s_load_dwordx2 s[2:3], s[2:3], 0x0
	s_lshl_b64 s[10:11], s[22:23], 3
	v_lshl_add_u32 v1, v11, 4, v9
	v_lshrrev_b32_e32 v10, 5, v1
	v_lshrrev_b32_e32 v4, 3, v1
	s_waitcnt lgkmcnt(0)
	s_add_u32 s10, s2, s10
	s_addc_u32 s11, s3, s11
	s_add_u32 s0, s12, s0
	s_addc_u32 s1, s13, s1
	s_load_dwordx2 s[0:1], s[0:1], 0x0
	v_and_b32_e32 v1, 31, v1
	s_lshl_b64 s[2:3], s[16:17], 3
	v_or_b32_e32 v2, s25, v1
	v_lshlrev_b32_e32 v1, 3, v1
	s_waitcnt lgkmcnt(0)
	s_add_u32 s2, s0, s2
	s_addc_u32 s3, s1, s3
	v_cmp_gt_i32_e64 s[0:1], s24, v2
	v_lshl_or_b32 v18, v10, 8, v1
	s_ashr_i32 s16, s25, 31
	v_mul_lo_u32 v1, s15, v2
	v_mad_u64_u32 v[2:3], s[12:13], s14, v2, 0
	v_and_b32_e32 v8, 7, v9
	s_mul_i32 s12, s14, s16
	v_add3_u32 v3, v3, s12, v1
	v_lshlrev_b32_e32 v1, 3, v8
	v_add_u32_e32 v0, s26, v4
	v_lshl_or_b32 v1, v4, 6, v1
	v_add_u32_e32 v19, 0x800, v1
	v_ashrrev_i32_e32 v1, 31, v0
	v_lshl_add_u64 v[12:13], v[2:3], 3, s[2:3]
	v_cmp_gt_i32_e64 s[2:3], s24, v0
	v_lshl_add_u64 v[14:15], v[0:1], 3, s[10:11]
	v_mov_b32_e32 v0, 0x800
	v_lshlrev_b32_e32 v20, 3, v9
	v_lshl_add_u32 v21, v11, 6, v0
	v_mov_b32_e32 v17, 0
	v_mov_b64_e32 v[0:1], 0
	s_mov_b64 s[10:11], 0
	v_mov_b64_e32 v[2:3], 0
	v_mov_b64_e32 v[4:5], 0
	;; [unrolled: 1-line block ×3, first 2 shown]
	s_branch .LBB473_6
.LBB473_5:                              ;   in Loop: Header=BB473_6 Depth=1
	s_or_b64 exec, exec, s[12:13]
	s_waitcnt vmcnt(0) lgkmcnt(0)
	ds_write_b64 v19, v[22:23]
	s_waitcnt lgkmcnt(0)
	s_barrier
	ds_read2_b64 v[22:25], v20 offset1:16
	ds_read_b128 v[26:29], v21
	ds_read_b128 v[30:33], v21 offset:16
	ds_read_b128 v[34:37], v21 offset:32
	;; [unrolled: 1-line block ×4, first 2 shown]
	ds_read2_b64 v[46:49], v20 offset0:32 offset1:48
	s_waitcnt lgkmcnt(5)
	v_fmac_f64_e32 v[6:7], v[22:23], v[26:27]
	v_fmac_f64_e32 v[4:5], v[24:25], v[26:27]
	ds_read_b128 v[50:53], v21 offset:1040
	s_waitcnt lgkmcnt(2)
	v_fmac_f64_e32 v[2:3], v[22:23], v[42:43]
	v_fmac_f64_e32 v[0:1], v[24:25], v[42:43]
	ds_read2_b64 v[22:25], v20 offset0:64 offset1:80
	s_waitcnt lgkmcnt(2)
	v_fmac_f64_e32 v[6:7], v[46:47], v[28:29]
	v_fmac_f64_e32 v[4:5], v[48:49], v[28:29]
	ds_read2_b64 v[26:29], v20 offset0:96 offset1:112
	v_fmac_f64_e32 v[2:3], v[46:47], v[44:45]
	v_fmac_f64_e32 v[0:1], v[48:49], v[44:45]
	s_waitcnt lgkmcnt(1)
	v_fmac_f64_e32 v[6:7], v[22:23], v[30:31]
	v_fmac_f64_e32 v[4:5], v[24:25], v[30:31]
	ds_read_b128 v[42:45], v21 offset:1072
	v_fmac_f64_e32 v[2:3], v[22:23], v[50:51]
	v_fmac_f64_e32 v[0:1], v[24:25], v[50:51]
	s_waitcnt lgkmcnt(1)
	v_fmac_f64_e32 v[6:7], v[26:27], v[32:33]
	ds_read2_b64 v[22:25], v20 offset0:128 offset1:144
	v_fmac_f64_e32 v[4:5], v[28:29], v[32:33]
	v_fmac_f64_e32 v[2:3], v[26:27], v[52:53]
	v_fmac_f64_e32 v[0:1], v[28:29], v[52:53]
	ds_read_b128 v[26:29], v21 offset:1056
	ds_read2_b64 v[30:33], v20 offset0:160 offset1:176
	s_waitcnt lgkmcnt(2)
	v_fmac_f64_e32 v[6:7], v[22:23], v[34:35]
	v_fmac_f64_e32 v[4:5], v[24:25], v[34:35]
	s_add_u32 s10, s10, 8
	s_waitcnt lgkmcnt(1)
	v_fmac_f64_e32 v[2:3], v[22:23], v[26:27]
	v_fmac_f64_e32 v[0:1], v[24:25], v[26:27]
	ds_read2_b64 v[22:25], v20 offset0:192 offset1:208
	s_waitcnt lgkmcnt(1)
	v_fmac_f64_e32 v[2:3], v[30:31], v[28:29]
	v_fmac_f64_e32 v[0:1], v[32:33], v[28:29]
	ds_read2_b64 v[26:29], v20 offset0:224 offset1:240
	v_fmac_f64_e32 v[6:7], v[30:31], v[36:37]
	s_addc_u32 s11, s11, 0
	v_fmac_f64_e32 v[4:5], v[32:33], v[36:37]
	s_waitcnt lgkmcnt(1)
	v_fmac_f64_e32 v[6:7], v[22:23], v[38:39]
	v_fmac_f64_e32 v[2:3], v[22:23], v[42:43]
	v_mov_b64_e32 v[22:23], s[10:11]
	v_fmac_f64_e32 v[4:5], v[24:25], v[38:39]
	v_fmac_f64_e32 v[0:1], v[24:25], v[42:43]
	v_cmp_gt_i64_e32 vcc, s[8:9], v[22:23]
	s_waitcnt lgkmcnt(0)
	v_fmac_f64_e32 v[6:7], v[26:27], v[40:41]
	v_fmac_f64_e32 v[4:5], v[28:29], v[40:41]
	;; [unrolled: 1-line block ×4, first 2 shown]
	s_barrier
	s_cbranch_vccz .LBB473_12
.LBB473_6:                              ; =>This Inner Loop Header: Depth=1
	v_mov_b64_e32 v[22:23], 0
	s_and_saveexec_b64 s[12:13], s[0:1]
	s_cbranch_execz .LBB473_10
; %bb.7:                                ;   in Loop: Header=BB473_6 Depth=1
	v_add_u32_e32 v16, s10, v10
	v_cmp_gt_u64_e32 vcc, s[8:9], v[16:17]
	v_mov_b64_e32 v[22:23], 0
	s_and_saveexec_b64 s[14:15], vcc
	s_cbranch_execz .LBB473_9
; %bb.8:                                ;   in Loop: Header=BB473_6 Depth=1
	v_lshl_add_u64 v[22:23], v[16:17], 3, v[12:13]
	flat_load_dwordx2 v[22:23], v[22:23]
.LBB473_9:                              ;   in Loop: Header=BB473_6 Depth=1
	s_or_b64 exec, exec, s[14:15]
.LBB473_10:                             ;   in Loop: Header=BB473_6 Depth=1
	s_or_b64 exec, exec, s[12:13]
	v_add_u32_e32 v16, s10, v8
	v_cmp_gt_u64_e32 vcc, s[8:9], v[16:17]
	s_waitcnt vmcnt(0) lgkmcnt(0)
	ds_write_b64 v18, v[22:23]
	s_and_b64 s[14:15], vcc, s[2:3]
	v_mov_b64_e32 v[22:23], 0
	s_and_saveexec_b64 s[12:13], s[14:15]
	s_cbranch_execz .LBB473_5
; %bb.11:                               ;   in Loop: Header=BB473_6 Depth=1
	v_mad_u64_u32 v[22:23], s[14:15], s20, v16, 0
	v_mov_b32_e32 v24, v23
	v_mad_u64_u32 v[24:25], s[14:15], s21, v16, v[24:25]
	v_mov_b32_e32 v23, v24
	v_lshl_add_u64 v[22:23], v[22:23], 3, v[14:15]
	flat_load_dwordx2 v[22:23], v[22:23]
	s_branch .LBB473_5
.LBB473_12:
	s_lshl_b64 s[0:1], s[30:31], 3
	s_waitcnt lgkmcnt(0)
	s_add_u32 s4, s4, s0
	v_add_u32_e32 v14, s26, v11
	s_addc_u32 s5, s5, s1
	v_add_u32_e32 v8, s25, v9
	v_ashrrev_i32_e32 v9, 31, v14
	v_mad_u64_u32 v[10:11], s[0:1], s28, v14, 0
	v_mul_lo_u32 v9, s28, v9
	v_mul_lo_u32 v12, s29, v14
	v_cmp_neq_f64_e64 s[0:1], s[6:7], 0
	v_cmp_gt_i32_e64 s[2:3], s24, v14
	v_add3_u32 v11, v11, v9, v12
	v_cmp_le_i32_e32 vcc, v8, v14
	v_cndmask_b32_e64 v12, 0, 1, s[0:1]
	v_lshl_add_u64 v[10:11], v[10:11], 3, s[4:5]
	s_and_b64 s[10:11], s[2:3], vcc
	v_ashrrev_i32_e32 v9, 31, v8
	v_cmp_ne_u32_e64 s[0:1], 1, v12
	s_and_saveexec_b64 s[8:9], s[10:11]
	s_cbranch_execz .LBB473_16
; %bb.13:
	v_mul_f64 v[6:7], s[34:35], v[6:7]
	s_and_b64 vcc, exec, s[0:1]
	v_lshl_add_u64 v[12:13], v[8:9], 3, v[10:11]
	s_cbranch_vccnz .LBB473_15
; %bb.14:
	flat_load_dwordx2 v[16:17], v[12:13]
	s_waitcnt vmcnt(0) lgkmcnt(0)
	v_fmac_f64_e32 v[6:7], s[6:7], v[16:17]
.LBB473_15:
	flat_store_dwordx2 v[12:13], v[6:7]
.LBB473_16:
	s_or_b64 exec, exec, s[8:9]
	v_add_u32_e32 v6, 16, v8
	v_cmp_le_i32_e32 vcc, v6, v14
	s_and_b64 s[8:9], s[2:3], vcc
	v_ashrrev_i32_e32 v7, 31, v6
	s_and_saveexec_b64 s[2:3], s[8:9]
	s_cbranch_execz .LBB473_20
; %bb.17:
	v_mul_f64 v[4:5], s[34:35], v[4:5]
	s_and_b64 vcc, exec, s[0:1]
	v_lshl_add_u64 v[10:11], v[6:7], 3, v[10:11]
	s_cbranch_vccnz .LBB473_19
; %bb.18:
	flat_load_dwordx2 v[12:13], v[10:11]
	s_waitcnt vmcnt(0) lgkmcnt(0)
	v_fmac_f64_e32 v[4:5], s[6:7], v[12:13]
.LBB473_19:
	flat_store_dwordx2 v[10:11], v[4:5]
.LBB473_20:
	s_or_b64 exec, exec, s[2:3]
	v_add_u32_e32 v10, 16, v14
	v_ashrrev_i32_e32 v4, 31, v10
	v_mul_lo_u32 v11, s28, v4
	v_mul_lo_u32 v12, s29, v10
	v_mad_u64_u32 v[4:5], s[8:9], s28, v10, 0
	v_cmp_gt_i32_e64 s[2:3], s24, v10
	v_add3_u32 v5, v5, v11, v12
	v_cmp_le_i32_e32 vcc, v8, v10
	v_lshl_add_u64 v[4:5], v[4:5], 3, s[4:5]
	s_and_b64 s[8:9], s[2:3], vcc
	s_and_saveexec_b64 s[4:5], s[8:9]
	s_cbranch_execz .LBB473_24
; %bb.21:
	v_mul_f64 v[2:3], s[34:35], v[2:3]
	s_and_b64 vcc, exec, s[0:1]
	v_lshl_add_u64 v[8:9], v[8:9], 3, v[4:5]
	s_cbranch_vccnz .LBB473_23
; %bb.22:
	flat_load_dwordx2 v[12:13], v[8:9]
	s_waitcnt vmcnt(0) lgkmcnt(0)
	v_fmac_f64_e32 v[2:3], s[6:7], v[12:13]
.LBB473_23:
	flat_store_dwordx2 v[8:9], v[2:3]
.LBB473_24:
	s_or_b64 exec, exec, s[4:5]
	v_cmp_le_i32_e32 vcc, v6, v10
	s_and_b64 s[2:3], s[2:3], vcc
	s_and_saveexec_b64 s[4:5], s[2:3]
	s_cbranch_execz .LBB473_28
; %bb.25:
	v_mul_f64 v[0:1], s[34:35], v[0:1]
	s_and_b64 vcc, exec, s[0:1]
	v_lshl_add_u64 v[2:3], v[6:7], 3, v[4:5]
	s_cbranch_vccnz .LBB473_27
; %bb.26:
	flat_load_dwordx2 v[4:5], v[2:3]
	s_waitcnt vmcnt(0) lgkmcnt(0)
	v_fmac_f64_e32 v[0:1], s[6:7], v[4:5]
.LBB473_27:
	flat_store_dwordx2 v[2:3], v[0:1]
.LBB473_28:
	s_endpgm
	.section	.rodata,"a",@progbits
	.p2align	6, 0x0
	.amdhsa_kernel _ZL29rocblas_internal_gemmt_kernelIlLi16ELi32ELi8ELc84ELc67ELc85ELb0ELb0EdPKdPKS1_PKPdEviT_T9_T10_S7_lS9_S7_lS8_T11_S7_li
		.amdhsa_group_segment_fixed_size 4096
		.amdhsa_private_segment_fixed_size 0
		.amdhsa_kernarg_size 108
		.amdhsa_user_sgpr_count 2
		.amdhsa_user_sgpr_dispatch_ptr 0
		.amdhsa_user_sgpr_queue_ptr 0
		.amdhsa_user_sgpr_kernarg_segment_ptr 1
		.amdhsa_user_sgpr_dispatch_id 0
		.amdhsa_user_sgpr_kernarg_preload_length 0
		.amdhsa_user_sgpr_kernarg_preload_offset 0
		.amdhsa_user_sgpr_private_segment_size 0
		.amdhsa_uses_dynamic_stack 0
		.amdhsa_enable_private_segment 0
		.amdhsa_system_sgpr_workgroup_id_x 1
		.amdhsa_system_sgpr_workgroup_id_y 1
		.amdhsa_system_sgpr_workgroup_id_z 1
		.amdhsa_system_sgpr_workgroup_info 0
		.amdhsa_system_vgpr_workitem_id 1
		.amdhsa_next_free_vgpr 54
		.amdhsa_next_free_sgpr 36
		.amdhsa_accum_offset 56
		.amdhsa_reserve_vcc 1
		.amdhsa_float_round_mode_32 0
		.amdhsa_float_round_mode_16_64 0
		.amdhsa_float_denorm_mode_32 3
		.amdhsa_float_denorm_mode_16_64 3
		.amdhsa_dx10_clamp 1
		.amdhsa_ieee_mode 1
		.amdhsa_fp16_overflow 0
		.amdhsa_tg_split 0
		.amdhsa_exception_fp_ieee_invalid_op 0
		.amdhsa_exception_fp_denorm_src 0
		.amdhsa_exception_fp_ieee_div_zero 0
		.amdhsa_exception_fp_ieee_overflow 0
		.amdhsa_exception_fp_ieee_underflow 0
		.amdhsa_exception_fp_ieee_inexact 0
		.amdhsa_exception_int_div_zero 0
	.end_amdhsa_kernel
	.section	.text._ZL29rocblas_internal_gemmt_kernelIlLi16ELi32ELi8ELc84ELc67ELc85ELb0ELb0EdPKdPKS1_PKPdEviT_T9_T10_S7_lS9_S7_lS8_T11_S7_li,"axG",@progbits,_ZL29rocblas_internal_gemmt_kernelIlLi16ELi32ELi8ELc84ELc67ELc85ELb0ELb0EdPKdPKS1_PKPdEviT_T9_T10_S7_lS9_S7_lS8_T11_S7_li,comdat
.Lfunc_end473:
	.size	_ZL29rocblas_internal_gemmt_kernelIlLi16ELi32ELi8ELc84ELc67ELc85ELb0ELb0EdPKdPKS1_PKPdEviT_T9_T10_S7_lS9_S7_lS8_T11_S7_li, .Lfunc_end473-_ZL29rocblas_internal_gemmt_kernelIlLi16ELi32ELi8ELc84ELc67ELc85ELb0ELb0EdPKdPKS1_PKPdEviT_T9_T10_S7_lS9_S7_lS8_T11_S7_li
                                        ; -- End function
	.set _ZL29rocblas_internal_gemmt_kernelIlLi16ELi32ELi8ELc84ELc67ELc85ELb0ELb0EdPKdPKS1_PKPdEviT_T9_T10_S7_lS9_S7_lS8_T11_S7_li.num_vgpr, 54
	.set _ZL29rocblas_internal_gemmt_kernelIlLi16ELi32ELi8ELc84ELc67ELc85ELb0ELb0EdPKdPKS1_PKPdEviT_T9_T10_S7_lS9_S7_lS8_T11_S7_li.num_agpr, 0
	.set _ZL29rocblas_internal_gemmt_kernelIlLi16ELi32ELi8ELc84ELc67ELc85ELb0ELb0EdPKdPKS1_PKPdEviT_T9_T10_S7_lS9_S7_lS8_T11_S7_li.numbered_sgpr, 36
	.set _ZL29rocblas_internal_gemmt_kernelIlLi16ELi32ELi8ELc84ELc67ELc85ELb0ELb0EdPKdPKS1_PKPdEviT_T9_T10_S7_lS9_S7_lS8_T11_S7_li.num_named_barrier, 0
	.set _ZL29rocblas_internal_gemmt_kernelIlLi16ELi32ELi8ELc84ELc67ELc85ELb0ELb0EdPKdPKS1_PKPdEviT_T9_T10_S7_lS9_S7_lS8_T11_S7_li.private_seg_size, 0
	.set _ZL29rocblas_internal_gemmt_kernelIlLi16ELi32ELi8ELc84ELc67ELc85ELb0ELb0EdPKdPKS1_PKPdEviT_T9_T10_S7_lS9_S7_lS8_T11_S7_li.uses_vcc, 1
	.set _ZL29rocblas_internal_gemmt_kernelIlLi16ELi32ELi8ELc84ELc67ELc85ELb0ELb0EdPKdPKS1_PKPdEviT_T9_T10_S7_lS9_S7_lS8_T11_S7_li.uses_flat_scratch, 0
	.set _ZL29rocblas_internal_gemmt_kernelIlLi16ELi32ELi8ELc84ELc67ELc85ELb0ELb0EdPKdPKS1_PKPdEviT_T9_T10_S7_lS9_S7_lS8_T11_S7_li.has_dyn_sized_stack, 0
	.set _ZL29rocblas_internal_gemmt_kernelIlLi16ELi32ELi8ELc84ELc67ELc85ELb0ELb0EdPKdPKS1_PKPdEviT_T9_T10_S7_lS9_S7_lS8_T11_S7_li.has_recursion, 0
	.set _ZL29rocblas_internal_gemmt_kernelIlLi16ELi32ELi8ELc84ELc67ELc85ELb0ELb0EdPKdPKS1_PKPdEviT_T9_T10_S7_lS9_S7_lS8_T11_S7_li.has_indirect_call, 0
	.section	.AMDGPU.csdata,"",@progbits
; Kernel info:
; codeLenInByte = 1348
; TotalNumSgprs: 42
; NumVgprs: 54
; NumAgprs: 0
; TotalNumVgprs: 54
; ScratchSize: 0
; MemoryBound: 0
; FloatMode: 240
; IeeeMode: 1
; LDSByteSize: 4096 bytes/workgroup (compile time only)
; SGPRBlocks: 5
; VGPRBlocks: 6
; NumSGPRsForWavesPerEU: 42
; NumVGPRsForWavesPerEU: 54
; AccumOffset: 56
; Occupancy: 8
; WaveLimiterHint : 1
; COMPUTE_PGM_RSRC2:SCRATCH_EN: 0
; COMPUTE_PGM_RSRC2:USER_SGPR: 2
; COMPUTE_PGM_RSRC2:TRAP_HANDLER: 0
; COMPUTE_PGM_RSRC2:TGID_X_EN: 1
; COMPUTE_PGM_RSRC2:TGID_Y_EN: 1
; COMPUTE_PGM_RSRC2:TGID_Z_EN: 1
; COMPUTE_PGM_RSRC2:TIDIG_COMP_CNT: 1
; COMPUTE_PGM_RSRC3_GFX90A:ACCUM_OFFSET: 13
; COMPUTE_PGM_RSRC3_GFX90A:TG_SPLIT: 0
	.section	.text._ZL29rocblas_internal_gemmt_kernelIlLi16ELi32ELi8ELc67ELc78ELc85ELb0ELb0EdPKdPKS1_PKPdEviT_T9_T10_S7_lS9_S7_lS8_T11_S7_li,"axG",@progbits,_ZL29rocblas_internal_gemmt_kernelIlLi16ELi32ELi8ELc67ELc78ELc85ELb0ELb0EdPKdPKS1_PKPdEviT_T9_T10_S7_lS9_S7_lS8_T11_S7_li,comdat
	.globl	_ZL29rocblas_internal_gemmt_kernelIlLi16ELi32ELi8ELc67ELc78ELc85ELb0ELb0EdPKdPKS1_PKPdEviT_T9_T10_S7_lS9_S7_lS8_T11_S7_li ; -- Begin function _ZL29rocblas_internal_gemmt_kernelIlLi16ELi32ELi8ELc67ELc78ELc85ELb0ELb0EdPKdPKS1_PKPdEviT_T9_T10_S7_lS9_S7_lS8_T11_S7_li
	.p2align	8
	.type	_ZL29rocblas_internal_gemmt_kernelIlLi16ELi32ELi8ELc67ELc78ELc85ELb0ELb0EdPKdPKS1_PKPdEviT_T9_T10_S7_lS9_S7_lS8_T11_S7_li,@function
_ZL29rocblas_internal_gemmt_kernelIlLi16ELi32ELi8ELc67ELc78ELc85ELb0ELb0EdPKdPKS1_PKPdEviT_T9_T10_S7_lS9_S7_lS8_T11_S7_li: ; @_ZL29rocblas_internal_gemmt_kernelIlLi16ELi32ELi8ELc67ELc78ELc85ELb0ELb0EdPKdPKS1_PKPdEviT_T9_T10_S7_lS9_S7_lS8_T11_S7_li
; %bb.0:
	s_load_dwordx8 s[24:31], s[0:1], 0x48
	s_load_dwordx16 s[8:23], s[0:1], 0x8
	s_waitcnt lgkmcnt(0)
	s_load_dwordx2 s[6:7], s[24:25], 0x0
	s_load_dwordx2 s[34:35], s[10:11], 0x0
	s_waitcnt lgkmcnt(0)
	v_cmp_neq_f64_e64 s[10:11], s[6:7], 1.0
	s_and_b64 vcc, exec, s[10:11]
	s_cbranch_vccnz .LBB474_2
; %bb.1:
	s_cmp_lg_u64 s[8:9], 0
	s_cselect_b64 s[10:11], -1, 0
	v_cmp_neq_f64_e64 s[24:25], s[34:35], 0
	s_and_b64 s[10:11], s[10:11], s[24:25]
.LBB474_2:
	s_andn2_b64 vcc, exec, s[10:11]
	s_cbranch_vccnz .LBB474_28
; %bb.3:
	s_mov_b32 s5, 0
	s_load_dword s24, s[0:1], 0x0
	s_lshl_b64 s[0:1], s[4:5], 3
	s_add_u32 s4, s26, s0
	s_addc_u32 s5, s27, s1
	s_load_dwordx2 s[4:5], s[4:5], 0x0
	s_lshl_b32 s25, s2, 5
	s_lshl_b32 s26, s3, 5
	v_cmp_eq_f64_e64 s[2:3], s[34:35], 0
	v_cmp_lt_i64_e64 s[10:11], s[8:9], 1
	s_or_b64 s[2:3], s[2:3], s[10:11]
	v_and_b32_e32 v9, 0x3ff, v0
	v_bfe_u32 v11, v0, 10, 10
	v_mov_b64_e32 v[6:7], 0
	s_and_b64 vcc, exec, s[2:3]
	v_mov_b64_e32 v[4:5], 0
	v_mov_b64_e32 v[2:3], 0
	;; [unrolled: 1-line block ×3, first 2 shown]
	s_cbranch_vccnz .LBB474_12
; %bb.4:
	s_add_u32 s2, s18, s0
	s_addc_u32 s3, s19, s1
	s_load_dwordx2 s[2:3], s[2:3], 0x0
	s_lshl_b64 s[10:11], s[22:23], 3
	v_lshl_add_u32 v0, v11, 4, v9
	v_lshrrev_b32_e32 v10, 5, v0
	v_lshrrev_b32_e32 v2, 3, v0
	s_waitcnt lgkmcnt(0)
	s_add_u32 s10, s2, s10
	s_addc_u32 s11, s3, s11
	s_add_u32 s0, s12, s0
	s_addc_u32 s1, s13, s1
	s_load_dwordx2 s[0:1], s[0:1], 0x0
	v_and_b32_e32 v0, 31, v0
	s_lshl_b64 s[2:3], s[16:17], 3
	v_or_b32_e32 v1, s25, v0
	v_lshlrev_b32_e32 v0, 3, v0
	s_waitcnt lgkmcnt(0)
	s_add_u32 s2, s0, s2
	s_addc_u32 s3, s1, s3
	v_cmp_gt_i32_e64 s[0:1], s24, v1
	v_lshl_or_b32 v18, v10, 8, v0
	s_ashr_i32 s16, s25, 31
	v_mul_lo_u32 v4, s15, v1
	v_mad_u64_u32 v[0:1], s[12:13], s14, v1, 0
	s_mul_i32 s12, s14, s16
	v_and_b32_e32 v8, 7, v9
	v_add3_u32 v1, v1, s12, v4
	v_lshl_add_u64 v[12:13], v[0:1], 3, s[2:3]
	v_lshlrev_b32_e32 v0, 3, v8
	v_add_u32_e32 v3, s26, v2
	v_lshl_or_b32 v0, v2, 6, v0
	v_add_u32_e32 v19, 0x800, v0
	v_ashrrev_i32_e32 v0, 31, v3
	v_mul_lo_u32 v2, s20, v0
	v_mul_lo_u32 v4, s21, v3
	v_mad_u64_u32 v[0:1], s[12:13], s20, v3, 0
	v_add3_u32 v1, v1, v2, v4
	v_lshl_add_u64 v[14:15], v[0:1], 3, s[10:11]
	v_mov_b32_e32 v0, 0x800
	v_cmp_gt_i32_e64 s[2:3], s24, v3
	v_lshlrev_b32_e32 v20, 3, v9
	v_lshl_add_u32 v21, v11, 6, v0
	v_mov_b32_e32 v17, 0
	v_mov_b64_e32 v[0:1], 0
	s_mov_b64 s[10:11], 0
	v_mov_b64_e32 v[2:3], 0
	v_mov_b64_e32 v[4:5], 0
	;; [unrolled: 1-line block ×3, first 2 shown]
	s_branch .LBB474_6
.LBB474_5:                              ;   in Loop: Header=BB474_6 Depth=1
	s_or_b64 exec, exec, s[12:13]
	s_waitcnt vmcnt(0) lgkmcnt(0)
	ds_write_b64 v19, v[22:23]
	s_waitcnt lgkmcnt(0)
	s_barrier
	ds_read2_b64 v[22:25], v20 offset1:16
	ds_read_b128 v[26:29], v21
	ds_read_b128 v[30:33], v21 offset:16
	ds_read_b128 v[34:37], v21 offset:32
	;; [unrolled: 1-line block ×4, first 2 shown]
	ds_read2_b64 v[46:49], v20 offset0:32 offset1:48
	s_waitcnt lgkmcnt(5)
	v_fmac_f64_e32 v[6:7], v[22:23], v[26:27]
	v_fmac_f64_e32 v[4:5], v[24:25], v[26:27]
	ds_read_b128 v[50:53], v21 offset:1040
	s_waitcnt lgkmcnt(2)
	v_fmac_f64_e32 v[2:3], v[22:23], v[42:43]
	v_fmac_f64_e32 v[0:1], v[24:25], v[42:43]
	ds_read2_b64 v[22:25], v20 offset0:64 offset1:80
	s_waitcnt lgkmcnt(2)
	v_fmac_f64_e32 v[6:7], v[46:47], v[28:29]
	v_fmac_f64_e32 v[4:5], v[48:49], v[28:29]
	ds_read2_b64 v[26:29], v20 offset0:96 offset1:112
	v_fmac_f64_e32 v[2:3], v[46:47], v[44:45]
	v_fmac_f64_e32 v[0:1], v[48:49], v[44:45]
	s_waitcnt lgkmcnt(1)
	v_fmac_f64_e32 v[6:7], v[22:23], v[30:31]
	v_fmac_f64_e32 v[4:5], v[24:25], v[30:31]
	ds_read_b128 v[42:45], v21 offset:1072
	v_fmac_f64_e32 v[2:3], v[22:23], v[50:51]
	v_fmac_f64_e32 v[0:1], v[24:25], v[50:51]
	s_waitcnt lgkmcnt(1)
	v_fmac_f64_e32 v[6:7], v[26:27], v[32:33]
	ds_read2_b64 v[22:25], v20 offset0:128 offset1:144
	v_fmac_f64_e32 v[4:5], v[28:29], v[32:33]
	v_fmac_f64_e32 v[2:3], v[26:27], v[52:53]
	;; [unrolled: 1-line block ×3, first 2 shown]
	ds_read_b128 v[26:29], v21 offset:1056
	ds_read2_b64 v[30:33], v20 offset0:160 offset1:176
	s_waitcnt lgkmcnt(2)
	v_fmac_f64_e32 v[6:7], v[22:23], v[34:35]
	v_fmac_f64_e32 v[4:5], v[24:25], v[34:35]
	s_add_u32 s10, s10, 8
	s_waitcnt lgkmcnt(1)
	v_fmac_f64_e32 v[2:3], v[22:23], v[26:27]
	v_fmac_f64_e32 v[0:1], v[24:25], v[26:27]
	ds_read2_b64 v[22:25], v20 offset0:192 offset1:208
	s_waitcnt lgkmcnt(1)
	v_fmac_f64_e32 v[2:3], v[30:31], v[28:29]
	v_fmac_f64_e32 v[0:1], v[32:33], v[28:29]
	ds_read2_b64 v[26:29], v20 offset0:224 offset1:240
	v_fmac_f64_e32 v[6:7], v[30:31], v[36:37]
	s_addc_u32 s11, s11, 0
	v_fmac_f64_e32 v[4:5], v[32:33], v[36:37]
	s_waitcnt lgkmcnt(1)
	v_fmac_f64_e32 v[6:7], v[22:23], v[38:39]
	v_fmac_f64_e32 v[2:3], v[22:23], v[42:43]
	v_mov_b64_e32 v[22:23], s[10:11]
	v_fmac_f64_e32 v[4:5], v[24:25], v[38:39]
	v_fmac_f64_e32 v[0:1], v[24:25], v[42:43]
	v_cmp_gt_i64_e32 vcc, s[8:9], v[22:23]
	s_waitcnt lgkmcnt(0)
	v_fmac_f64_e32 v[6:7], v[26:27], v[40:41]
	v_fmac_f64_e32 v[4:5], v[28:29], v[40:41]
	;; [unrolled: 1-line block ×4, first 2 shown]
	s_barrier
	s_cbranch_vccz .LBB474_12
.LBB474_6:                              ; =>This Inner Loop Header: Depth=1
	v_mov_b64_e32 v[22:23], 0
	s_and_saveexec_b64 s[12:13], s[0:1]
	s_cbranch_execz .LBB474_10
; %bb.7:                                ;   in Loop: Header=BB474_6 Depth=1
	v_add_u32_e32 v16, s10, v10
	v_cmp_gt_u64_e32 vcc, s[8:9], v[16:17]
	v_mov_b64_e32 v[22:23], 0
	s_and_saveexec_b64 s[14:15], vcc
	s_cbranch_execz .LBB474_9
; %bb.8:                                ;   in Loop: Header=BB474_6 Depth=1
	v_lshl_add_u64 v[22:23], v[16:17], 3, v[12:13]
	flat_load_dwordx2 v[22:23], v[22:23]
.LBB474_9:                              ;   in Loop: Header=BB474_6 Depth=1
	s_or_b64 exec, exec, s[14:15]
.LBB474_10:                             ;   in Loop: Header=BB474_6 Depth=1
	s_or_b64 exec, exec, s[12:13]
	v_add_u32_e32 v16, s10, v8
	v_cmp_gt_u64_e32 vcc, s[8:9], v[16:17]
	s_waitcnt vmcnt(0) lgkmcnt(0)
	ds_write_b64 v18, v[22:23]
	s_and_b64 s[14:15], vcc, s[2:3]
	v_mov_b64_e32 v[22:23], 0
	s_and_saveexec_b64 s[12:13], s[14:15]
	s_cbranch_execz .LBB474_5
; %bb.11:                               ;   in Loop: Header=BB474_6 Depth=1
	v_lshl_add_u64 v[22:23], v[16:17], 3, v[14:15]
	flat_load_dwordx2 v[22:23], v[22:23]
	s_branch .LBB474_5
.LBB474_12:
	s_lshl_b64 s[0:1], s[30:31], 3
	s_waitcnt lgkmcnt(0)
	s_add_u32 s4, s4, s0
	v_add_u32_e32 v14, s26, v11
	s_addc_u32 s5, s5, s1
	v_add_u32_e32 v8, s25, v9
	v_ashrrev_i32_e32 v9, 31, v14
	v_mad_u64_u32 v[10:11], s[0:1], s28, v14, 0
	v_mul_lo_u32 v9, s28, v9
	v_mul_lo_u32 v12, s29, v14
	v_cmp_neq_f64_e64 s[0:1], s[6:7], 0
	v_cmp_gt_i32_e64 s[2:3], s24, v14
	v_add3_u32 v11, v11, v9, v12
	v_cmp_le_i32_e32 vcc, v8, v14
	v_cndmask_b32_e64 v12, 0, 1, s[0:1]
	v_lshl_add_u64 v[10:11], v[10:11], 3, s[4:5]
	s_and_b64 s[10:11], s[2:3], vcc
	v_ashrrev_i32_e32 v9, 31, v8
	v_cmp_ne_u32_e64 s[0:1], 1, v12
	s_and_saveexec_b64 s[8:9], s[10:11]
	s_cbranch_execz .LBB474_16
; %bb.13:
	v_mul_f64 v[6:7], s[34:35], v[6:7]
	s_and_b64 vcc, exec, s[0:1]
	v_lshl_add_u64 v[12:13], v[8:9], 3, v[10:11]
	s_cbranch_vccnz .LBB474_15
; %bb.14:
	flat_load_dwordx2 v[16:17], v[12:13]
	s_waitcnt vmcnt(0) lgkmcnt(0)
	v_fmac_f64_e32 v[6:7], s[6:7], v[16:17]
.LBB474_15:
	flat_store_dwordx2 v[12:13], v[6:7]
.LBB474_16:
	s_or_b64 exec, exec, s[8:9]
	v_add_u32_e32 v6, 16, v8
	v_cmp_le_i32_e32 vcc, v6, v14
	s_and_b64 s[8:9], s[2:3], vcc
	v_ashrrev_i32_e32 v7, 31, v6
	s_and_saveexec_b64 s[2:3], s[8:9]
	s_cbranch_execz .LBB474_20
; %bb.17:
	v_mul_f64 v[4:5], s[34:35], v[4:5]
	s_and_b64 vcc, exec, s[0:1]
	v_lshl_add_u64 v[10:11], v[6:7], 3, v[10:11]
	s_cbranch_vccnz .LBB474_19
; %bb.18:
	flat_load_dwordx2 v[12:13], v[10:11]
	s_waitcnt vmcnt(0) lgkmcnt(0)
	v_fmac_f64_e32 v[4:5], s[6:7], v[12:13]
.LBB474_19:
	flat_store_dwordx2 v[10:11], v[4:5]
.LBB474_20:
	s_or_b64 exec, exec, s[2:3]
	v_add_u32_e32 v10, 16, v14
	v_ashrrev_i32_e32 v4, 31, v10
	v_mul_lo_u32 v11, s28, v4
	v_mul_lo_u32 v12, s29, v10
	v_mad_u64_u32 v[4:5], s[8:9], s28, v10, 0
	v_cmp_gt_i32_e64 s[2:3], s24, v10
	v_add3_u32 v5, v5, v11, v12
	v_cmp_le_i32_e32 vcc, v8, v10
	v_lshl_add_u64 v[4:5], v[4:5], 3, s[4:5]
	s_and_b64 s[8:9], s[2:3], vcc
	s_and_saveexec_b64 s[4:5], s[8:9]
	s_cbranch_execz .LBB474_24
; %bb.21:
	v_mul_f64 v[2:3], s[34:35], v[2:3]
	s_and_b64 vcc, exec, s[0:1]
	v_lshl_add_u64 v[8:9], v[8:9], 3, v[4:5]
	s_cbranch_vccnz .LBB474_23
; %bb.22:
	flat_load_dwordx2 v[12:13], v[8:9]
	s_waitcnt vmcnt(0) lgkmcnt(0)
	v_fmac_f64_e32 v[2:3], s[6:7], v[12:13]
.LBB474_23:
	flat_store_dwordx2 v[8:9], v[2:3]
.LBB474_24:
	s_or_b64 exec, exec, s[4:5]
	v_cmp_le_i32_e32 vcc, v6, v10
	s_and_b64 s[2:3], s[2:3], vcc
	s_and_saveexec_b64 s[4:5], s[2:3]
	s_cbranch_execz .LBB474_28
; %bb.25:
	v_mul_f64 v[0:1], s[34:35], v[0:1]
	s_and_b64 vcc, exec, s[0:1]
	v_lshl_add_u64 v[2:3], v[6:7], 3, v[4:5]
	s_cbranch_vccnz .LBB474_27
; %bb.26:
	flat_load_dwordx2 v[4:5], v[2:3]
	s_waitcnt vmcnt(0) lgkmcnt(0)
	v_fmac_f64_e32 v[0:1], s[6:7], v[4:5]
.LBB474_27:
	flat_store_dwordx2 v[2:3], v[0:1]
.LBB474_28:
	s_endpgm
	.section	.rodata,"a",@progbits
	.p2align	6, 0x0
	.amdhsa_kernel _ZL29rocblas_internal_gemmt_kernelIlLi16ELi32ELi8ELc67ELc78ELc85ELb0ELb0EdPKdPKS1_PKPdEviT_T9_T10_S7_lS9_S7_lS8_T11_S7_li
		.amdhsa_group_segment_fixed_size 4096
		.amdhsa_private_segment_fixed_size 0
		.amdhsa_kernarg_size 108
		.amdhsa_user_sgpr_count 2
		.amdhsa_user_sgpr_dispatch_ptr 0
		.amdhsa_user_sgpr_queue_ptr 0
		.amdhsa_user_sgpr_kernarg_segment_ptr 1
		.amdhsa_user_sgpr_dispatch_id 0
		.amdhsa_user_sgpr_kernarg_preload_length 0
		.amdhsa_user_sgpr_kernarg_preload_offset 0
		.amdhsa_user_sgpr_private_segment_size 0
		.amdhsa_uses_dynamic_stack 0
		.amdhsa_enable_private_segment 0
		.amdhsa_system_sgpr_workgroup_id_x 1
		.amdhsa_system_sgpr_workgroup_id_y 1
		.amdhsa_system_sgpr_workgroup_id_z 1
		.amdhsa_system_sgpr_workgroup_info 0
		.amdhsa_system_vgpr_workitem_id 1
		.amdhsa_next_free_vgpr 54
		.amdhsa_next_free_sgpr 36
		.amdhsa_accum_offset 56
		.amdhsa_reserve_vcc 1
		.amdhsa_float_round_mode_32 0
		.amdhsa_float_round_mode_16_64 0
		.amdhsa_float_denorm_mode_32 3
		.amdhsa_float_denorm_mode_16_64 3
		.amdhsa_dx10_clamp 1
		.amdhsa_ieee_mode 1
		.amdhsa_fp16_overflow 0
		.amdhsa_tg_split 0
		.amdhsa_exception_fp_ieee_invalid_op 0
		.amdhsa_exception_fp_denorm_src 0
		.amdhsa_exception_fp_ieee_div_zero 0
		.amdhsa_exception_fp_ieee_overflow 0
		.amdhsa_exception_fp_ieee_underflow 0
		.amdhsa_exception_fp_ieee_inexact 0
		.amdhsa_exception_int_div_zero 0
	.end_amdhsa_kernel
	.section	.text._ZL29rocblas_internal_gemmt_kernelIlLi16ELi32ELi8ELc67ELc78ELc85ELb0ELb0EdPKdPKS1_PKPdEviT_T9_T10_S7_lS9_S7_lS8_T11_S7_li,"axG",@progbits,_ZL29rocblas_internal_gemmt_kernelIlLi16ELi32ELi8ELc67ELc78ELc85ELb0ELb0EdPKdPKS1_PKPdEviT_T9_T10_S7_lS9_S7_lS8_T11_S7_li,comdat
.Lfunc_end474:
	.size	_ZL29rocblas_internal_gemmt_kernelIlLi16ELi32ELi8ELc67ELc78ELc85ELb0ELb0EdPKdPKS1_PKPdEviT_T9_T10_S7_lS9_S7_lS8_T11_S7_li, .Lfunc_end474-_ZL29rocblas_internal_gemmt_kernelIlLi16ELi32ELi8ELc67ELc78ELc85ELb0ELb0EdPKdPKS1_PKPdEviT_T9_T10_S7_lS9_S7_lS8_T11_S7_li
                                        ; -- End function
	.set _ZL29rocblas_internal_gemmt_kernelIlLi16ELi32ELi8ELc67ELc78ELc85ELb0ELb0EdPKdPKS1_PKPdEviT_T9_T10_S7_lS9_S7_lS8_T11_S7_li.num_vgpr, 54
	.set _ZL29rocblas_internal_gemmt_kernelIlLi16ELi32ELi8ELc67ELc78ELc85ELb0ELb0EdPKdPKS1_PKPdEviT_T9_T10_S7_lS9_S7_lS8_T11_S7_li.num_agpr, 0
	.set _ZL29rocblas_internal_gemmt_kernelIlLi16ELi32ELi8ELc67ELc78ELc85ELb0ELb0EdPKdPKS1_PKPdEviT_T9_T10_S7_lS9_S7_lS8_T11_S7_li.numbered_sgpr, 36
	.set _ZL29rocblas_internal_gemmt_kernelIlLi16ELi32ELi8ELc67ELc78ELc85ELb0ELb0EdPKdPKS1_PKPdEviT_T9_T10_S7_lS9_S7_lS8_T11_S7_li.num_named_barrier, 0
	.set _ZL29rocblas_internal_gemmt_kernelIlLi16ELi32ELi8ELc67ELc78ELc85ELb0ELb0EdPKdPKS1_PKPdEviT_T9_T10_S7_lS9_S7_lS8_T11_S7_li.private_seg_size, 0
	.set _ZL29rocblas_internal_gemmt_kernelIlLi16ELi32ELi8ELc67ELc78ELc85ELb0ELb0EdPKdPKS1_PKPdEviT_T9_T10_S7_lS9_S7_lS8_T11_S7_li.uses_vcc, 1
	.set _ZL29rocblas_internal_gemmt_kernelIlLi16ELi32ELi8ELc67ELc78ELc85ELb0ELb0EdPKdPKS1_PKPdEviT_T9_T10_S7_lS9_S7_lS8_T11_S7_li.uses_flat_scratch, 0
	.set _ZL29rocblas_internal_gemmt_kernelIlLi16ELi32ELi8ELc67ELc78ELc85ELb0ELb0EdPKdPKS1_PKPdEviT_T9_T10_S7_lS9_S7_lS8_T11_S7_li.has_dyn_sized_stack, 0
	.set _ZL29rocblas_internal_gemmt_kernelIlLi16ELi32ELi8ELc67ELc78ELc85ELb0ELb0EdPKdPKS1_PKPdEviT_T9_T10_S7_lS9_S7_lS8_T11_S7_li.has_recursion, 0
	.set _ZL29rocblas_internal_gemmt_kernelIlLi16ELi32ELi8ELc67ELc78ELc85ELb0ELb0EdPKdPKS1_PKPdEviT_T9_T10_S7_lS9_S7_lS8_T11_S7_li.has_indirect_call, 0
	.section	.AMDGPU.csdata,"",@progbits
; Kernel info:
; codeLenInByte = 1356
; TotalNumSgprs: 42
; NumVgprs: 54
; NumAgprs: 0
; TotalNumVgprs: 54
; ScratchSize: 0
; MemoryBound: 0
; FloatMode: 240
; IeeeMode: 1
; LDSByteSize: 4096 bytes/workgroup (compile time only)
; SGPRBlocks: 5
; VGPRBlocks: 6
; NumSGPRsForWavesPerEU: 42
; NumVGPRsForWavesPerEU: 54
; AccumOffset: 56
; Occupancy: 8
; WaveLimiterHint : 1
; COMPUTE_PGM_RSRC2:SCRATCH_EN: 0
; COMPUTE_PGM_RSRC2:USER_SGPR: 2
; COMPUTE_PGM_RSRC2:TRAP_HANDLER: 0
; COMPUTE_PGM_RSRC2:TGID_X_EN: 1
; COMPUTE_PGM_RSRC2:TGID_Y_EN: 1
; COMPUTE_PGM_RSRC2:TGID_Z_EN: 1
; COMPUTE_PGM_RSRC2:TIDIG_COMP_CNT: 1
; COMPUTE_PGM_RSRC3_GFX90A:ACCUM_OFFSET: 13
; COMPUTE_PGM_RSRC3_GFX90A:TG_SPLIT: 0
	.section	.text._ZL29rocblas_internal_gemmt_kernelIlLi16ELi32ELi8ELc67ELc84ELc85ELb0ELb0EdPKdPKS1_PKPdEviT_T9_T10_S7_lS9_S7_lS8_T11_S7_li,"axG",@progbits,_ZL29rocblas_internal_gemmt_kernelIlLi16ELi32ELi8ELc67ELc84ELc85ELb0ELb0EdPKdPKS1_PKPdEviT_T9_T10_S7_lS9_S7_lS8_T11_S7_li,comdat
	.globl	_ZL29rocblas_internal_gemmt_kernelIlLi16ELi32ELi8ELc67ELc84ELc85ELb0ELb0EdPKdPKS1_PKPdEviT_T9_T10_S7_lS9_S7_lS8_T11_S7_li ; -- Begin function _ZL29rocblas_internal_gemmt_kernelIlLi16ELi32ELi8ELc67ELc84ELc85ELb0ELb0EdPKdPKS1_PKPdEviT_T9_T10_S7_lS9_S7_lS8_T11_S7_li
	.p2align	8
	.type	_ZL29rocblas_internal_gemmt_kernelIlLi16ELi32ELi8ELc67ELc84ELc85ELb0ELb0EdPKdPKS1_PKPdEviT_T9_T10_S7_lS9_S7_lS8_T11_S7_li,@function
_ZL29rocblas_internal_gemmt_kernelIlLi16ELi32ELi8ELc67ELc84ELc85ELb0ELb0EdPKdPKS1_PKPdEviT_T9_T10_S7_lS9_S7_lS8_T11_S7_li: ; @_ZL29rocblas_internal_gemmt_kernelIlLi16ELi32ELi8ELc67ELc84ELc85ELb0ELb0EdPKdPKS1_PKPdEviT_T9_T10_S7_lS9_S7_lS8_T11_S7_li
; %bb.0:
	s_load_dwordx8 s[24:31], s[0:1], 0x48
	s_load_dwordx16 s[8:23], s[0:1], 0x8
	s_waitcnt lgkmcnt(0)
	s_load_dwordx2 s[6:7], s[24:25], 0x0
	s_load_dwordx2 s[34:35], s[10:11], 0x0
	s_waitcnt lgkmcnt(0)
	v_cmp_neq_f64_e64 s[10:11], s[6:7], 1.0
	s_and_b64 vcc, exec, s[10:11]
	s_cbranch_vccnz .LBB475_2
; %bb.1:
	s_cmp_lg_u64 s[8:9], 0
	s_cselect_b64 s[10:11], -1, 0
	v_cmp_neq_f64_e64 s[24:25], s[34:35], 0
	s_and_b64 s[10:11], s[10:11], s[24:25]
.LBB475_2:
	s_andn2_b64 vcc, exec, s[10:11]
	s_cbranch_vccnz .LBB475_28
; %bb.3:
	s_mov_b32 s5, 0
	s_load_dword s24, s[0:1], 0x0
	s_lshl_b64 s[0:1], s[4:5], 3
	s_add_u32 s4, s26, s0
	s_addc_u32 s5, s27, s1
	s_load_dwordx2 s[4:5], s[4:5], 0x0
	s_lshl_b32 s25, s2, 5
	s_lshl_b32 s26, s3, 5
	v_cmp_eq_f64_e64 s[2:3], s[34:35], 0
	v_cmp_lt_i64_e64 s[10:11], s[8:9], 1
	s_or_b64 s[2:3], s[2:3], s[10:11]
	v_and_b32_e32 v9, 0x3ff, v0
	v_bfe_u32 v11, v0, 10, 10
	v_mov_b64_e32 v[6:7], 0
	s_and_b64 vcc, exec, s[2:3]
	v_mov_b64_e32 v[4:5], 0
	v_mov_b64_e32 v[2:3], 0
	;; [unrolled: 1-line block ×3, first 2 shown]
	s_cbranch_vccnz .LBB475_12
; %bb.4:
	s_add_u32 s2, s18, s0
	s_addc_u32 s3, s19, s1
	s_load_dwordx2 s[2:3], s[2:3], 0x0
	s_lshl_b64 s[10:11], s[22:23], 3
	v_lshl_add_u32 v1, v11, 4, v9
	v_lshrrev_b32_e32 v10, 5, v1
	v_lshrrev_b32_e32 v4, 3, v1
	s_waitcnt lgkmcnt(0)
	s_add_u32 s10, s2, s10
	s_addc_u32 s11, s3, s11
	s_add_u32 s0, s12, s0
	s_addc_u32 s1, s13, s1
	s_load_dwordx2 s[0:1], s[0:1], 0x0
	v_and_b32_e32 v1, 31, v1
	s_lshl_b64 s[2:3], s[16:17], 3
	v_or_b32_e32 v2, s25, v1
	v_lshlrev_b32_e32 v1, 3, v1
	s_waitcnt lgkmcnt(0)
	s_add_u32 s2, s0, s2
	s_addc_u32 s3, s1, s3
	v_cmp_gt_i32_e64 s[0:1], s24, v2
	v_lshl_or_b32 v18, v10, 8, v1
	s_ashr_i32 s16, s25, 31
	v_mul_lo_u32 v1, s15, v2
	v_mad_u64_u32 v[2:3], s[12:13], s14, v2, 0
	v_and_b32_e32 v8, 7, v9
	s_mul_i32 s12, s14, s16
	v_add3_u32 v3, v3, s12, v1
	v_lshlrev_b32_e32 v1, 3, v8
	v_add_u32_e32 v0, s26, v4
	v_lshl_or_b32 v1, v4, 6, v1
	v_add_u32_e32 v19, 0x800, v1
	v_ashrrev_i32_e32 v1, 31, v0
	v_lshl_add_u64 v[12:13], v[2:3], 3, s[2:3]
	v_cmp_gt_i32_e64 s[2:3], s24, v0
	v_lshl_add_u64 v[14:15], v[0:1], 3, s[10:11]
	v_mov_b32_e32 v0, 0x800
	v_lshlrev_b32_e32 v20, 3, v9
	v_lshl_add_u32 v21, v11, 6, v0
	v_mov_b32_e32 v17, 0
	v_mov_b64_e32 v[0:1], 0
	s_mov_b64 s[10:11], 0
	v_mov_b64_e32 v[2:3], 0
	v_mov_b64_e32 v[4:5], 0
	;; [unrolled: 1-line block ×3, first 2 shown]
	s_branch .LBB475_6
.LBB475_5:                              ;   in Loop: Header=BB475_6 Depth=1
	s_or_b64 exec, exec, s[12:13]
	s_waitcnt vmcnt(0) lgkmcnt(0)
	ds_write_b64 v19, v[22:23]
	s_waitcnt lgkmcnt(0)
	s_barrier
	ds_read2_b64 v[22:25], v20 offset1:16
	ds_read_b128 v[26:29], v21
	ds_read_b128 v[30:33], v21 offset:16
	ds_read_b128 v[34:37], v21 offset:32
	ds_read_b128 v[38:41], v21 offset:48
	ds_read_b128 v[42:45], v21 offset:1024
	ds_read2_b64 v[46:49], v20 offset0:32 offset1:48
	s_waitcnt lgkmcnt(5)
	v_fmac_f64_e32 v[6:7], v[22:23], v[26:27]
	v_fmac_f64_e32 v[4:5], v[24:25], v[26:27]
	ds_read_b128 v[50:53], v21 offset:1040
	s_waitcnt lgkmcnt(2)
	v_fmac_f64_e32 v[2:3], v[22:23], v[42:43]
	v_fmac_f64_e32 v[0:1], v[24:25], v[42:43]
	ds_read2_b64 v[22:25], v20 offset0:64 offset1:80
	s_waitcnt lgkmcnt(2)
	v_fmac_f64_e32 v[6:7], v[46:47], v[28:29]
	v_fmac_f64_e32 v[4:5], v[48:49], v[28:29]
	ds_read2_b64 v[26:29], v20 offset0:96 offset1:112
	v_fmac_f64_e32 v[2:3], v[46:47], v[44:45]
	v_fmac_f64_e32 v[0:1], v[48:49], v[44:45]
	s_waitcnt lgkmcnt(1)
	v_fmac_f64_e32 v[6:7], v[22:23], v[30:31]
	v_fmac_f64_e32 v[4:5], v[24:25], v[30:31]
	ds_read_b128 v[42:45], v21 offset:1072
	v_fmac_f64_e32 v[2:3], v[22:23], v[50:51]
	v_fmac_f64_e32 v[0:1], v[24:25], v[50:51]
	s_waitcnt lgkmcnt(1)
	v_fmac_f64_e32 v[6:7], v[26:27], v[32:33]
	ds_read2_b64 v[22:25], v20 offset0:128 offset1:144
	v_fmac_f64_e32 v[4:5], v[28:29], v[32:33]
	v_fmac_f64_e32 v[2:3], v[26:27], v[52:53]
	;; [unrolled: 1-line block ×3, first 2 shown]
	ds_read_b128 v[26:29], v21 offset:1056
	ds_read2_b64 v[30:33], v20 offset0:160 offset1:176
	s_waitcnt lgkmcnt(2)
	v_fmac_f64_e32 v[6:7], v[22:23], v[34:35]
	v_fmac_f64_e32 v[4:5], v[24:25], v[34:35]
	s_add_u32 s10, s10, 8
	s_waitcnt lgkmcnt(1)
	v_fmac_f64_e32 v[2:3], v[22:23], v[26:27]
	v_fmac_f64_e32 v[0:1], v[24:25], v[26:27]
	ds_read2_b64 v[22:25], v20 offset0:192 offset1:208
	s_waitcnt lgkmcnt(1)
	v_fmac_f64_e32 v[2:3], v[30:31], v[28:29]
	v_fmac_f64_e32 v[0:1], v[32:33], v[28:29]
	ds_read2_b64 v[26:29], v20 offset0:224 offset1:240
	v_fmac_f64_e32 v[6:7], v[30:31], v[36:37]
	s_addc_u32 s11, s11, 0
	v_fmac_f64_e32 v[4:5], v[32:33], v[36:37]
	s_waitcnt lgkmcnt(1)
	v_fmac_f64_e32 v[6:7], v[22:23], v[38:39]
	v_fmac_f64_e32 v[2:3], v[22:23], v[42:43]
	v_mov_b64_e32 v[22:23], s[10:11]
	v_fmac_f64_e32 v[4:5], v[24:25], v[38:39]
	v_fmac_f64_e32 v[0:1], v[24:25], v[42:43]
	v_cmp_gt_i64_e32 vcc, s[8:9], v[22:23]
	s_waitcnt lgkmcnt(0)
	v_fmac_f64_e32 v[6:7], v[26:27], v[40:41]
	v_fmac_f64_e32 v[4:5], v[28:29], v[40:41]
	;; [unrolled: 1-line block ×4, first 2 shown]
	s_barrier
	s_cbranch_vccz .LBB475_12
.LBB475_6:                              ; =>This Inner Loop Header: Depth=1
	v_mov_b64_e32 v[22:23], 0
	s_and_saveexec_b64 s[12:13], s[0:1]
	s_cbranch_execz .LBB475_10
; %bb.7:                                ;   in Loop: Header=BB475_6 Depth=1
	v_add_u32_e32 v16, s10, v10
	v_cmp_gt_u64_e32 vcc, s[8:9], v[16:17]
	v_mov_b64_e32 v[22:23], 0
	s_and_saveexec_b64 s[14:15], vcc
	s_cbranch_execz .LBB475_9
; %bb.8:                                ;   in Loop: Header=BB475_6 Depth=1
	v_lshl_add_u64 v[22:23], v[16:17], 3, v[12:13]
	flat_load_dwordx2 v[22:23], v[22:23]
.LBB475_9:                              ;   in Loop: Header=BB475_6 Depth=1
	s_or_b64 exec, exec, s[14:15]
.LBB475_10:                             ;   in Loop: Header=BB475_6 Depth=1
	s_or_b64 exec, exec, s[12:13]
	v_add_u32_e32 v16, s10, v8
	v_cmp_gt_u64_e32 vcc, s[8:9], v[16:17]
	s_waitcnt vmcnt(0) lgkmcnt(0)
	ds_write_b64 v18, v[22:23]
	s_and_b64 s[14:15], vcc, s[2:3]
	v_mov_b64_e32 v[22:23], 0
	s_and_saveexec_b64 s[12:13], s[14:15]
	s_cbranch_execz .LBB475_5
; %bb.11:                               ;   in Loop: Header=BB475_6 Depth=1
	v_mad_u64_u32 v[22:23], s[14:15], s20, v16, 0
	v_mov_b32_e32 v24, v23
	v_mad_u64_u32 v[24:25], s[14:15], s21, v16, v[24:25]
	v_mov_b32_e32 v23, v24
	v_lshl_add_u64 v[22:23], v[22:23], 3, v[14:15]
	flat_load_dwordx2 v[22:23], v[22:23]
	s_branch .LBB475_5
.LBB475_12:
	s_lshl_b64 s[0:1], s[30:31], 3
	s_waitcnt lgkmcnt(0)
	s_add_u32 s4, s4, s0
	v_add_u32_e32 v14, s26, v11
	s_addc_u32 s5, s5, s1
	v_add_u32_e32 v8, s25, v9
	v_ashrrev_i32_e32 v9, 31, v14
	v_mad_u64_u32 v[10:11], s[0:1], s28, v14, 0
	v_mul_lo_u32 v9, s28, v9
	v_mul_lo_u32 v12, s29, v14
	v_cmp_neq_f64_e64 s[0:1], s[6:7], 0
	v_cmp_gt_i32_e64 s[2:3], s24, v14
	v_add3_u32 v11, v11, v9, v12
	v_cmp_le_i32_e32 vcc, v8, v14
	v_cndmask_b32_e64 v12, 0, 1, s[0:1]
	v_lshl_add_u64 v[10:11], v[10:11], 3, s[4:5]
	s_and_b64 s[10:11], s[2:3], vcc
	v_ashrrev_i32_e32 v9, 31, v8
	v_cmp_ne_u32_e64 s[0:1], 1, v12
	s_and_saveexec_b64 s[8:9], s[10:11]
	s_cbranch_execz .LBB475_16
; %bb.13:
	v_mul_f64 v[6:7], s[34:35], v[6:7]
	s_and_b64 vcc, exec, s[0:1]
	v_lshl_add_u64 v[12:13], v[8:9], 3, v[10:11]
	s_cbranch_vccnz .LBB475_15
; %bb.14:
	flat_load_dwordx2 v[16:17], v[12:13]
	s_waitcnt vmcnt(0) lgkmcnt(0)
	v_fmac_f64_e32 v[6:7], s[6:7], v[16:17]
.LBB475_15:
	flat_store_dwordx2 v[12:13], v[6:7]
.LBB475_16:
	s_or_b64 exec, exec, s[8:9]
	v_add_u32_e32 v6, 16, v8
	v_cmp_le_i32_e32 vcc, v6, v14
	s_and_b64 s[8:9], s[2:3], vcc
	v_ashrrev_i32_e32 v7, 31, v6
	s_and_saveexec_b64 s[2:3], s[8:9]
	s_cbranch_execz .LBB475_20
; %bb.17:
	v_mul_f64 v[4:5], s[34:35], v[4:5]
	s_and_b64 vcc, exec, s[0:1]
	v_lshl_add_u64 v[10:11], v[6:7], 3, v[10:11]
	s_cbranch_vccnz .LBB475_19
; %bb.18:
	flat_load_dwordx2 v[12:13], v[10:11]
	s_waitcnt vmcnt(0) lgkmcnt(0)
	v_fmac_f64_e32 v[4:5], s[6:7], v[12:13]
.LBB475_19:
	flat_store_dwordx2 v[10:11], v[4:5]
.LBB475_20:
	s_or_b64 exec, exec, s[2:3]
	v_add_u32_e32 v10, 16, v14
	v_ashrrev_i32_e32 v4, 31, v10
	v_mul_lo_u32 v11, s28, v4
	v_mul_lo_u32 v12, s29, v10
	v_mad_u64_u32 v[4:5], s[8:9], s28, v10, 0
	v_cmp_gt_i32_e64 s[2:3], s24, v10
	v_add3_u32 v5, v5, v11, v12
	v_cmp_le_i32_e32 vcc, v8, v10
	v_lshl_add_u64 v[4:5], v[4:5], 3, s[4:5]
	s_and_b64 s[8:9], s[2:3], vcc
	s_and_saveexec_b64 s[4:5], s[8:9]
	s_cbranch_execz .LBB475_24
; %bb.21:
	v_mul_f64 v[2:3], s[34:35], v[2:3]
	s_and_b64 vcc, exec, s[0:1]
	v_lshl_add_u64 v[8:9], v[8:9], 3, v[4:5]
	s_cbranch_vccnz .LBB475_23
; %bb.22:
	flat_load_dwordx2 v[12:13], v[8:9]
	s_waitcnt vmcnt(0) lgkmcnt(0)
	v_fmac_f64_e32 v[2:3], s[6:7], v[12:13]
.LBB475_23:
	flat_store_dwordx2 v[8:9], v[2:3]
.LBB475_24:
	s_or_b64 exec, exec, s[4:5]
	v_cmp_le_i32_e32 vcc, v6, v10
	s_and_b64 s[2:3], s[2:3], vcc
	s_and_saveexec_b64 s[4:5], s[2:3]
	s_cbranch_execz .LBB475_28
; %bb.25:
	v_mul_f64 v[0:1], s[34:35], v[0:1]
	s_and_b64 vcc, exec, s[0:1]
	v_lshl_add_u64 v[2:3], v[6:7], 3, v[4:5]
	s_cbranch_vccnz .LBB475_27
; %bb.26:
	flat_load_dwordx2 v[4:5], v[2:3]
	s_waitcnt vmcnt(0) lgkmcnt(0)
	v_fmac_f64_e32 v[0:1], s[6:7], v[4:5]
.LBB475_27:
	flat_store_dwordx2 v[2:3], v[0:1]
.LBB475_28:
	s_endpgm
	.section	.rodata,"a",@progbits
	.p2align	6, 0x0
	.amdhsa_kernel _ZL29rocblas_internal_gemmt_kernelIlLi16ELi32ELi8ELc67ELc84ELc85ELb0ELb0EdPKdPKS1_PKPdEviT_T9_T10_S7_lS9_S7_lS8_T11_S7_li
		.amdhsa_group_segment_fixed_size 4096
		.amdhsa_private_segment_fixed_size 0
		.amdhsa_kernarg_size 108
		.amdhsa_user_sgpr_count 2
		.amdhsa_user_sgpr_dispatch_ptr 0
		.amdhsa_user_sgpr_queue_ptr 0
		.amdhsa_user_sgpr_kernarg_segment_ptr 1
		.amdhsa_user_sgpr_dispatch_id 0
		.amdhsa_user_sgpr_kernarg_preload_length 0
		.amdhsa_user_sgpr_kernarg_preload_offset 0
		.amdhsa_user_sgpr_private_segment_size 0
		.amdhsa_uses_dynamic_stack 0
		.amdhsa_enable_private_segment 0
		.amdhsa_system_sgpr_workgroup_id_x 1
		.amdhsa_system_sgpr_workgroup_id_y 1
		.amdhsa_system_sgpr_workgroup_id_z 1
		.amdhsa_system_sgpr_workgroup_info 0
		.amdhsa_system_vgpr_workitem_id 1
		.amdhsa_next_free_vgpr 54
		.amdhsa_next_free_sgpr 36
		.amdhsa_accum_offset 56
		.amdhsa_reserve_vcc 1
		.amdhsa_float_round_mode_32 0
		.amdhsa_float_round_mode_16_64 0
		.amdhsa_float_denorm_mode_32 3
		.amdhsa_float_denorm_mode_16_64 3
		.amdhsa_dx10_clamp 1
		.amdhsa_ieee_mode 1
		.amdhsa_fp16_overflow 0
		.amdhsa_tg_split 0
		.amdhsa_exception_fp_ieee_invalid_op 0
		.amdhsa_exception_fp_denorm_src 0
		.amdhsa_exception_fp_ieee_div_zero 0
		.amdhsa_exception_fp_ieee_overflow 0
		.amdhsa_exception_fp_ieee_underflow 0
		.amdhsa_exception_fp_ieee_inexact 0
		.amdhsa_exception_int_div_zero 0
	.end_amdhsa_kernel
	.section	.text._ZL29rocblas_internal_gemmt_kernelIlLi16ELi32ELi8ELc67ELc84ELc85ELb0ELb0EdPKdPKS1_PKPdEviT_T9_T10_S7_lS9_S7_lS8_T11_S7_li,"axG",@progbits,_ZL29rocblas_internal_gemmt_kernelIlLi16ELi32ELi8ELc67ELc84ELc85ELb0ELb0EdPKdPKS1_PKPdEviT_T9_T10_S7_lS9_S7_lS8_T11_S7_li,comdat
.Lfunc_end475:
	.size	_ZL29rocblas_internal_gemmt_kernelIlLi16ELi32ELi8ELc67ELc84ELc85ELb0ELb0EdPKdPKS1_PKPdEviT_T9_T10_S7_lS9_S7_lS8_T11_S7_li, .Lfunc_end475-_ZL29rocblas_internal_gemmt_kernelIlLi16ELi32ELi8ELc67ELc84ELc85ELb0ELb0EdPKdPKS1_PKPdEviT_T9_T10_S7_lS9_S7_lS8_T11_S7_li
                                        ; -- End function
	.set _ZL29rocblas_internal_gemmt_kernelIlLi16ELi32ELi8ELc67ELc84ELc85ELb0ELb0EdPKdPKS1_PKPdEviT_T9_T10_S7_lS9_S7_lS8_T11_S7_li.num_vgpr, 54
	.set _ZL29rocblas_internal_gemmt_kernelIlLi16ELi32ELi8ELc67ELc84ELc85ELb0ELb0EdPKdPKS1_PKPdEviT_T9_T10_S7_lS9_S7_lS8_T11_S7_li.num_agpr, 0
	.set _ZL29rocblas_internal_gemmt_kernelIlLi16ELi32ELi8ELc67ELc84ELc85ELb0ELb0EdPKdPKS1_PKPdEviT_T9_T10_S7_lS9_S7_lS8_T11_S7_li.numbered_sgpr, 36
	.set _ZL29rocblas_internal_gemmt_kernelIlLi16ELi32ELi8ELc67ELc84ELc85ELb0ELb0EdPKdPKS1_PKPdEviT_T9_T10_S7_lS9_S7_lS8_T11_S7_li.num_named_barrier, 0
	.set _ZL29rocblas_internal_gemmt_kernelIlLi16ELi32ELi8ELc67ELc84ELc85ELb0ELb0EdPKdPKS1_PKPdEviT_T9_T10_S7_lS9_S7_lS8_T11_S7_li.private_seg_size, 0
	.set _ZL29rocblas_internal_gemmt_kernelIlLi16ELi32ELi8ELc67ELc84ELc85ELb0ELb0EdPKdPKS1_PKPdEviT_T9_T10_S7_lS9_S7_lS8_T11_S7_li.uses_vcc, 1
	.set _ZL29rocblas_internal_gemmt_kernelIlLi16ELi32ELi8ELc67ELc84ELc85ELb0ELb0EdPKdPKS1_PKPdEviT_T9_T10_S7_lS9_S7_lS8_T11_S7_li.uses_flat_scratch, 0
	.set _ZL29rocblas_internal_gemmt_kernelIlLi16ELi32ELi8ELc67ELc84ELc85ELb0ELb0EdPKdPKS1_PKPdEviT_T9_T10_S7_lS9_S7_lS8_T11_S7_li.has_dyn_sized_stack, 0
	.set _ZL29rocblas_internal_gemmt_kernelIlLi16ELi32ELi8ELc67ELc84ELc85ELb0ELb0EdPKdPKS1_PKPdEviT_T9_T10_S7_lS9_S7_lS8_T11_S7_li.has_recursion, 0
	.set _ZL29rocblas_internal_gemmt_kernelIlLi16ELi32ELi8ELc67ELc84ELc85ELb0ELb0EdPKdPKS1_PKPdEviT_T9_T10_S7_lS9_S7_lS8_T11_S7_li.has_indirect_call, 0
	.section	.AMDGPU.csdata,"",@progbits
; Kernel info:
; codeLenInByte = 1348
; TotalNumSgprs: 42
; NumVgprs: 54
; NumAgprs: 0
; TotalNumVgprs: 54
; ScratchSize: 0
; MemoryBound: 0
; FloatMode: 240
; IeeeMode: 1
; LDSByteSize: 4096 bytes/workgroup (compile time only)
; SGPRBlocks: 5
; VGPRBlocks: 6
; NumSGPRsForWavesPerEU: 42
; NumVGPRsForWavesPerEU: 54
; AccumOffset: 56
; Occupancy: 8
; WaveLimiterHint : 1
; COMPUTE_PGM_RSRC2:SCRATCH_EN: 0
; COMPUTE_PGM_RSRC2:USER_SGPR: 2
; COMPUTE_PGM_RSRC2:TRAP_HANDLER: 0
; COMPUTE_PGM_RSRC2:TGID_X_EN: 1
; COMPUTE_PGM_RSRC2:TGID_Y_EN: 1
; COMPUTE_PGM_RSRC2:TGID_Z_EN: 1
; COMPUTE_PGM_RSRC2:TIDIG_COMP_CNT: 1
; COMPUTE_PGM_RSRC3_GFX90A:ACCUM_OFFSET: 13
; COMPUTE_PGM_RSRC3_GFX90A:TG_SPLIT: 0
	.section	.text._ZL29rocblas_internal_gemmt_kernelIlLi16ELi32ELi8ELc67ELc67ELc85ELb0ELb0EdPKdPKS1_PKPdEviT_T9_T10_S7_lS9_S7_lS8_T11_S7_li,"axG",@progbits,_ZL29rocblas_internal_gemmt_kernelIlLi16ELi32ELi8ELc67ELc67ELc85ELb0ELb0EdPKdPKS1_PKPdEviT_T9_T10_S7_lS9_S7_lS8_T11_S7_li,comdat
	.globl	_ZL29rocblas_internal_gemmt_kernelIlLi16ELi32ELi8ELc67ELc67ELc85ELb0ELb0EdPKdPKS1_PKPdEviT_T9_T10_S7_lS9_S7_lS8_T11_S7_li ; -- Begin function _ZL29rocblas_internal_gemmt_kernelIlLi16ELi32ELi8ELc67ELc67ELc85ELb0ELb0EdPKdPKS1_PKPdEviT_T9_T10_S7_lS9_S7_lS8_T11_S7_li
	.p2align	8
	.type	_ZL29rocblas_internal_gemmt_kernelIlLi16ELi32ELi8ELc67ELc67ELc85ELb0ELb0EdPKdPKS1_PKPdEviT_T9_T10_S7_lS9_S7_lS8_T11_S7_li,@function
_ZL29rocblas_internal_gemmt_kernelIlLi16ELi32ELi8ELc67ELc67ELc85ELb0ELb0EdPKdPKS1_PKPdEviT_T9_T10_S7_lS9_S7_lS8_T11_S7_li: ; @_ZL29rocblas_internal_gemmt_kernelIlLi16ELi32ELi8ELc67ELc67ELc85ELb0ELb0EdPKdPKS1_PKPdEviT_T9_T10_S7_lS9_S7_lS8_T11_S7_li
; %bb.0:
	s_load_dwordx8 s[24:31], s[0:1], 0x48
	s_load_dwordx16 s[8:23], s[0:1], 0x8
	s_waitcnt lgkmcnt(0)
	s_load_dwordx2 s[6:7], s[24:25], 0x0
	s_load_dwordx2 s[34:35], s[10:11], 0x0
	s_waitcnt lgkmcnt(0)
	v_cmp_neq_f64_e64 s[10:11], s[6:7], 1.0
	s_and_b64 vcc, exec, s[10:11]
	s_cbranch_vccnz .LBB476_2
; %bb.1:
	s_cmp_lg_u64 s[8:9], 0
	s_cselect_b64 s[10:11], -1, 0
	v_cmp_neq_f64_e64 s[24:25], s[34:35], 0
	s_and_b64 s[10:11], s[10:11], s[24:25]
.LBB476_2:
	s_andn2_b64 vcc, exec, s[10:11]
	s_cbranch_vccnz .LBB476_28
; %bb.3:
	s_mov_b32 s5, 0
	s_load_dword s24, s[0:1], 0x0
	s_lshl_b64 s[0:1], s[4:5], 3
	s_add_u32 s4, s26, s0
	s_addc_u32 s5, s27, s1
	s_load_dwordx2 s[4:5], s[4:5], 0x0
	s_lshl_b32 s25, s2, 5
	s_lshl_b32 s26, s3, 5
	v_cmp_eq_f64_e64 s[2:3], s[34:35], 0
	v_cmp_lt_i64_e64 s[10:11], s[8:9], 1
	s_or_b64 s[2:3], s[2:3], s[10:11]
	v_and_b32_e32 v9, 0x3ff, v0
	v_bfe_u32 v11, v0, 10, 10
	v_mov_b64_e32 v[6:7], 0
	s_and_b64 vcc, exec, s[2:3]
	v_mov_b64_e32 v[4:5], 0
	v_mov_b64_e32 v[2:3], 0
	;; [unrolled: 1-line block ×3, first 2 shown]
	s_cbranch_vccnz .LBB476_12
; %bb.4:
	s_add_u32 s2, s18, s0
	s_addc_u32 s3, s19, s1
	s_load_dwordx2 s[2:3], s[2:3], 0x0
	s_lshl_b64 s[10:11], s[22:23], 3
	v_lshl_add_u32 v1, v11, 4, v9
	v_lshrrev_b32_e32 v10, 5, v1
	v_lshrrev_b32_e32 v4, 3, v1
	s_waitcnt lgkmcnt(0)
	s_add_u32 s10, s2, s10
	s_addc_u32 s11, s3, s11
	s_add_u32 s0, s12, s0
	s_addc_u32 s1, s13, s1
	s_load_dwordx2 s[0:1], s[0:1], 0x0
	v_and_b32_e32 v1, 31, v1
	s_lshl_b64 s[2:3], s[16:17], 3
	v_or_b32_e32 v2, s25, v1
	v_lshlrev_b32_e32 v1, 3, v1
	s_waitcnt lgkmcnt(0)
	s_add_u32 s2, s0, s2
	s_addc_u32 s3, s1, s3
	v_cmp_gt_i32_e64 s[0:1], s24, v2
	v_lshl_or_b32 v18, v10, 8, v1
	s_ashr_i32 s16, s25, 31
	v_mul_lo_u32 v1, s15, v2
	v_mad_u64_u32 v[2:3], s[12:13], s14, v2, 0
	v_and_b32_e32 v8, 7, v9
	s_mul_i32 s12, s14, s16
	v_add3_u32 v3, v3, s12, v1
	v_lshlrev_b32_e32 v1, 3, v8
	v_add_u32_e32 v0, s26, v4
	v_lshl_or_b32 v1, v4, 6, v1
	v_add_u32_e32 v19, 0x800, v1
	v_ashrrev_i32_e32 v1, 31, v0
	v_lshl_add_u64 v[12:13], v[2:3], 3, s[2:3]
	v_cmp_gt_i32_e64 s[2:3], s24, v0
	v_lshl_add_u64 v[14:15], v[0:1], 3, s[10:11]
	v_mov_b32_e32 v0, 0x800
	v_lshlrev_b32_e32 v20, 3, v9
	v_lshl_add_u32 v21, v11, 6, v0
	v_mov_b32_e32 v17, 0
	v_mov_b64_e32 v[0:1], 0
	s_mov_b64 s[10:11], 0
	v_mov_b64_e32 v[2:3], 0
	v_mov_b64_e32 v[4:5], 0
	;; [unrolled: 1-line block ×3, first 2 shown]
	s_branch .LBB476_6
.LBB476_5:                              ;   in Loop: Header=BB476_6 Depth=1
	s_or_b64 exec, exec, s[12:13]
	s_waitcnt vmcnt(0) lgkmcnt(0)
	ds_write_b64 v19, v[22:23]
	s_waitcnt lgkmcnt(0)
	s_barrier
	ds_read2_b64 v[22:25], v20 offset1:16
	ds_read_b128 v[26:29], v21
	ds_read_b128 v[30:33], v21 offset:16
	ds_read_b128 v[34:37], v21 offset:32
	;; [unrolled: 1-line block ×4, first 2 shown]
	ds_read2_b64 v[46:49], v20 offset0:32 offset1:48
	s_waitcnt lgkmcnt(5)
	v_fmac_f64_e32 v[6:7], v[22:23], v[26:27]
	v_fmac_f64_e32 v[4:5], v[24:25], v[26:27]
	ds_read_b128 v[50:53], v21 offset:1040
	s_waitcnt lgkmcnt(2)
	v_fmac_f64_e32 v[2:3], v[22:23], v[42:43]
	v_fmac_f64_e32 v[0:1], v[24:25], v[42:43]
	ds_read2_b64 v[22:25], v20 offset0:64 offset1:80
	s_waitcnt lgkmcnt(2)
	v_fmac_f64_e32 v[6:7], v[46:47], v[28:29]
	v_fmac_f64_e32 v[4:5], v[48:49], v[28:29]
	ds_read2_b64 v[26:29], v20 offset0:96 offset1:112
	v_fmac_f64_e32 v[2:3], v[46:47], v[44:45]
	v_fmac_f64_e32 v[0:1], v[48:49], v[44:45]
	s_waitcnt lgkmcnt(1)
	v_fmac_f64_e32 v[6:7], v[22:23], v[30:31]
	v_fmac_f64_e32 v[4:5], v[24:25], v[30:31]
	ds_read_b128 v[42:45], v21 offset:1072
	v_fmac_f64_e32 v[2:3], v[22:23], v[50:51]
	v_fmac_f64_e32 v[0:1], v[24:25], v[50:51]
	s_waitcnt lgkmcnt(1)
	v_fmac_f64_e32 v[6:7], v[26:27], v[32:33]
	ds_read2_b64 v[22:25], v20 offset0:128 offset1:144
	v_fmac_f64_e32 v[4:5], v[28:29], v[32:33]
	v_fmac_f64_e32 v[2:3], v[26:27], v[52:53]
	;; [unrolled: 1-line block ×3, first 2 shown]
	ds_read_b128 v[26:29], v21 offset:1056
	ds_read2_b64 v[30:33], v20 offset0:160 offset1:176
	s_waitcnt lgkmcnt(2)
	v_fmac_f64_e32 v[6:7], v[22:23], v[34:35]
	v_fmac_f64_e32 v[4:5], v[24:25], v[34:35]
	s_add_u32 s10, s10, 8
	s_waitcnt lgkmcnt(1)
	v_fmac_f64_e32 v[2:3], v[22:23], v[26:27]
	v_fmac_f64_e32 v[0:1], v[24:25], v[26:27]
	ds_read2_b64 v[22:25], v20 offset0:192 offset1:208
	s_waitcnt lgkmcnt(1)
	v_fmac_f64_e32 v[2:3], v[30:31], v[28:29]
	v_fmac_f64_e32 v[0:1], v[32:33], v[28:29]
	ds_read2_b64 v[26:29], v20 offset0:224 offset1:240
	v_fmac_f64_e32 v[6:7], v[30:31], v[36:37]
	s_addc_u32 s11, s11, 0
	v_fmac_f64_e32 v[4:5], v[32:33], v[36:37]
	s_waitcnt lgkmcnt(1)
	v_fmac_f64_e32 v[6:7], v[22:23], v[38:39]
	v_fmac_f64_e32 v[2:3], v[22:23], v[42:43]
	v_mov_b64_e32 v[22:23], s[10:11]
	v_fmac_f64_e32 v[4:5], v[24:25], v[38:39]
	v_fmac_f64_e32 v[0:1], v[24:25], v[42:43]
	v_cmp_gt_i64_e32 vcc, s[8:9], v[22:23]
	s_waitcnt lgkmcnt(0)
	v_fmac_f64_e32 v[6:7], v[26:27], v[40:41]
	v_fmac_f64_e32 v[4:5], v[28:29], v[40:41]
	;; [unrolled: 1-line block ×4, first 2 shown]
	s_barrier
	s_cbranch_vccz .LBB476_12
.LBB476_6:                              ; =>This Inner Loop Header: Depth=1
	v_mov_b64_e32 v[22:23], 0
	s_and_saveexec_b64 s[12:13], s[0:1]
	s_cbranch_execz .LBB476_10
; %bb.7:                                ;   in Loop: Header=BB476_6 Depth=1
	v_add_u32_e32 v16, s10, v10
	v_cmp_gt_u64_e32 vcc, s[8:9], v[16:17]
	v_mov_b64_e32 v[22:23], 0
	s_and_saveexec_b64 s[14:15], vcc
	s_cbranch_execz .LBB476_9
; %bb.8:                                ;   in Loop: Header=BB476_6 Depth=1
	v_lshl_add_u64 v[22:23], v[16:17], 3, v[12:13]
	flat_load_dwordx2 v[22:23], v[22:23]
.LBB476_9:                              ;   in Loop: Header=BB476_6 Depth=1
	s_or_b64 exec, exec, s[14:15]
.LBB476_10:                             ;   in Loop: Header=BB476_6 Depth=1
	s_or_b64 exec, exec, s[12:13]
	v_add_u32_e32 v16, s10, v8
	v_cmp_gt_u64_e32 vcc, s[8:9], v[16:17]
	s_waitcnt vmcnt(0) lgkmcnt(0)
	ds_write_b64 v18, v[22:23]
	s_and_b64 s[14:15], vcc, s[2:3]
	v_mov_b64_e32 v[22:23], 0
	s_and_saveexec_b64 s[12:13], s[14:15]
	s_cbranch_execz .LBB476_5
; %bb.11:                               ;   in Loop: Header=BB476_6 Depth=1
	v_mad_u64_u32 v[22:23], s[14:15], s20, v16, 0
	v_mov_b32_e32 v24, v23
	v_mad_u64_u32 v[24:25], s[14:15], s21, v16, v[24:25]
	v_mov_b32_e32 v23, v24
	v_lshl_add_u64 v[22:23], v[22:23], 3, v[14:15]
	flat_load_dwordx2 v[22:23], v[22:23]
	s_branch .LBB476_5
.LBB476_12:
	s_lshl_b64 s[0:1], s[30:31], 3
	s_waitcnt lgkmcnt(0)
	s_add_u32 s4, s4, s0
	v_add_u32_e32 v14, s26, v11
	s_addc_u32 s5, s5, s1
	v_add_u32_e32 v8, s25, v9
	v_ashrrev_i32_e32 v9, 31, v14
	v_mad_u64_u32 v[10:11], s[0:1], s28, v14, 0
	v_mul_lo_u32 v9, s28, v9
	v_mul_lo_u32 v12, s29, v14
	v_cmp_neq_f64_e64 s[0:1], s[6:7], 0
	v_cmp_gt_i32_e64 s[2:3], s24, v14
	v_add3_u32 v11, v11, v9, v12
	v_cmp_le_i32_e32 vcc, v8, v14
	v_cndmask_b32_e64 v12, 0, 1, s[0:1]
	v_lshl_add_u64 v[10:11], v[10:11], 3, s[4:5]
	s_and_b64 s[10:11], s[2:3], vcc
	v_ashrrev_i32_e32 v9, 31, v8
	v_cmp_ne_u32_e64 s[0:1], 1, v12
	s_and_saveexec_b64 s[8:9], s[10:11]
	s_cbranch_execz .LBB476_16
; %bb.13:
	v_mul_f64 v[6:7], s[34:35], v[6:7]
	s_and_b64 vcc, exec, s[0:1]
	v_lshl_add_u64 v[12:13], v[8:9], 3, v[10:11]
	s_cbranch_vccnz .LBB476_15
; %bb.14:
	flat_load_dwordx2 v[16:17], v[12:13]
	s_waitcnt vmcnt(0) lgkmcnt(0)
	v_fmac_f64_e32 v[6:7], s[6:7], v[16:17]
.LBB476_15:
	flat_store_dwordx2 v[12:13], v[6:7]
.LBB476_16:
	s_or_b64 exec, exec, s[8:9]
	v_add_u32_e32 v6, 16, v8
	v_cmp_le_i32_e32 vcc, v6, v14
	s_and_b64 s[8:9], s[2:3], vcc
	v_ashrrev_i32_e32 v7, 31, v6
	s_and_saveexec_b64 s[2:3], s[8:9]
	s_cbranch_execz .LBB476_20
; %bb.17:
	v_mul_f64 v[4:5], s[34:35], v[4:5]
	s_and_b64 vcc, exec, s[0:1]
	v_lshl_add_u64 v[10:11], v[6:7], 3, v[10:11]
	s_cbranch_vccnz .LBB476_19
; %bb.18:
	flat_load_dwordx2 v[12:13], v[10:11]
	s_waitcnt vmcnt(0) lgkmcnt(0)
	v_fmac_f64_e32 v[4:5], s[6:7], v[12:13]
.LBB476_19:
	flat_store_dwordx2 v[10:11], v[4:5]
.LBB476_20:
	s_or_b64 exec, exec, s[2:3]
	v_add_u32_e32 v10, 16, v14
	v_ashrrev_i32_e32 v4, 31, v10
	v_mul_lo_u32 v11, s28, v4
	v_mul_lo_u32 v12, s29, v10
	v_mad_u64_u32 v[4:5], s[8:9], s28, v10, 0
	v_cmp_gt_i32_e64 s[2:3], s24, v10
	v_add3_u32 v5, v5, v11, v12
	v_cmp_le_i32_e32 vcc, v8, v10
	v_lshl_add_u64 v[4:5], v[4:5], 3, s[4:5]
	s_and_b64 s[8:9], s[2:3], vcc
	s_and_saveexec_b64 s[4:5], s[8:9]
	s_cbranch_execz .LBB476_24
; %bb.21:
	v_mul_f64 v[2:3], s[34:35], v[2:3]
	s_and_b64 vcc, exec, s[0:1]
	v_lshl_add_u64 v[8:9], v[8:9], 3, v[4:5]
	s_cbranch_vccnz .LBB476_23
; %bb.22:
	flat_load_dwordx2 v[12:13], v[8:9]
	s_waitcnt vmcnt(0) lgkmcnt(0)
	v_fmac_f64_e32 v[2:3], s[6:7], v[12:13]
.LBB476_23:
	flat_store_dwordx2 v[8:9], v[2:3]
.LBB476_24:
	s_or_b64 exec, exec, s[4:5]
	v_cmp_le_i32_e32 vcc, v6, v10
	s_and_b64 s[2:3], s[2:3], vcc
	s_and_saveexec_b64 s[4:5], s[2:3]
	s_cbranch_execz .LBB476_28
; %bb.25:
	v_mul_f64 v[0:1], s[34:35], v[0:1]
	s_and_b64 vcc, exec, s[0:1]
	v_lshl_add_u64 v[2:3], v[6:7], 3, v[4:5]
	s_cbranch_vccnz .LBB476_27
; %bb.26:
	flat_load_dwordx2 v[4:5], v[2:3]
	s_waitcnt vmcnt(0) lgkmcnt(0)
	v_fmac_f64_e32 v[0:1], s[6:7], v[4:5]
.LBB476_27:
	flat_store_dwordx2 v[2:3], v[0:1]
.LBB476_28:
	s_endpgm
	.section	.rodata,"a",@progbits
	.p2align	6, 0x0
	.amdhsa_kernel _ZL29rocblas_internal_gemmt_kernelIlLi16ELi32ELi8ELc67ELc67ELc85ELb0ELb0EdPKdPKS1_PKPdEviT_T9_T10_S7_lS9_S7_lS8_T11_S7_li
		.amdhsa_group_segment_fixed_size 4096
		.amdhsa_private_segment_fixed_size 0
		.amdhsa_kernarg_size 108
		.amdhsa_user_sgpr_count 2
		.amdhsa_user_sgpr_dispatch_ptr 0
		.amdhsa_user_sgpr_queue_ptr 0
		.amdhsa_user_sgpr_kernarg_segment_ptr 1
		.amdhsa_user_sgpr_dispatch_id 0
		.amdhsa_user_sgpr_kernarg_preload_length 0
		.amdhsa_user_sgpr_kernarg_preload_offset 0
		.amdhsa_user_sgpr_private_segment_size 0
		.amdhsa_uses_dynamic_stack 0
		.amdhsa_enable_private_segment 0
		.amdhsa_system_sgpr_workgroup_id_x 1
		.amdhsa_system_sgpr_workgroup_id_y 1
		.amdhsa_system_sgpr_workgroup_id_z 1
		.amdhsa_system_sgpr_workgroup_info 0
		.amdhsa_system_vgpr_workitem_id 1
		.amdhsa_next_free_vgpr 54
		.amdhsa_next_free_sgpr 36
		.amdhsa_accum_offset 56
		.amdhsa_reserve_vcc 1
		.amdhsa_float_round_mode_32 0
		.amdhsa_float_round_mode_16_64 0
		.amdhsa_float_denorm_mode_32 3
		.amdhsa_float_denorm_mode_16_64 3
		.amdhsa_dx10_clamp 1
		.amdhsa_ieee_mode 1
		.amdhsa_fp16_overflow 0
		.amdhsa_tg_split 0
		.amdhsa_exception_fp_ieee_invalid_op 0
		.amdhsa_exception_fp_denorm_src 0
		.amdhsa_exception_fp_ieee_div_zero 0
		.amdhsa_exception_fp_ieee_overflow 0
		.amdhsa_exception_fp_ieee_underflow 0
		.amdhsa_exception_fp_ieee_inexact 0
		.amdhsa_exception_int_div_zero 0
	.end_amdhsa_kernel
	.section	.text._ZL29rocblas_internal_gemmt_kernelIlLi16ELi32ELi8ELc67ELc67ELc85ELb0ELb0EdPKdPKS1_PKPdEviT_T9_T10_S7_lS9_S7_lS8_T11_S7_li,"axG",@progbits,_ZL29rocblas_internal_gemmt_kernelIlLi16ELi32ELi8ELc67ELc67ELc85ELb0ELb0EdPKdPKS1_PKPdEviT_T9_T10_S7_lS9_S7_lS8_T11_S7_li,comdat
.Lfunc_end476:
	.size	_ZL29rocblas_internal_gemmt_kernelIlLi16ELi32ELi8ELc67ELc67ELc85ELb0ELb0EdPKdPKS1_PKPdEviT_T9_T10_S7_lS9_S7_lS8_T11_S7_li, .Lfunc_end476-_ZL29rocblas_internal_gemmt_kernelIlLi16ELi32ELi8ELc67ELc67ELc85ELb0ELb0EdPKdPKS1_PKPdEviT_T9_T10_S7_lS9_S7_lS8_T11_S7_li
                                        ; -- End function
	.set _ZL29rocblas_internal_gemmt_kernelIlLi16ELi32ELi8ELc67ELc67ELc85ELb0ELb0EdPKdPKS1_PKPdEviT_T9_T10_S7_lS9_S7_lS8_T11_S7_li.num_vgpr, 54
	.set _ZL29rocblas_internal_gemmt_kernelIlLi16ELi32ELi8ELc67ELc67ELc85ELb0ELb0EdPKdPKS1_PKPdEviT_T9_T10_S7_lS9_S7_lS8_T11_S7_li.num_agpr, 0
	.set _ZL29rocblas_internal_gemmt_kernelIlLi16ELi32ELi8ELc67ELc67ELc85ELb0ELb0EdPKdPKS1_PKPdEviT_T9_T10_S7_lS9_S7_lS8_T11_S7_li.numbered_sgpr, 36
	.set _ZL29rocblas_internal_gemmt_kernelIlLi16ELi32ELi8ELc67ELc67ELc85ELb0ELb0EdPKdPKS1_PKPdEviT_T9_T10_S7_lS9_S7_lS8_T11_S7_li.num_named_barrier, 0
	.set _ZL29rocblas_internal_gemmt_kernelIlLi16ELi32ELi8ELc67ELc67ELc85ELb0ELb0EdPKdPKS1_PKPdEviT_T9_T10_S7_lS9_S7_lS8_T11_S7_li.private_seg_size, 0
	.set _ZL29rocblas_internal_gemmt_kernelIlLi16ELi32ELi8ELc67ELc67ELc85ELb0ELb0EdPKdPKS1_PKPdEviT_T9_T10_S7_lS9_S7_lS8_T11_S7_li.uses_vcc, 1
	.set _ZL29rocblas_internal_gemmt_kernelIlLi16ELi32ELi8ELc67ELc67ELc85ELb0ELb0EdPKdPKS1_PKPdEviT_T9_T10_S7_lS9_S7_lS8_T11_S7_li.uses_flat_scratch, 0
	.set _ZL29rocblas_internal_gemmt_kernelIlLi16ELi32ELi8ELc67ELc67ELc85ELb0ELb0EdPKdPKS1_PKPdEviT_T9_T10_S7_lS9_S7_lS8_T11_S7_li.has_dyn_sized_stack, 0
	.set _ZL29rocblas_internal_gemmt_kernelIlLi16ELi32ELi8ELc67ELc67ELc85ELb0ELb0EdPKdPKS1_PKPdEviT_T9_T10_S7_lS9_S7_lS8_T11_S7_li.has_recursion, 0
	.set _ZL29rocblas_internal_gemmt_kernelIlLi16ELi32ELi8ELc67ELc67ELc85ELb0ELb0EdPKdPKS1_PKPdEviT_T9_T10_S7_lS9_S7_lS8_T11_S7_li.has_indirect_call, 0
	.section	.AMDGPU.csdata,"",@progbits
; Kernel info:
; codeLenInByte = 1348
; TotalNumSgprs: 42
; NumVgprs: 54
; NumAgprs: 0
; TotalNumVgprs: 54
; ScratchSize: 0
; MemoryBound: 0
; FloatMode: 240
; IeeeMode: 1
; LDSByteSize: 4096 bytes/workgroup (compile time only)
; SGPRBlocks: 5
; VGPRBlocks: 6
; NumSGPRsForWavesPerEU: 42
; NumVGPRsForWavesPerEU: 54
; AccumOffset: 56
; Occupancy: 8
; WaveLimiterHint : 1
; COMPUTE_PGM_RSRC2:SCRATCH_EN: 0
; COMPUTE_PGM_RSRC2:USER_SGPR: 2
; COMPUTE_PGM_RSRC2:TRAP_HANDLER: 0
; COMPUTE_PGM_RSRC2:TGID_X_EN: 1
; COMPUTE_PGM_RSRC2:TGID_Y_EN: 1
; COMPUTE_PGM_RSRC2:TGID_Z_EN: 1
; COMPUTE_PGM_RSRC2:TIDIG_COMP_CNT: 1
; COMPUTE_PGM_RSRC3_GFX90A:ACCUM_OFFSET: 13
; COMPUTE_PGM_RSRC3_GFX90A:TG_SPLIT: 0
	.section	.text._ZL29rocblas_internal_gemmt_kernelIlLi16ELi32ELi8ELc78ELc78ELc76ELb0ELb0EdPKdPKS1_PKPdEviT_T9_T10_S7_lS9_S7_lS8_T11_S7_li,"axG",@progbits,_ZL29rocblas_internal_gemmt_kernelIlLi16ELi32ELi8ELc78ELc78ELc76ELb0ELb0EdPKdPKS1_PKPdEviT_T9_T10_S7_lS9_S7_lS8_T11_S7_li,comdat
	.globl	_ZL29rocblas_internal_gemmt_kernelIlLi16ELi32ELi8ELc78ELc78ELc76ELb0ELb0EdPKdPKS1_PKPdEviT_T9_T10_S7_lS9_S7_lS8_T11_S7_li ; -- Begin function _ZL29rocblas_internal_gemmt_kernelIlLi16ELi32ELi8ELc78ELc78ELc76ELb0ELb0EdPKdPKS1_PKPdEviT_T9_T10_S7_lS9_S7_lS8_T11_S7_li
	.p2align	8
	.type	_ZL29rocblas_internal_gemmt_kernelIlLi16ELi32ELi8ELc78ELc78ELc76ELb0ELb0EdPKdPKS1_PKPdEviT_T9_T10_S7_lS9_S7_lS8_T11_S7_li,@function
_ZL29rocblas_internal_gemmt_kernelIlLi16ELi32ELi8ELc78ELc78ELc76ELb0ELb0EdPKdPKS1_PKPdEviT_T9_T10_S7_lS9_S7_lS8_T11_S7_li: ; @_ZL29rocblas_internal_gemmt_kernelIlLi16ELi32ELi8ELc78ELc78ELc76ELb0ELb0EdPKdPKS1_PKPdEviT_T9_T10_S7_lS9_S7_lS8_T11_S7_li
; %bb.0:
	s_load_dwordx8 s[24:31], s[0:1], 0x48
	s_load_dwordx16 s[8:23], s[0:1], 0x8
	s_waitcnt lgkmcnt(0)
	s_load_dwordx2 s[6:7], s[24:25], 0x0
	s_load_dwordx2 s[34:35], s[10:11], 0x0
	s_waitcnt lgkmcnt(0)
	v_cmp_neq_f64_e64 s[10:11], s[6:7], 1.0
	s_and_b64 vcc, exec, s[10:11]
	s_cbranch_vccnz .LBB477_2
; %bb.1:
	s_cmp_lg_u64 s[8:9], 0
	s_cselect_b64 s[10:11], -1, 0
	v_cmp_neq_f64_e64 s[24:25], s[34:35], 0
	s_and_b64 s[10:11], s[10:11], s[24:25]
.LBB477_2:
	s_andn2_b64 vcc, exec, s[10:11]
	s_cbranch_vccnz .LBB477_28
; %bb.3:
	s_mov_b32 s5, 0
	s_load_dword s24, s[0:1], 0x0
	s_lshl_b64 s[0:1], s[4:5], 3
	s_add_u32 s4, s26, s0
	s_addc_u32 s5, s27, s1
	s_load_dwordx2 s[4:5], s[4:5], 0x0
	s_lshl_b32 s25, s2, 5
	s_lshl_b32 s26, s3, 5
	v_cmp_eq_f64_e64 s[2:3], s[34:35], 0
	v_cmp_lt_i64_e64 s[10:11], s[8:9], 1
	s_or_b64 s[2:3], s[2:3], s[10:11]
	v_and_b32_e32 v9, 0x3ff, v0
	v_bfe_u32 v11, v0, 10, 10
	v_mov_b64_e32 v[6:7], 0
	s_and_b64 vcc, exec, s[2:3]
	v_mov_b64_e32 v[4:5], 0
	v_mov_b64_e32 v[2:3], 0
	;; [unrolled: 1-line block ×3, first 2 shown]
	s_cbranch_vccnz .LBB477_12
; %bb.4:
	s_add_u32 s2, s18, s0
	s_addc_u32 s3, s19, s1
	s_load_dwordx2 s[2:3], s[2:3], 0x0
	s_lshl_b64 s[10:11], s[22:23], 3
	v_lshl_add_u32 v0, v11, 4, v9
	v_and_b32_e32 v1, 31, v0
	v_lshrrev_b32_e32 v10, 5, v0
	s_waitcnt lgkmcnt(0)
	s_add_u32 s10, s2, s10
	s_addc_u32 s11, s3, s11
	s_add_u32 s0, s12, s0
	s_addc_u32 s1, s13, s1
	s_load_dwordx2 s[0:1], s[0:1], 0x0
	s_lshl_b64 s[2:3], s[16:17], 3
	v_lshrrev_b32_e32 v2, 3, v0
	v_or_b32_e32 v0, s25, v1
	v_lshlrev_b32_e32 v1, 3, v1
	s_waitcnt lgkmcnt(0)
	s_add_u32 s2, s0, s2
	v_and_b32_e32 v8, 7, v9
	s_addc_u32 s3, s1, s3
	v_lshl_or_b32 v18, v10, 8, v1
	v_ashrrev_i32_e32 v1, 31, v0
	v_cmp_gt_i32_e64 s[0:1], s24, v0
	v_lshl_add_u64 v[12:13], v[0:1], 3, s[2:3]
	v_lshlrev_b32_e32 v0, 3, v8
	v_add_u32_e32 v3, s26, v2
	v_lshl_or_b32 v0, v2, 6, v0
	v_add_u32_e32 v19, 0x800, v0
	v_ashrrev_i32_e32 v0, 31, v3
	v_mul_lo_u32 v2, s20, v0
	v_mul_lo_u32 v4, s21, v3
	v_mad_u64_u32 v[0:1], s[12:13], s20, v3, 0
	v_add3_u32 v1, v1, v2, v4
	v_lshl_add_u64 v[14:15], v[0:1], 3, s[10:11]
	v_mov_b32_e32 v0, 0x800
	v_cmp_gt_i32_e64 s[2:3], s24, v3
	v_lshlrev_b32_e32 v20, 3, v9
	v_lshl_add_u32 v21, v11, 6, v0
	v_mov_b32_e32 v17, 0
	v_mov_b64_e32 v[0:1], 0
	s_mov_b64 s[10:11], 0
	v_mov_b64_e32 v[2:3], 0
	v_mov_b64_e32 v[4:5], 0
	;; [unrolled: 1-line block ×3, first 2 shown]
	s_branch .LBB477_6
.LBB477_5:                              ;   in Loop: Header=BB477_6 Depth=1
	s_or_b64 exec, exec, s[12:13]
	s_waitcnt vmcnt(0) lgkmcnt(0)
	ds_write_b64 v19, v[22:23]
	s_waitcnt lgkmcnt(0)
	s_barrier
	ds_read2_b64 v[22:25], v20 offset1:16
	ds_read_b128 v[26:29], v21
	ds_read_b128 v[30:33], v21 offset:16
	ds_read_b128 v[34:37], v21 offset:32
	;; [unrolled: 1-line block ×4, first 2 shown]
	ds_read2_b64 v[46:49], v20 offset0:32 offset1:48
	s_waitcnt lgkmcnt(5)
	v_fmac_f64_e32 v[6:7], v[22:23], v[26:27]
	v_fmac_f64_e32 v[4:5], v[24:25], v[26:27]
	ds_read_b128 v[50:53], v21 offset:1040
	s_waitcnt lgkmcnt(2)
	v_fmac_f64_e32 v[2:3], v[22:23], v[42:43]
	v_fmac_f64_e32 v[0:1], v[24:25], v[42:43]
	ds_read2_b64 v[22:25], v20 offset0:64 offset1:80
	s_waitcnt lgkmcnt(2)
	v_fmac_f64_e32 v[6:7], v[46:47], v[28:29]
	v_fmac_f64_e32 v[4:5], v[48:49], v[28:29]
	ds_read2_b64 v[26:29], v20 offset0:96 offset1:112
	v_fmac_f64_e32 v[2:3], v[46:47], v[44:45]
	v_fmac_f64_e32 v[0:1], v[48:49], v[44:45]
	s_waitcnt lgkmcnt(1)
	v_fmac_f64_e32 v[6:7], v[22:23], v[30:31]
	v_fmac_f64_e32 v[4:5], v[24:25], v[30:31]
	ds_read_b128 v[42:45], v21 offset:1072
	v_fmac_f64_e32 v[2:3], v[22:23], v[50:51]
	v_fmac_f64_e32 v[0:1], v[24:25], v[50:51]
	s_waitcnt lgkmcnt(1)
	v_fmac_f64_e32 v[6:7], v[26:27], v[32:33]
	ds_read2_b64 v[22:25], v20 offset0:128 offset1:144
	v_fmac_f64_e32 v[4:5], v[28:29], v[32:33]
	v_fmac_f64_e32 v[2:3], v[26:27], v[52:53]
	;; [unrolled: 1-line block ×3, first 2 shown]
	ds_read_b128 v[26:29], v21 offset:1056
	ds_read2_b64 v[30:33], v20 offset0:160 offset1:176
	s_waitcnt lgkmcnt(2)
	v_fmac_f64_e32 v[6:7], v[22:23], v[34:35]
	v_fmac_f64_e32 v[4:5], v[24:25], v[34:35]
	s_add_u32 s10, s10, 8
	s_waitcnt lgkmcnt(1)
	v_fmac_f64_e32 v[2:3], v[22:23], v[26:27]
	v_fmac_f64_e32 v[0:1], v[24:25], v[26:27]
	ds_read2_b64 v[22:25], v20 offset0:192 offset1:208
	s_waitcnt lgkmcnt(1)
	v_fmac_f64_e32 v[2:3], v[30:31], v[28:29]
	v_fmac_f64_e32 v[0:1], v[32:33], v[28:29]
	ds_read2_b64 v[26:29], v20 offset0:224 offset1:240
	v_fmac_f64_e32 v[6:7], v[30:31], v[36:37]
	s_addc_u32 s11, s11, 0
	v_fmac_f64_e32 v[4:5], v[32:33], v[36:37]
	s_waitcnt lgkmcnt(1)
	v_fmac_f64_e32 v[6:7], v[22:23], v[38:39]
	v_fmac_f64_e32 v[2:3], v[22:23], v[42:43]
	v_mov_b64_e32 v[22:23], s[10:11]
	v_fmac_f64_e32 v[4:5], v[24:25], v[38:39]
	v_fmac_f64_e32 v[0:1], v[24:25], v[42:43]
	v_cmp_gt_i64_e32 vcc, s[8:9], v[22:23]
	s_waitcnt lgkmcnt(0)
	v_fmac_f64_e32 v[6:7], v[26:27], v[40:41]
	v_fmac_f64_e32 v[4:5], v[28:29], v[40:41]
	;; [unrolled: 1-line block ×4, first 2 shown]
	s_barrier
	s_cbranch_vccz .LBB477_12
.LBB477_6:                              ; =>This Inner Loop Header: Depth=1
	v_mov_b64_e32 v[22:23], 0
	s_and_saveexec_b64 s[12:13], s[0:1]
	s_cbranch_execz .LBB477_10
; %bb.7:                                ;   in Loop: Header=BB477_6 Depth=1
	v_add_u32_e32 v16, s10, v10
	v_cmp_gt_u64_e32 vcc, s[8:9], v[16:17]
	v_mov_b64_e32 v[22:23], 0
	s_and_saveexec_b64 s[16:17], vcc
	s_cbranch_execz .LBB477_9
; %bb.8:                                ;   in Loop: Header=BB477_6 Depth=1
	v_mad_u64_u32 v[22:23], s[18:19], s14, v16, 0
	v_mov_b32_e32 v24, v23
	v_mad_u64_u32 v[24:25], s[18:19], s15, v16, v[24:25]
	v_mov_b32_e32 v23, v24
	v_lshl_add_u64 v[22:23], v[22:23], 3, v[12:13]
	flat_load_dwordx2 v[22:23], v[22:23]
.LBB477_9:                              ;   in Loop: Header=BB477_6 Depth=1
	s_or_b64 exec, exec, s[16:17]
.LBB477_10:                             ;   in Loop: Header=BB477_6 Depth=1
	s_or_b64 exec, exec, s[12:13]
	v_add_u32_e32 v16, s10, v8
	v_cmp_gt_u64_e32 vcc, s[8:9], v[16:17]
	s_waitcnt vmcnt(0) lgkmcnt(0)
	ds_write_b64 v18, v[22:23]
	s_and_b64 s[16:17], vcc, s[2:3]
	v_mov_b64_e32 v[22:23], 0
	s_and_saveexec_b64 s[12:13], s[16:17]
	s_cbranch_execz .LBB477_5
; %bb.11:                               ;   in Loop: Header=BB477_6 Depth=1
	v_lshl_add_u64 v[22:23], v[16:17], 3, v[14:15]
	flat_load_dwordx2 v[22:23], v[22:23]
	s_branch .LBB477_5
.LBB477_12:
	s_lshl_b64 s[0:1], s[30:31], 3
	s_waitcnt lgkmcnt(0)
	s_add_u32 s8, s4, s0
	v_add_u32_e32 v14, s26, v11
	s_addc_u32 s9, s5, s1
	v_add_u32_e32 v8, s25, v9
	v_ashrrev_i32_e32 v9, 31, v14
	v_mad_u64_u32 v[10:11], s[0:1], s28, v14, 0
	v_mul_lo_u32 v9, s28, v9
	v_mul_lo_u32 v12, s29, v14
	v_cmp_neq_f64_e64 s[0:1], s[6:7], 0
	v_add3_u32 v11, v11, v9, v12
	v_cmp_le_i32_e32 vcc, v14, v8
	v_cmp_gt_i32_e64 s[2:3], s24, v8
	v_cndmask_b32_e64 v12, 0, 1, s[0:1]
	v_lshl_add_u64 v[10:11], v[10:11], 3, s[8:9]
	s_and_b64 s[10:11], vcc, s[2:3]
	v_ashrrev_i32_e32 v9, 31, v8
	v_cmp_ne_u32_e64 s[0:1], 1, v12
	s_and_saveexec_b64 s[4:5], s[10:11]
	s_cbranch_execz .LBB477_16
; %bb.13:
	v_mul_f64 v[6:7], s[34:35], v[6:7]
	s_and_b64 vcc, exec, s[0:1]
	v_lshl_add_u64 v[12:13], v[8:9], 3, v[10:11]
	s_cbranch_vccnz .LBB477_15
; %bb.14:
	flat_load_dwordx2 v[16:17], v[12:13]
	s_waitcnt vmcnt(0) lgkmcnt(0)
	v_fmac_f64_e32 v[6:7], s[6:7], v[16:17]
.LBB477_15:
	flat_store_dwordx2 v[12:13], v[6:7]
.LBB477_16:
	s_or_b64 exec, exec, s[4:5]
	v_add_u32_e32 v6, 16, v8
	v_cmp_le_i32_e32 vcc, v14, v6
	v_cmp_gt_i32_e64 s[4:5], s24, v6
	s_and_b64 s[12:13], vcc, s[4:5]
	v_ashrrev_i32_e32 v7, 31, v6
	s_and_saveexec_b64 s[10:11], s[12:13]
	s_cbranch_execz .LBB477_20
; %bb.17:
	v_mul_f64 v[4:5], s[34:35], v[4:5]
	s_and_b64 vcc, exec, s[0:1]
	v_lshl_add_u64 v[10:11], v[6:7], 3, v[10:11]
	s_cbranch_vccnz .LBB477_19
; %bb.18:
	flat_load_dwordx2 v[12:13], v[10:11]
	s_waitcnt vmcnt(0) lgkmcnt(0)
	v_fmac_f64_e32 v[4:5], s[6:7], v[12:13]
.LBB477_19:
	flat_store_dwordx2 v[10:11], v[4:5]
.LBB477_20:
	s_or_b64 exec, exec, s[10:11]
	v_add_u32_e32 v10, 16, v14
	v_ashrrev_i32_e32 v4, 31, v10
	v_mul_lo_u32 v11, s28, v4
	v_mul_lo_u32 v12, s29, v10
	v_mad_u64_u32 v[4:5], s[10:11], s28, v10, 0
	v_add3_u32 v5, v5, v11, v12
	v_cmp_le_i32_e32 vcc, v10, v8
	v_lshl_add_u64 v[4:5], v[4:5], 3, s[8:9]
	s_and_b64 s[8:9], vcc, s[2:3]
	s_and_saveexec_b64 s[2:3], s[8:9]
	s_cbranch_execz .LBB477_24
; %bb.21:
	v_mul_f64 v[2:3], s[34:35], v[2:3]
	s_and_b64 vcc, exec, s[0:1]
	v_lshl_add_u64 v[8:9], v[8:9], 3, v[4:5]
	s_cbranch_vccnz .LBB477_23
; %bb.22:
	flat_load_dwordx2 v[12:13], v[8:9]
	s_waitcnt vmcnt(0) lgkmcnt(0)
	v_fmac_f64_e32 v[2:3], s[6:7], v[12:13]
.LBB477_23:
	flat_store_dwordx2 v[8:9], v[2:3]
.LBB477_24:
	s_or_b64 exec, exec, s[2:3]
	v_cmp_le_i32_e32 vcc, v10, v6
	s_and_b64 s[2:3], vcc, s[4:5]
	s_and_saveexec_b64 s[4:5], s[2:3]
	s_cbranch_execz .LBB477_28
; %bb.25:
	v_mul_f64 v[0:1], s[34:35], v[0:1]
	s_and_b64 vcc, exec, s[0:1]
	v_lshl_add_u64 v[2:3], v[6:7], 3, v[4:5]
	s_cbranch_vccnz .LBB477_27
; %bb.26:
	flat_load_dwordx2 v[4:5], v[2:3]
	s_waitcnt vmcnt(0) lgkmcnt(0)
	v_fmac_f64_e32 v[0:1], s[6:7], v[4:5]
.LBB477_27:
	flat_store_dwordx2 v[2:3], v[0:1]
.LBB477_28:
	s_endpgm
	.section	.rodata,"a",@progbits
	.p2align	6, 0x0
	.amdhsa_kernel _ZL29rocblas_internal_gemmt_kernelIlLi16ELi32ELi8ELc78ELc78ELc76ELb0ELb0EdPKdPKS1_PKPdEviT_T9_T10_S7_lS9_S7_lS8_T11_S7_li
		.amdhsa_group_segment_fixed_size 4096
		.amdhsa_private_segment_fixed_size 0
		.amdhsa_kernarg_size 108
		.amdhsa_user_sgpr_count 2
		.amdhsa_user_sgpr_dispatch_ptr 0
		.amdhsa_user_sgpr_queue_ptr 0
		.amdhsa_user_sgpr_kernarg_segment_ptr 1
		.amdhsa_user_sgpr_dispatch_id 0
		.amdhsa_user_sgpr_kernarg_preload_length 0
		.amdhsa_user_sgpr_kernarg_preload_offset 0
		.amdhsa_user_sgpr_private_segment_size 0
		.amdhsa_uses_dynamic_stack 0
		.amdhsa_enable_private_segment 0
		.amdhsa_system_sgpr_workgroup_id_x 1
		.amdhsa_system_sgpr_workgroup_id_y 1
		.amdhsa_system_sgpr_workgroup_id_z 1
		.amdhsa_system_sgpr_workgroup_info 0
		.amdhsa_system_vgpr_workitem_id 1
		.amdhsa_next_free_vgpr 54
		.amdhsa_next_free_sgpr 36
		.amdhsa_accum_offset 56
		.amdhsa_reserve_vcc 1
		.amdhsa_float_round_mode_32 0
		.amdhsa_float_round_mode_16_64 0
		.amdhsa_float_denorm_mode_32 3
		.amdhsa_float_denorm_mode_16_64 3
		.amdhsa_dx10_clamp 1
		.amdhsa_ieee_mode 1
		.amdhsa_fp16_overflow 0
		.amdhsa_tg_split 0
		.amdhsa_exception_fp_ieee_invalid_op 0
		.amdhsa_exception_fp_denorm_src 0
		.amdhsa_exception_fp_ieee_div_zero 0
		.amdhsa_exception_fp_ieee_overflow 0
		.amdhsa_exception_fp_ieee_underflow 0
		.amdhsa_exception_fp_ieee_inexact 0
		.amdhsa_exception_int_div_zero 0
	.end_amdhsa_kernel
	.section	.text._ZL29rocblas_internal_gemmt_kernelIlLi16ELi32ELi8ELc78ELc78ELc76ELb0ELb0EdPKdPKS1_PKPdEviT_T9_T10_S7_lS9_S7_lS8_T11_S7_li,"axG",@progbits,_ZL29rocblas_internal_gemmt_kernelIlLi16ELi32ELi8ELc78ELc78ELc76ELb0ELb0EdPKdPKS1_PKPdEviT_T9_T10_S7_lS9_S7_lS8_T11_S7_li,comdat
.Lfunc_end477:
	.size	_ZL29rocblas_internal_gemmt_kernelIlLi16ELi32ELi8ELc78ELc78ELc76ELb0ELb0EdPKdPKS1_PKPdEviT_T9_T10_S7_lS9_S7_lS8_T11_S7_li, .Lfunc_end477-_ZL29rocblas_internal_gemmt_kernelIlLi16ELi32ELi8ELc78ELc78ELc76ELb0ELb0EdPKdPKS1_PKPdEviT_T9_T10_S7_lS9_S7_lS8_T11_S7_li
                                        ; -- End function
	.set _ZL29rocblas_internal_gemmt_kernelIlLi16ELi32ELi8ELc78ELc78ELc76ELb0ELb0EdPKdPKS1_PKPdEviT_T9_T10_S7_lS9_S7_lS8_T11_S7_li.num_vgpr, 54
	.set _ZL29rocblas_internal_gemmt_kernelIlLi16ELi32ELi8ELc78ELc78ELc76ELb0ELb0EdPKdPKS1_PKPdEviT_T9_T10_S7_lS9_S7_lS8_T11_S7_li.num_agpr, 0
	.set _ZL29rocblas_internal_gemmt_kernelIlLi16ELi32ELi8ELc78ELc78ELc76ELb0ELb0EdPKdPKS1_PKPdEviT_T9_T10_S7_lS9_S7_lS8_T11_S7_li.numbered_sgpr, 36
	.set _ZL29rocblas_internal_gemmt_kernelIlLi16ELi32ELi8ELc78ELc78ELc76ELb0ELb0EdPKdPKS1_PKPdEviT_T9_T10_S7_lS9_S7_lS8_T11_S7_li.num_named_barrier, 0
	.set _ZL29rocblas_internal_gemmt_kernelIlLi16ELi32ELi8ELc78ELc78ELc76ELb0ELb0EdPKdPKS1_PKPdEviT_T9_T10_S7_lS9_S7_lS8_T11_S7_li.private_seg_size, 0
	.set _ZL29rocblas_internal_gemmt_kernelIlLi16ELi32ELi8ELc78ELc78ELc76ELb0ELb0EdPKdPKS1_PKPdEviT_T9_T10_S7_lS9_S7_lS8_T11_S7_li.uses_vcc, 1
	.set _ZL29rocblas_internal_gemmt_kernelIlLi16ELi32ELi8ELc78ELc78ELc76ELb0ELb0EdPKdPKS1_PKPdEviT_T9_T10_S7_lS9_S7_lS8_T11_S7_li.uses_flat_scratch, 0
	.set _ZL29rocblas_internal_gemmt_kernelIlLi16ELi32ELi8ELc78ELc78ELc76ELb0ELb0EdPKdPKS1_PKPdEviT_T9_T10_S7_lS9_S7_lS8_T11_S7_li.has_dyn_sized_stack, 0
	.set _ZL29rocblas_internal_gemmt_kernelIlLi16ELi32ELi8ELc78ELc78ELc76ELb0ELb0EdPKdPKS1_PKPdEviT_T9_T10_S7_lS9_S7_lS8_T11_S7_li.has_recursion, 0
	.set _ZL29rocblas_internal_gemmt_kernelIlLi16ELi32ELi8ELc78ELc78ELc76ELb0ELb0EdPKdPKS1_PKPdEviT_T9_T10_S7_lS9_S7_lS8_T11_S7_li.has_indirect_call, 0
	.section	.AMDGPU.csdata,"",@progbits
; Kernel info:
; codeLenInByte = 1352
; TotalNumSgprs: 42
; NumVgprs: 54
; NumAgprs: 0
; TotalNumVgprs: 54
; ScratchSize: 0
; MemoryBound: 0
; FloatMode: 240
; IeeeMode: 1
; LDSByteSize: 4096 bytes/workgroup (compile time only)
; SGPRBlocks: 5
; VGPRBlocks: 6
; NumSGPRsForWavesPerEU: 42
; NumVGPRsForWavesPerEU: 54
; AccumOffset: 56
; Occupancy: 8
; WaveLimiterHint : 1
; COMPUTE_PGM_RSRC2:SCRATCH_EN: 0
; COMPUTE_PGM_RSRC2:USER_SGPR: 2
; COMPUTE_PGM_RSRC2:TRAP_HANDLER: 0
; COMPUTE_PGM_RSRC2:TGID_X_EN: 1
; COMPUTE_PGM_RSRC2:TGID_Y_EN: 1
; COMPUTE_PGM_RSRC2:TGID_Z_EN: 1
; COMPUTE_PGM_RSRC2:TIDIG_COMP_CNT: 1
; COMPUTE_PGM_RSRC3_GFX90A:ACCUM_OFFSET: 13
; COMPUTE_PGM_RSRC3_GFX90A:TG_SPLIT: 0
	.section	.text._ZL29rocblas_internal_gemmt_kernelIlLi16ELi32ELi8ELc78ELc84ELc76ELb0ELb0EdPKdPKS1_PKPdEviT_T9_T10_S7_lS9_S7_lS8_T11_S7_li,"axG",@progbits,_ZL29rocblas_internal_gemmt_kernelIlLi16ELi32ELi8ELc78ELc84ELc76ELb0ELb0EdPKdPKS1_PKPdEviT_T9_T10_S7_lS9_S7_lS8_T11_S7_li,comdat
	.globl	_ZL29rocblas_internal_gemmt_kernelIlLi16ELi32ELi8ELc78ELc84ELc76ELb0ELb0EdPKdPKS1_PKPdEviT_T9_T10_S7_lS9_S7_lS8_T11_S7_li ; -- Begin function _ZL29rocblas_internal_gemmt_kernelIlLi16ELi32ELi8ELc78ELc84ELc76ELb0ELb0EdPKdPKS1_PKPdEviT_T9_T10_S7_lS9_S7_lS8_T11_S7_li
	.p2align	8
	.type	_ZL29rocblas_internal_gemmt_kernelIlLi16ELi32ELi8ELc78ELc84ELc76ELb0ELb0EdPKdPKS1_PKPdEviT_T9_T10_S7_lS9_S7_lS8_T11_S7_li,@function
_ZL29rocblas_internal_gemmt_kernelIlLi16ELi32ELi8ELc78ELc84ELc76ELb0ELb0EdPKdPKS1_PKPdEviT_T9_T10_S7_lS9_S7_lS8_T11_S7_li: ; @_ZL29rocblas_internal_gemmt_kernelIlLi16ELi32ELi8ELc78ELc84ELc76ELb0ELb0EdPKdPKS1_PKPdEviT_T9_T10_S7_lS9_S7_lS8_T11_S7_li
; %bb.0:
	s_load_dwordx8 s[24:31], s[0:1], 0x48
	s_load_dwordx16 s[8:23], s[0:1], 0x8
	s_waitcnt lgkmcnt(0)
	s_load_dwordx2 s[6:7], s[24:25], 0x0
	s_load_dwordx2 s[34:35], s[10:11], 0x0
	s_waitcnt lgkmcnt(0)
	v_cmp_neq_f64_e64 s[10:11], s[6:7], 1.0
	s_and_b64 vcc, exec, s[10:11]
	s_cbranch_vccnz .LBB478_2
; %bb.1:
	s_cmp_lg_u64 s[8:9], 0
	s_cselect_b64 s[10:11], -1, 0
	v_cmp_neq_f64_e64 s[24:25], s[34:35], 0
	s_and_b64 s[10:11], s[10:11], s[24:25]
.LBB478_2:
	s_andn2_b64 vcc, exec, s[10:11]
	s_cbranch_vccnz .LBB478_28
; %bb.3:
	s_mov_b32 s5, 0
	s_load_dword s24, s[0:1], 0x0
	s_lshl_b64 s[0:1], s[4:5], 3
	s_add_u32 s4, s26, s0
	s_addc_u32 s5, s27, s1
	s_load_dwordx2 s[4:5], s[4:5], 0x0
	s_lshl_b32 s25, s2, 5
	s_lshl_b32 s26, s3, 5
	v_cmp_eq_f64_e64 s[2:3], s[34:35], 0
	v_cmp_lt_i64_e64 s[10:11], s[8:9], 1
	s_or_b64 s[2:3], s[2:3], s[10:11]
	v_and_b32_e32 v9, 0x3ff, v0
	v_bfe_u32 v11, v0, 10, 10
	v_mov_b64_e32 v[6:7], 0
	s_and_b64 vcc, exec, s[2:3]
	v_mov_b64_e32 v[4:5], 0
	v_mov_b64_e32 v[2:3], 0
	v_mov_b64_e32 v[0:1], 0
	s_cbranch_vccnz .LBB478_12
; %bb.4:
	s_add_u32 s2, s18, s0
	s_addc_u32 s3, s19, s1
	s_load_dwordx2 s[2:3], s[2:3], 0x0
	s_lshl_b64 s[10:11], s[22:23], 3
	v_lshl_add_u32 v1, v11, 4, v9
	v_lshrrev_b32_e32 v10, 5, v1
	v_lshrrev_b32_e32 v4, 3, v1
	s_waitcnt lgkmcnt(0)
	s_add_u32 s10, s2, s10
	s_addc_u32 s11, s3, s11
	s_add_u32 s0, s12, s0
	s_addc_u32 s1, s13, s1
	s_load_dwordx2 s[0:1], s[0:1], 0x0
	v_and_b32_e32 v1, 31, v1
	v_and_b32_e32 v8, 7, v9
	v_or_b32_e32 v2, s25, v1
	v_lshlrev_b32_e32 v1, 3, v1
	s_lshl_b64 s[2:3], s[16:17], 3
	v_lshl_or_b32 v18, v10, 8, v1
	v_lshlrev_b32_e32 v1, 3, v8
	v_add_u32_e32 v0, s26, v4
	s_waitcnt lgkmcnt(0)
	s_add_u32 s2, s0, s2
	v_lshl_or_b32 v1, v4, 6, v1
	s_addc_u32 s3, s1, s3
	v_ashrrev_i32_e32 v3, 31, v2
	v_add_u32_e32 v19, 0x800, v1
	v_ashrrev_i32_e32 v1, 31, v0
	v_lshl_add_u64 v[12:13], v[2:3], 3, s[2:3]
	v_cmp_gt_i32_e64 s[2:3], s24, v0
	v_lshl_add_u64 v[14:15], v[0:1], 3, s[10:11]
	v_mov_b32_e32 v0, 0x800
	v_cmp_gt_i32_e64 s[0:1], s24, v2
	v_lshlrev_b32_e32 v20, 3, v9
	v_lshl_add_u32 v21, v11, 6, v0
	v_mov_b32_e32 v17, 0
	v_mov_b64_e32 v[0:1], 0
	s_mov_b64 s[10:11], 0
	v_mov_b64_e32 v[2:3], 0
	v_mov_b64_e32 v[4:5], 0
	;; [unrolled: 1-line block ×3, first 2 shown]
	s_branch .LBB478_6
.LBB478_5:                              ;   in Loop: Header=BB478_6 Depth=1
	s_or_b64 exec, exec, s[12:13]
	s_waitcnt vmcnt(0) lgkmcnt(0)
	ds_write_b64 v19, v[22:23]
	s_waitcnt lgkmcnt(0)
	s_barrier
	ds_read2_b64 v[22:25], v20 offset1:16
	ds_read_b128 v[26:29], v21
	ds_read_b128 v[30:33], v21 offset:16
	ds_read_b128 v[34:37], v21 offset:32
	;; [unrolled: 1-line block ×4, first 2 shown]
	ds_read2_b64 v[46:49], v20 offset0:32 offset1:48
	s_waitcnt lgkmcnt(5)
	v_fmac_f64_e32 v[6:7], v[22:23], v[26:27]
	v_fmac_f64_e32 v[4:5], v[24:25], v[26:27]
	ds_read_b128 v[50:53], v21 offset:1040
	s_waitcnt lgkmcnt(2)
	v_fmac_f64_e32 v[2:3], v[22:23], v[42:43]
	v_fmac_f64_e32 v[0:1], v[24:25], v[42:43]
	ds_read2_b64 v[22:25], v20 offset0:64 offset1:80
	s_waitcnt lgkmcnt(2)
	v_fmac_f64_e32 v[6:7], v[46:47], v[28:29]
	v_fmac_f64_e32 v[4:5], v[48:49], v[28:29]
	ds_read2_b64 v[26:29], v20 offset0:96 offset1:112
	v_fmac_f64_e32 v[2:3], v[46:47], v[44:45]
	v_fmac_f64_e32 v[0:1], v[48:49], v[44:45]
	s_waitcnt lgkmcnt(1)
	v_fmac_f64_e32 v[6:7], v[22:23], v[30:31]
	v_fmac_f64_e32 v[4:5], v[24:25], v[30:31]
	ds_read_b128 v[42:45], v21 offset:1072
	v_fmac_f64_e32 v[2:3], v[22:23], v[50:51]
	v_fmac_f64_e32 v[0:1], v[24:25], v[50:51]
	s_waitcnt lgkmcnt(1)
	v_fmac_f64_e32 v[6:7], v[26:27], v[32:33]
	ds_read2_b64 v[22:25], v20 offset0:128 offset1:144
	v_fmac_f64_e32 v[4:5], v[28:29], v[32:33]
	v_fmac_f64_e32 v[2:3], v[26:27], v[52:53]
	;; [unrolled: 1-line block ×3, first 2 shown]
	ds_read_b128 v[26:29], v21 offset:1056
	ds_read2_b64 v[30:33], v20 offset0:160 offset1:176
	s_waitcnt lgkmcnt(2)
	v_fmac_f64_e32 v[6:7], v[22:23], v[34:35]
	v_fmac_f64_e32 v[4:5], v[24:25], v[34:35]
	s_add_u32 s10, s10, 8
	s_waitcnt lgkmcnt(1)
	v_fmac_f64_e32 v[2:3], v[22:23], v[26:27]
	v_fmac_f64_e32 v[0:1], v[24:25], v[26:27]
	ds_read2_b64 v[22:25], v20 offset0:192 offset1:208
	s_waitcnt lgkmcnt(1)
	v_fmac_f64_e32 v[2:3], v[30:31], v[28:29]
	v_fmac_f64_e32 v[0:1], v[32:33], v[28:29]
	ds_read2_b64 v[26:29], v20 offset0:224 offset1:240
	v_fmac_f64_e32 v[6:7], v[30:31], v[36:37]
	s_addc_u32 s11, s11, 0
	v_fmac_f64_e32 v[4:5], v[32:33], v[36:37]
	s_waitcnt lgkmcnt(1)
	v_fmac_f64_e32 v[6:7], v[22:23], v[38:39]
	v_fmac_f64_e32 v[2:3], v[22:23], v[42:43]
	v_mov_b64_e32 v[22:23], s[10:11]
	v_fmac_f64_e32 v[4:5], v[24:25], v[38:39]
	v_fmac_f64_e32 v[0:1], v[24:25], v[42:43]
	v_cmp_gt_i64_e32 vcc, s[8:9], v[22:23]
	s_waitcnt lgkmcnt(0)
	v_fmac_f64_e32 v[6:7], v[26:27], v[40:41]
	v_fmac_f64_e32 v[4:5], v[28:29], v[40:41]
	;; [unrolled: 1-line block ×4, first 2 shown]
	s_barrier
	s_cbranch_vccz .LBB478_12
.LBB478_6:                              ; =>This Inner Loop Header: Depth=1
	v_mov_b64_e32 v[22:23], 0
	s_and_saveexec_b64 s[12:13], s[0:1]
	s_cbranch_execz .LBB478_10
; %bb.7:                                ;   in Loop: Header=BB478_6 Depth=1
	v_add_u32_e32 v16, s10, v10
	v_cmp_gt_u64_e32 vcc, s[8:9], v[16:17]
	v_mov_b64_e32 v[22:23], 0
	s_and_saveexec_b64 s[16:17], vcc
	s_cbranch_execz .LBB478_9
; %bb.8:                                ;   in Loop: Header=BB478_6 Depth=1
	v_mad_u64_u32 v[22:23], s[18:19], s14, v16, 0
	v_mov_b32_e32 v24, v23
	v_mad_u64_u32 v[24:25], s[18:19], s15, v16, v[24:25]
	v_mov_b32_e32 v23, v24
	v_lshl_add_u64 v[22:23], v[22:23], 3, v[12:13]
	flat_load_dwordx2 v[22:23], v[22:23]
.LBB478_9:                              ;   in Loop: Header=BB478_6 Depth=1
	s_or_b64 exec, exec, s[16:17]
.LBB478_10:                             ;   in Loop: Header=BB478_6 Depth=1
	s_or_b64 exec, exec, s[12:13]
	v_add_u32_e32 v16, s10, v8
	v_cmp_gt_u64_e32 vcc, s[8:9], v[16:17]
	s_waitcnt vmcnt(0) lgkmcnt(0)
	ds_write_b64 v18, v[22:23]
	s_and_b64 s[16:17], vcc, s[2:3]
	v_mov_b64_e32 v[22:23], 0
	s_and_saveexec_b64 s[12:13], s[16:17]
	s_cbranch_execz .LBB478_5
; %bb.11:                               ;   in Loop: Header=BB478_6 Depth=1
	v_mad_u64_u32 v[22:23], s[16:17], s20, v16, 0
	v_mov_b32_e32 v24, v23
	v_mad_u64_u32 v[24:25], s[16:17], s21, v16, v[24:25]
	v_mov_b32_e32 v23, v24
	v_lshl_add_u64 v[22:23], v[22:23], 3, v[14:15]
	flat_load_dwordx2 v[22:23], v[22:23]
	s_branch .LBB478_5
.LBB478_12:
	s_lshl_b64 s[0:1], s[30:31], 3
	s_waitcnt lgkmcnt(0)
	s_add_u32 s8, s4, s0
	v_add_u32_e32 v14, s26, v11
	s_addc_u32 s9, s5, s1
	v_add_u32_e32 v8, s25, v9
	v_ashrrev_i32_e32 v9, 31, v14
	v_mad_u64_u32 v[10:11], s[0:1], s28, v14, 0
	v_mul_lo_u32 v9, s28, v9
	v_mul_lo_u32 v12, s29, v14
	v_cmp_neq_f64_e64 s[0:1], s[6:7], 0
	v_add3_u32 v11, v11, v9, v12
	v_cmp_le_i32_e32 vcc, v14, v8
	v_cmp_gt_i32_e64 s[2:3], s24, v8
	v_cndmask_b32_e64 v12, 0, 1, s[0:1]
	v_lshl_add_u64 v[10:11], v[10:11], 3, s[8:9]
	s_and_b64 s[10:11], vcc, s[2:3]
	v_ashrrev_i32_e32 v9, 31, v8
	v_cmp_ne_u32_e64 s[0:1], 1, v12
	s_and_saveexec_b64 s[4:5], s[10:11]
	s_cbranch_execz .LBB478_16
; %bb.13:
	v_mul_f64 v[6:7], s[34:35], v[6:7]
	s_and_b64 vcc, exec, s[0:1]
	v_lshl_add_u64 v[12:13], v[8:9], 3, v[10:11]
	s_cbranch_vccnz .LBB478_15
; %bb.14:
	flat_load_dwordx2 v[16:17], v[12:13]
	s_waitcnt vmcnt(0) lgkmcnt(0)
	v_fmac_f64_e32 v[6:7], s[6:7], v[16:17]
.LBB478_15:
	flat_store_dwordx2 v[12:13], v[6:7]
.LBB478_16:
	s_or_b64 exec, exec, s[4:5]
	v_add_u32_e32 v6, 16, v8
	v_cmp_le_i32_e32 vcc, v14, v6
	v_cmp_gt_i32_e64 s[4:5], s24, v6
	s_and_b64 s[12:13], vcc, s[4:5]
	v_ashrrev_i32_e32 v7, 31, v6
	s_and_saveexec_b64 s[10:11], s[12:13]
	s_cbranch_execz .LBB478_20
; %bb.17:
	v_mul_f64 v[4:5], s[34:35], v[4:5]
	s_and_b64 vcc, exec, s[0:1]
	v_lshl_add_u64 v[10:11], v[6:7], 3, v[10:11]
	s_cbranch_vccnz .LBB478_19
; %bb.18:
	flat_load_dwordx2 v[12:13], v[10:11]
	s_waitcnt vmcnt(0) lgkmcnt(0)
	v_fmac_f64_e32 v[4:5], s[6:7], v[12:13]
.LBB478_19:
	flat_store_dwordx2 v[10:11], v[4:5]
.LBB478_20:
	s_or_b64 exec, exec, s[10:11]
	v_add_u32_e32 v10, 16, v14
	v_ashrrev_i32_e32 v4, 31, v10
	v_mul_lo_u32 v11, s28, v4
	v_mul_lo_u32 v12, s29, v10
	v_mad_u64_u32 v[4:5], s[10:11], s28, v10, 0
	v_add3_u32 v5, v5, v11, v12
	v_cmp_le_i32_e32 vcc, v10, v8
	v_lshl_add_u64 v[4:5], v[4:5], 3, s[8:9]
	s_and_b64 s[8:9], vcc, s[2:3]
	s_and_saveexec_b64 s[2:3], s[8:9]
	s_cbranch_execz .LBB478_24
; %bb.21:
	v_mul_f64 v[2:3], s[34:35], v[2:3]
	s_and_b64 vcc, exec, s[0:1]
	v_lshl_add_u64 v[8:9], v[8:9], 3, v[4:5]
	s_cbranch_vccnz .LBB478_23
; %bb.22:
	flat_load_dwordx2 v[12:13], v[8:9]
	s_waitcnt vmcnt(0) lgkmcnt(0)
	v_fmac_f64_e32 v[2:3], s[6:7], v[12:13]
.LBB478_23:
	flat_store_dwordx2 v[8:9], v[2:3]
.LBB478_24:
	s_or_b64 exec, exec, s[2:3]
	v_cmp_le_i32_e32 vcc, v10, v6
	s_and_b64 s[2:3], vcc, s[4:5]
	s_and_saveexec_b64 s[4:5], s[2:3]
	s_cbranch_execz .LBB478_28
; %bb.25:
	v_mul_f64 v[0:1], s[34:35], v[0:1]
	s_and_b64 vcc, exec, s[0:1]
	v_lshl_add_u64 v[2:3], v[6:7], 3, v[4:5]
	s_cbranch_vccnz .LBB478_27
; %bb.26:
	flat_load_dwordx2 v[4:5], v[2:3]
	s_waitcnt vmcnt(0) lgkmcnt(0)
	v_fmac_f64_e32 v[0:1], s[6:7], v[4:5]
.LBB478_27:
	flat_store_dwordx2 v[2:3], v[0:1]
.LBB478_28:
	s_endpgm
	.section	.rodata,"a",@progbits
	.p2align	6, 0x0
	.amdhsa_kernel _ZL29rocblas_internal_gemmt_kernelIlLi16ELi32ELi8ELc78ELc84ELc76ELb0ELb0EdPKdPKS1_PKPdEviT_T9_T10_S7_lS9_S7_lS8_T11_S7_li
		.amdhsa_group_segment_fixed_size 4096
		.amdhsa_private_segment_fixed_size 0
		.amdhsa_kernarg_size 108
		.amdhsa_user_sgpr_count 2
		.amdhsa_user_sgpr_dispatch_ptr 0
		.amdhsa_user_sgpr_queue_ptr 0
		.amdhsa_user_sgpr_kernarg_segment_ptr 1
		.amdhsa_user_sgpr_dispatch_id 0
		.amdhsa_user_sgpr_kernarg_preload_length 0
		.amdhsa_user_sgpr_kernarg_preload_offset 0
		.amdhsa_user_sgpr_private_segment_size 0
		.amdhsa_uses_dynamic_stack 0
		.amdhsa_enable_private_segment 0
		.amdhsa_system_sgpr_workgroup_id_x 1
		.amdhsa_system_sgpr_workgroup_id_y 1
		.amdhsa_system_sgpr_workgroup_id_z 1
		.amdhsa_system_sgpr_workgroup_info 0
		.amdhsa_system_vgpr_workitem_id 1
		.amdhsa_next_free_vgpr 54
		.amdhsa_next_free_sgpr 36
		.amdhsa_accum_offset 56
		.amdhsa_reserve_vcc 1
		.amdhsa_float_round_mode_32 0
		.amdhsa_float_round_mode_16_64 0
		.amdhsa_float_denorm_mode_32 3
		.amdhsa_float_denorm_mode_16_64 3
		.amdhsa_dx10_clamp 1
		.amdhsa_ieee_mode 1
		.amdhsa_fp16_overflow 0
		.amdhsa_tg_split 0
		.amdhsa_exception_fp_ieee_invalid_op 0
		.amdhsa_exception_fp_denorm_src 0
		.amdhsa_exception_fp_ieee_div_zero 0
		.amdhsa_exception_fp_ieee_overflow 0
		.amdhsa_exception_fp_ieee_underflow 0
		.amdhsa_exception_fp_ieee_inexact 0
		.amdhsa_exception_int_div_zero 0
	.end_amdhsa_kernel
	.section	.text._ZL29rocblas_internal_gemmt_kernelIlLi16ELi32ELi8ELc78ELc84ELc76ELb0ELb0EdPKdPKS1_PKPdEviT_T9_T10_S7_lS9_S7_lS8_T11_S7_li,"axG",@progbits,_ZL29rocblas_internal_gemmt_kernelIlLi16ELi32ELi8ELc78ELc84ELc76ELb0ELb0EdPKdPKS1_PKPdEviT_T9_T10_S7_lS9_S7_lS8_T11_S7_li,comdat
.Lfunc_end478:
	.size	_ZL29rocblas_internal_gemmt_kernelIlLi16ELi32ELi8ELc78ELc84ELc76ELb0ELb0EdPKdPKS1_PKPdEviT_T9_T10_S7_lS9_S7_lS8_T11_S7_li, .Lfunc_end478-_ZL29rocblas_internal_gemmt_kernelIlLi16ELi32ELi8ELc78ELc84ELc76ELb0ELb0EdPKdPKS1_PKPdEviT_T9_T10_S7_lS9_S7_lS8_T11_S7_li
                                        ; -- End function
	.set _ZL29rocblas_internal_gemmt_kernelIlLi16ELi32ELi8ELc78ELc84ELc76ELb0ELb0EdPKdPKS1_PKPdEviT_T9_T10_S7_lS9_S7_lS8_T11_S7_li.num_vgpr, 54
	.set _ZL29rocblas_internal_gemmt_kernelIlLi16ELi32ELi8ELc78ELc84ELc76ELb0ELb0EdPKdPKS1_PKPdEviT_T9_T10_S7_lS9_S7_lS8_T11_S7_li.num_agpr, 0
	.set _ZL29rocblas_internal_gemmt_kernelIlLi16ELi32ELi8ELc78ELc84ELc76ELb0ELb0EdPKdPKS1_PKPdEviT_T9_T10_S7_lS9_S7_lS8_T11_S7_li.numbered_sgpr, 36
	.set _ZL29rocblas_internal_gemmt_kernelIlLi16ELi32ELi8ELc78ELc84ELc76ELb0ELb0EdPKdPKS1_PKPdEviT_T9_T10_S7_lS9_S7_lS8_T11_S7_li.num_named_barrier, 0
	.set _ZL29rocblas_internal_gemmt_kernelIlLi16ELi32ELi8ELc78ELc84ELc76ELb0ELb0EdPKdPKS1_PKPdEviT_T9_T10_S7_lS9_S7_lS8_T11_S7_li.private_seg_size, 0
	.set _ZL29rocblas_internal_gemmt_kernelIlLi16ELi32ELi8ELc78ELc84ELc76ELb0ELb0EdPKdPKS1_PKPdEviT_T9_T10_S7_lS9_S7_lS8_T11_S7_li.uses_vcc, 1
	.set _ZL29rocblas_internal_gemmt_kernelIlLi16ELi32ELi8ELc78ELc84ELc76ELb0ELb0EdPKdPKS1_PKPdEviT_T9_T10_S7_lS9_S7_lS8_T11_S7_li.uses_flat_scratch, 0
	.set _ZL29rocblas_internal_gemmt_kernelIlLi16ELi32ELi8ELc78ELc84ELc76ELb0ELb0EdPKdPKS1_PKPdEviT_T9_T10_S7_lS9_S7_lS8_T11_S7_li.has_dyn_sized_stack, 0
	.set _ZL29rocblas_internal_gemmt_kernelIlLi16ELi32ELi8ELc78ELc84ELc76ELb0ELb0EdPKdPKS1_PKPdEviT_T9_T10_S7_lS9_S7_lS8_T11_S7_li.has_recursion, 0
	.set _ZL29rocblas_internal_gemmt_kernelIlLi16ELi32ELi8ELc78ELc84ELc76ELb0ELb0EdPKdPKS1_PKPdEviT_T9_T10_S7_lS9_S7_lS8_T11_S7_li.has_indirect_call, 0
	.section	.AMDGPU.csdata,"",@progbits
; Kernel info:
; codeLenInByte = 1344
; TotalNumSgprs: 42
; NumVgprs: 54
; NumAgprs: 0
; TotalNumVgprs: 54
; ScratchSize: 0
; MemoryBound: 0
; FloatMode: 240
; IeeeMode: 1
; LDSByteSize: 4096 bytes/workgroup (compile time only)
; SGPRBlocks: 5
; VGPRBlocks: 6
; NumSGPRsForWavesPerEU: 42
; NumVGPRsForWavesPerEU: 54
; AccumOffset: 56
; Occupancy: 8
; WaveLimiterHint : 1
; COMPUTE_PGM_RSRC2:SCRATCH_EN: 0
; COMPUTE_PGM_RSRC2:USER_SGPR: 2
; COMPUTE_PGM_RSRC2:TRAP_HANDLER: 0
; COMPUTE_PGM_RSRC2:TGID_X_EN: 1
; COMPUTE_PGM_RSRC2:TGID_Y_EN: 1
; COMPUTE_PGM_RSRC2:TGID_Z_EN: 1
; COMPUTE_PGM_RSRC2:TIDIG_COMP_CNT: 1
; COMPUTE_PGM_RSRC3_GFX90A:ACCUM_OFFSET: 13
; COMPUTE_PGM_RSRC3_GFX90A:TG_SPLIT: 0
	.section	.text._ZL29rocblas_internal_gemmt_kernelIlLi16ELi32ELi8ELc78ELc67ELc76ELb0ELb0EdPKdPKS1_PKPdEviT_T9_T10_S7_lS9_S7_lS8_T11_S7_li,"axG",@progbits,_ZL29rocblas_internal_gemmt_kernelIlLi16ELi32ELi8ELc78ELc67ELc76ELb0ELb0EdPKdPKS1_PKPdEviT_T9_T10_S7_lS9_S7_lS8_T11_S7_li,comdat
	.globl	_ZL29rocblas_internal_gemmt_kernelIlLi16ELi32ELi8ELc78ELc67ELc76ELb0ELb0EdPKdPKS1_PKPdEviT_T9_T10_S7_lS9_S7_lS8_T11_S7_li ; -- Begin function _ZL29rocblas_internal_gemmt_kernelIlLi16ELi32ELi8ELc78ELc67ELc76ELb0ELb0EdPKdPKS1_PKPdEviT_T9_T10_S7_lS9_S7_lS8_T11_S7_li
	.p2align	8
	.type	_ZL29rocblas_internal_gemmt_kernelIlLi16ELi32ELi8ELc78ELc67ELc76ELb0ELb0EdPKdPKS1_PKPdEviT_T9_T10_S7_lS9_S7_lS8_T11_S7_li,@function
_ZL29rocblas_internal_gemmt_kernelIlLi16ELi32ELi8ELc78ELc67ELc76ELb0ELb0EdPKdPKS1_PKPdEviT_T9_T10_S7_lS9_S7_lS8_T11_S7_li: ; @_ZL29rocblas_internal_gemmt_kernelIlLi16ELi32ELi8ELc78ELc67ELc76ELb0ELb0EdPKdPKS1_PKPdEviT_T9_T10_S7_lS9_S7_lS8_T11_S7_li
; %bb.0:
	s_load_dwordx8 s[24:31], s[0:1], 0x48
	s_load_dwordx16 s[8:23], s[0:1], 0x8
	s_waitcnt lgkmcnt(0)
	s_load_dwordx2 s[6:7], s[24:25], 0x0
	s_load_dwordx2 s[34:35], s[10:11], 0x0
	s_waitcnt lgkmcnt(0)
	v_cmp_neq_f64_e64 s[10:11], s[6:7], 1.0
	s_and_b64 vcc, exec, s[10:11]
	s_cbranch_vccnz .LBB479_2
; %bb.1:
	s_cmp_lg_u64 s[8:9], 0
	s_cselect_b64 s[10:11], -1, 0
	v_cmp_neq_f64_e64 s[24:25], s[34:35], 0
	s_and_b64 s[10:11], s[10:11], s[24:25]
.LBB479_2:
	s_andn2_b64 vcc, exec, s[10:11]
	s_cbranch_vccnz .LBB479_28
; %bb.3:
	s_mov_b32 s5, 0
	s_load_dword s24, s[0:1], 0x0
	s_lshl_b64 s[0:1], s[4:5], 3
	s_add_u32 s4, s26, s0
	s_addc_u32 s5, s27, s1
	s_load_dwordx2 s[4:5], s[4:5], 0x0
	s_lshl_b32 s25, s2, 5
	s_lshl_b32 s26, s3, 5
	v_cmp_eq_f64_e64 s[2:3], s[34:35], 0
	v_cmp_lt_i64_e64 s[10:11], s[8:9], 1
	s_or_b64 s[2:3], s[2:3], s[10:11]
	v_and_b32_e32 v9, 0x3ff, v0
	v_bfe_u32 v11, v0, 10, 10
	v_mov_b64_e32 v[6:7], 0
	s_and_b64 vcc, exec, s[2:3]
	v_mov_b64_e32 v[4:5], 0
	v_mov_b64_e32 v[2:3], 0
	;; [unrolled: 1-line block ×3, first 2 shown]
	s_cbranch_vccnz .LBB479_12
; %bb.4:
	s_add_u32 s2, s18, s0
	s_addc_u32 s3, s19, s1
	s_load_dwordx2 s[2:3], s[2:3], 0x0
	s_lshl_b64 s[10:11], s[22:23], 3
	v_lshl_add_u32 v1, v11, 4, v9
	v_lshrrev_b32_e32 v10, 5, v1
	v_lshrrev_b32_e32 v4, 3, v1
	s_waitcnt lgkmcnt(0)
	s_add_u32 s10, s2, s10
	s_addc_u32 s11, s3, s11
	s_add_u32 s0, s12, s0
	s_addc_u32 s1, s13, s1
	s_load_dwordx2 s[0:1], s[0:1], 0x0
	v_and_b32_e32 v1, 31, v1
	v_and_b32_e32 v8, 7, v9
	v_or_b32_e32 v2, s25, v1
	v_lshlrev_b32_e32 v1, 3, v1
	s_lshl_b64 s[2:3], s[16:17], 3
	v_lshl_or_b32 v18, v10, 8, v1
	v_lshlrev_b32_e32 v1, 3, v8
	v_add_u32_e32 v0, s26, v4
	s_waitcnt lgkmcnt(0)
	s_add_u32 s2, s0, s2
	v_lshl_or_b32 v1, v4, 6, v1
	s_addc_u32 s3, s1, s3
	v_ashrrev_i32_e32 v3, 31, v2
	v_add_u32_e32 v19, 0x800, v1
	v_ashrrev_i32_e32 v1, 31, v0
	v_lshl_add_u64 v[12:13], v[2:3], 3, s[2:3]
	v_cmp_gt_i32_e64 s[2:3], s24, v0
	v_lshl_add_u64 v[14:15], v[0:1], 3, s[10:11]
	v_mov_b32_e32 v0, 0x800
	v_cmp_gt_i32_e64 s[0:1], s24, v2
	v_lshlrev_b32_e32 v20, 3, v9
	v_lshl_add_u32 v21, v11, 6, v0
	v_mov_b32_e32 v17, 0
	v_mov_b64_e32 v[0:1], 0
	s_mov_b64 s[10:11], 0
	v_mov_b64_e32 v[2:3], 0
	v_mov_b64_e32 v[4:5], 0
	;; [unrolled: 1-line block ×3, first 2 shown]
	s_branch .LBB479_6
.LBB479_5:                              ;   in Loop: Header=BB479_6 Depth=1
	s_or_b64 exec, exec, s[12:13]
	s_waitcnt vmcnt(0) lgkmcnt(0)
	ds_write_b64 v19, v[22:23]
	s_waitcnt lgkmcnt(0)
	s_barrier
	ds_read2_b64 v[22:25], v20 offset1:16
	ds_read_b128 v[26:29], v21
	ds_read_b128 v[30:33], v21 offset:16
	ds_read_b128 v[34:37], v21 offset:32
	ds_read_b128 v[38:41], v21 offset:48
	ds_read_b128 v[42:45], v21 offset:1024
	ds_read2_b64 v[46:49], v20 offset0:32 offset1:48
	s_waitcnt lgkmcnt(5)
	v_fmac_f64_e32 v[6:7], v[22:23], v[26:27]
	v_fmac_f64_e32 v[4:5], v[24:25], v[26:27]
	ds_read_b128 v[50:53], v21 offset:1040
	s_waitcnt lgkmcnt(2)
	v_fmac_f64_e32 v[2:3], v[22:23], v[42:43]
	v_fmac_f64_e32 v[0:1], v[24:25], v[42:43]
	ds_read2_b64 v[22:25], v20 offset0:64 offset1:80
	s_waitcnt lgkmcnt(2)
	v_fmac_f64_e32 v[6:7], v[46:47], v[28:29]
	v_fmac_f64_e32 v[4:5], v[48:49], v[28:29]
	ds_read2_b64 v[26:29], v20 offset0:96 offset1:112
	v_fmac_f64_e32 v[2:3], v[46:47], v[44:45]
	v_fmac_f64_e32 v[0:1], v[48:49], v[44:45]
	s_waitcnt lgkmcnt(1)
	v_fmac_f64_e32 v[6:7], v[22:23], v[30:31]
	v_fmac_f64_e32 v[4:5], v[24:25], v[30:31]
	ds_read_b128 v[42:45], v21 offset:1072
	v_fmac_f64_e32 v[2:3], v[22:23], v[50:51]
	v_fmac_f64_e32 v[0:1], v[24:25], v[50:51]
	s_waitcnt lgkmcnt(1)
	v_fmac_f64_e32 v[6:7], v[26:27], v[32:33]
	ds_read2_b64 v[22:25], v20 offset0:128 offset1:144
	v_fmac_f64_e32 v[4:5], v[28:29], v[32:33]
	v_fmac_f64_e32 v[2:3], v[26:27], v[52:53]
	;; [unrolled: 1-line block ×3, first 2 shown]
	ds_read_b128 v[26:29], v21 offset:1056
	ds_read2_b64 v[30:33], v20 offset0:160 offset1:176
	s_waitcnt lgkmcnt(2)
	v_fmac_f64_e32 v[6:7], v[22:23], v[34:35]
	v_fmac_f64_e32 v[4:5], v[24:25], v[34:35]
	s_add_u32 s10, s10, 8
	s_waitcnt lgkmcnt(1)
	v_fmac_f64_e32 v[2:3], v[22:23], v[26:27]
	v_fmac_f64_e32 v[0:1], v[24:25], v[26:27]
	ds_read2_b64 v[22:25], v20 offset0:192 offset1:208
	s_waitcnt lgkmcnt(1)
	v_fmac_f64_e32 v[2:3], v[30:31], v[28:29]
	v_fmac_f64_e32 v[0:1], v[32:33], v[28:29]
	ds_read2_b64 v[26:29], v20 offset0:224 offset1:240
	v_fmac_f64_e32 v[6:7], v[30:31], v[36:37]
	s_addc_u32 s11, s11, 0
	v_fmac_f64_e32 v[4:5], v[32:33], v[36:37]
	s_waitcnt lgkmcnt(1)
	v_fmac_f64_e32 v[6:7], v[22:23], v[38:39]
	v_fmac_f64_e32 v[2:3], v[22:23], v[42:43]
	v_mov_b64_e32 v[22:23], s[10:11]
	v_fmac_f64_e32 v[4:5], v[24:25], v[38:39]
	v_fmac_f64_e32 v[0:1], v[24:25], v[42:43]
	v_cmp_gt_i64_e32 vcc, s[8:9], v[22:23]
	s_waitcnt lgkmcnt(0)
	v_fmac_f64_e32 v[6:7], v[26:27], v[40:41]
	v_fmac_f64_e32 v[4:5], v[28:29], v[40:41]
	;; [unrolled: 1-line block ×4, first 2 shown]
	s_barrier
	s_cbranch_vccz .LBB479_12
.LBB479_6:                              ; =>This Inner Loop Header: Depth=1
	v_mov_b64_e32 v[22:23], 0
	s_and_saveexec_b64 s[12:13], s[0:1]
	s_cbranch_execz .LBB479_10
; %bb.7:                                ;   in Loop: Header=BB479_6 Depth=1
	v_add_u32_e32 v16, s10, v10
	v_cmp_gt_u64_e32 vcc, s[8:9], v[16:17]
	v_mov_b64_e32 v[22:23], 0
	s_and_saveexec_b64 s[16:17], vcc
	s_cbranch_execz .LBB479_9
; %bb.8:                                ;   in Loop: Header=BB479_6 Depth=1
	v_mad_u64_u32 v[22:23], s[18:19], s14, v16, 0
	v_mov_b32_e32 v24, v23
	v_mad_u64_u32 v[24:25], s[18:19], s15, v16, v[24:25]
	v_mov_b32_e32 v23, v24
	v_lshl_add_u64 v[22:23], v[22:23], 3, v[12:13]
	flat_load_dwordx2 v[22:23], v[22:23]
.LBB479_9:                              ;   in Loop: Header=BB479_6 Depth=1
	s_or_b64 exec, exec, s[16:17]
.LBB479_10:                             ;   in Loop: Header=BB479_6 Depth=1
	s_or_b64 exec, exec, s[12:13]
	v_add_u32_e32 v16, s10, v8
	v_cmp_gt_u64_e32 vcc, s[8:9], v[16:17]
	s_waitcnt vmcnt(0) lgkmcnt(0)
	ds_write_b64 v18, v[22:23]
	s_and_b64 s[16:17], vcc, s[2:3]
	v_mov_b64_e32 v[22:23], 0
	s_and_saveexec_b64 s[12:13], s[16:17]
	s_cbranch_execz .LBB479_5
; %bb.11:                               ;   in Loop: Header=BB479_6 Depth=1
	v_mad_u64_u32 v[22:23], s[16:17], s20, v16, 0
	v_mov_b32_e32 v24, v23
	v_mad_u64_u32 v[24:25], s[16:17], s21, v16, v[24:25]
	v_mov_b32_e32 v23, v24
	v_lshl_add_u64 v[22:23], v[22:23], 3, v[14:15]
	flat_load_dwordx2 v[22:23], v[22:23]
	s_branch .LBB479_5
.LBB479_12:
	s_lshl_b64 s[0:1], s[30:31], 3
	s_waitcnt lgkmcnt(0)
	s_add_u32 s8, s4, s0
	v_add_u32_e32 v14, s26, v11
	s_addc_u32 s9, s5, s1
	v_add_u32_e32 v8, s25, v9
	v_ashrrev_i32_e32 v9, 31, v14
	v_mad_u64_u32 v[10:11], s[0:1], s28, v14, 0
	v_mul_lo_u32 v9, s28, v9
	v_mul_lo_u32 v12, s29, v14
	v_cmp_neq_f64_e64 s[0:1], s[6:7], 0
	v_add3_u32 v11, v11, v9, v12
	v_cmp_le_i32_e32 vcc, v14, v8
	v_cmp_gt_i32_e64 s[2:3], s24, v8
	v_cndmask_b32_e64 v12, 0, 1, s[0:1]
	v_lshl_add_u64 v[10:11], v[10:11], 3, s[8:9]
	s_and_b64 s[10:11], vcc, s[2:3]
	v_ashrrev_i32_e32 v9, 31, v8
	v_cmp_ne_u32_e64 s[0:1], 1, v12
	s_and_saveexec_b64 s[4:5], s[10:11]
	s_cbranch_execz .LBB479_16
; %bb.13:
	v_mul_f64 v[6:7], s[34:35], v[6:7]
	s_and_b64 vcc, exec, s[0:1]
	v_lshl_add_u64 v[12:13], v[8:9], 3, v[10:11]
	s_cbranch_vccnz .LBB479_15
; %bb.14:
	flat_load_dwordx2 v[16:17], v[12:13]
	s_waitcnt vmcnt(0) lgkmcnt(0)
	v_fmac_f64_e32 v[6:7], s[6:7], v[16:17]
.LBB479_15:
	flat_store_dwordx2 v[12:13], v[6:7]
.LBB479_16:
	s_or_b64 exec, exec, s[4:5]
	v_add_u32_e32 v6, 16, v8
	v_cmp_le_i32_e32 vcc, v14, v6
	v_cmp_gt_i32_e64 s[4:5], s24, v6
	s_and_b64 s[12:13], vcc, s[4:5]
	v_ashrrev_i32_e32 v7, 31, v6
	s_and_saveexec_b64 s[10:11], s[12:13]
	s_cbranch_execz .LBB479_20
; %bb.17:
	v_mul_f64 v[4:5], s[34:35], v[4:5]
	s_and_b64 vcc, exec, s[0:1]
	v_lshl_add_u64 v[10:11], v[6:7], 3, v[10:11]
	s_cbranch_vccnz .LBB479_19
; %bb.18:
	flat_load_dwordx2 v[12:13], v[10:11]
	s_waitcnt vmcnt(0) lgkmcnt(0)
	v_fmac_f64_e32 v[4:5], s[6:7], v[12:13]
.LBB479_19:
	flat_store_dwordx2 v[10:11], v[4:5]
.LBB479_20:
	s_or_b64 exec, exec, s[10:11]
	v_add_u32_e32 v10, 16, v14
	v_ashrrev_i32_e32 v4, 31, v10
	v_mul_lo_u32 v11, s28, v4
	v_mul_lo_u32 v12, s29, v10
	v_mad_u64_u32 v[4:5], s[10:11], s28, v10, 0
	v_add3_u32 v5, v5, v11, v12
	v_cmp_le_i32_e32 vcc, v10, v8
	v_lshl_add_u64 v[4:5], v[4:5], 3, s[8:9]
	s_and_b64 s[8:9], vcc, s[2:3]
	s_and_saveexec_b64 s[2:3], s[8:9]
	s_cbranch_execz .LBB479_24
; %bb.21:
	v_mul_f64 v[2:3], s[34:35], v[2:3]
	s_and_b64 vcc, exec, s[0:1]
	v_lshl_add_u64 v[8:9], v[8:9], 3, v[4:5]
	s_cbranch_vccnz .LBB479_23
; %bb.22:
	flat_load_dwordx2 v[12:13], v[8:9]
	s_waitcnt vmcnt(0) lgkmcnt(0)
	v_fmac_f64_e32 v[2:3], s[6:7], v[12:13]
.LBB479_23:
	flat_store_dwordx2 v[8:9], v[2:3]
.LBB479_24:
	s_or_b64 exec, exec, s[2:3]
	v_cmp_le_i32_e32 vcc, v10, v6
	s_and_b64 s[2:3], vcc, s[4:5]
	s_and_saveexec_b64 s[4:5], s[2:3]
	s_cbranch_execz .LBB479_28
; %bb.25:
	v_mul_f64 v[0:1], s[34:35], v[0:1]
	s_and_b64 vcc, exec, s[0:1]
	v_lshl_add_u64 v[2:3], v[6:7], 3, v[4:5]
	s_cbranch_vccnz .LBB479_27
; %bb.26:
	flat_load_dwordx2 v[4:5], v[2:3]
	s_waitcnt vmcnt(0) lgkmcnt(0)
	v_fmac_f64_e32 v[0:1], s[6:7], v[4:5]
.LBB479_27:
	flat_store_dwordx2 v[2:3], v[0:1]
.LBB479_28:
	s_endpgm
	.section	.rodata,"a",@progbits
	.p2align	6, 0x0
	.amdhsa_kernel _ZL29rocblas_internal_gemmt_kernelIlLi16ELi32ELi8ELc78ELc67ELc76ELb0ELb0EdPKdPKS1_PKPdEviT_T9_T10_S7_lS9_S7_lS8_T11_S7_li
		.amdhsa_group_segment_fixed_size 4096
		.amdhsa_private_segment_fixed_size 0
		.amdhsa_kernarg_size 108
		.amdhsa_user_sgpr_count 2
		.amdhsa_user_sgpr_dispatch_ptr 0
		.amdhsa_user_sgpr_queue_ptr 0
		.amdhsa_user_sgpr_kernarg_segment_ptr 1
		.amdhsa_user_sgpr_dispatch_id 0
		.amdhsa_user_sgpr_kernarg_preload_length 0
		.amdhsa_user_sgpr_kernarg_preload_offset 0
		.amdhsa_user_sgpr_private_segment_size 0
		.amdhsa_uses_dynamic_stack 0
		.amdhsa_enable_private_segment 0
		.amdhsa_system_sgpr_workgroup_id_x 1
		.amdhsa_system_sgpr_workgroup_id_y 1
		.amdhsa_system_sgpr_workgroup_id_z 1
		.amdhsa_system_sgpr_workgroup_info 0
		.amdhsa_system_vgpr_workitem_id 1
		.amdhsa_next_free_vgpr 54
		.amdhsa_next_free_sgpr 36
		.amdhsa_accum_offset 56
		.amdhsa_reserve_vcc 1
		.amdhsa_float_round_mode_32 0
		.amdhsa_float_round_mode_16_64 0
		.amdhsa_float_denorm_mode_32 3
		.amdhsa_float_denorm_mode_16_64 3
		.amdhsa_dx10_clamp 1
		.amdhsa_ieee_mode 1
		.amdhsa_fp16_overflow 0
		.amdhsa_tg_split 0
		.amdhsa_exception_fp_ieee_invalid_op 0
		.amdhsa_exception_fp_denorm_src 0
		.amdhsa_exception_fp_ieee_div_zero 0
		.amdhsa_exception_fp_ieee_overflow 0
		.amdhsa_exception_fp_ieee_underflow 0
		.amdhsa_exception_fp_ieee_inexact 0
		.amdhsa_exception_int_div_zero 0
	.end_amdhsa_kernel
	.section	.text._ZL29rocblas_internal_gemmt_kernelIlLi16ELi32ELi8ELc78ELc67ELc76ELb0ELb0EdPKdPKS1_PKPdEviT_T9_T10_S7_lS9_S7_lS8_T11_S7_li,"axG",@progbits,_ZL29rocblas_internal_gemmt_kernelIlLi16ELi32ELi8ELc78ELc67ELc76ELb0ELb0EdPKdPKS1_PKPdEviT_T9_T10_S7_lS9_S7_lS8_T11_S7_li,comdat
.Lfunc_end479:
	.size	_ZL29rocblas_internal_gemmt_kernelIlLi16ELi32ELi8ELc78ELc67ELc76ELb0ELb0EdPKdPKS1_PKPdEviT_T9_T10_S7_lS9_S7_lS8_T11_S7_li, .Lfunc_end479-_ZL29rocblas_internal_gemmt_kernelIlLi16ELi32ELi8ELc78ELc67ELc76ELb0ELb0EdPKdPKS1_PKPdEviT_T9_T10_S7_lS9_S7_lS8_T11_S7_li
                                        ; -- End function
	.set _ZL29rocblas_internal_gemmt_kernelIlLi16ELi32ELi8ELc78ELc67ELc76ELb0ELb0EdPKdPKS1_PKPdEviT_T9_T10_S7_lS9_S7_lS8_T11_S7_li.num_vgpr, 54
	.set _ZL29rocblas_internal_gemmt_kernelIlLi16ELi32ELi8ELc78ELc67ELc76ELb0ELb0EdPKdPKS1_PKPdEviT_T9_T10_S7_lS9_S7_lS8_T11_S7_li.num_agpr, 0
	.set _ZL29rocblas_internal_gemmt_kernelIlLi16ELi32ELi8ELc78ELc67ELc76ELb0ELb0EdPKdPKS1_PKPdEviT_T9_T10_S7_lS9_S7_lS8_T11_S7_li.numbered_sgpr, 36
	.set _ZL29rocblas_internal_gemmt_kernelIlLi16ELi32ELi8ELc78ELc67ELc76ELb0ELb0EdPKdPKS1_PKPdEviT_T9_T10_S7_lS9_S7_lS8_T11_S7_li.num_named_barrier, 0
	.set _ZL29rocblas_internal_gemmt_kernelIlLi16ELi32ELi8ELc78ELc67ELc76ELb0ELb0EdPKdPKS1_PKPdEviT_T9_T10_S7_lS9_S7_lS8_T11_S7_li.private_seg_size, 0
	.set _ZL29rocblas_internal_gemmt_kernelIlLi16ELi32ELi8ELc78ELc67ELc76ELb0ELb0EdPKdPKS1_PKPdEviT_T9_T10_S7_lS9_S7_lS8_T11_S7_li.uses_vcc, 1
	.set _ZL29rocblas_internal_gemmt_kernelIlLi16ELi32ELi8ELc78ELc67ELc76ELb0ELb0EdPKdPKS1_PKPdEviT_T9_T10_S7_lS9_S7_lS8_T11_S7_li.uses_flat_scratch, 0
	.set _ZL29rocblas_internal_gemmt_kernelIlLi16ELi32ELi8ELc78ELc67ELc76ELb0ELb0EdPKdPKS1_PKPdEviT_T9_T10_S7_lS9_S7_lS8_T11_S7_li.has_dyn_sized_stack, 0
	.set _ZL29rocblas_internal_gemmt_kernelIlLi16ELi32ELi8ELc78ELc67ELc76ELb0ELb0EdPKdPKS1_PKPdEviT_T9_T10_S7_lS9_S7_lS8_T11_S7_li.has_recursion, 0
	.set _ZL29rocblas_internal_gemmt_kernelIlLi16ELi32ELi8ELc78ELc67ELc76ELb0ELb0EdPKdPKS1_PKPdEviT_T9_T10_S7_lS9_S7_lS8_T11_S7_li.has_indirect_call, 0
	.section	.AMDGPU.csdata,"",@progbits
; Kernel info:
; codeLenInByte = 1344
; TotalNumSgprs: 42
; NumVgprs: 54
; NumAgprs: 0
; TotalNumVgprs: 54
; ScratchSize: 0
; MemoryBound: 0
; FloatMode: 240
; IeeeMode: 1
; LDSByteSize: 4096 bytes/workgroup (compile time only)
; SGPRBlocks: 5
; VGPRBlocks: 6
; NumSGPRsForWavesPerEU: 42
; NumVGPRsForWavesPerEU: 54
; AccumOffset: 56
; Occupancy: 8
; WaveLimiterHint : 1
; COMPUTE_PGM_RSRC2:SCRATCH_EN: 0
; COMPUTE_PGM_RSRC2:USER_SGPR: 2
; COMPUTE_PGM_RSRC2:TRAP_HANDLER: 0
; COMPUTE_PGM_RSRC2:TGID_X_EN: 1
; COMPUTE_PGM_RSRC2:TGID_Y_EN: 1
; COMPUTE_PGM_RSRC2:TGID_Z_EN: 1
; COMPUTE_PGM_RSRC2:TIDIG_COMP_CNT: 1
; COMPUTE_PGM_RSRC3_GFX90A:ACCUM_OFFSET: 13
; COMPUTE_PGM_RSRC3_GFX90A:TG_SPLIT: 0
	.section	.text._ZL29rocblas_internal_gemmt_kernelIlLi16ELi32ELi8ELc84ELc78ELc76ELb0ELb0EdPKdPKS1_PKPdEviT_T9_T10_S7_lS9_S7_lS8_T11_S7_li,"axG",@progbits,_ZL29rocblas_internal_gemmt_kernelIlLi16ELi32ELi8ELc84ELc78ELc76ELb0ELb0EdPKdPKS1_PKPdEviT_T9_T10_S7_lS9_S7_lS8_T11_S7_li,comdat
	.globl	_ZL29rocblas_internal_gemmt_kernelIlLi16ELi32ELi8ELc84ELc78ELc76ELb0ELb0EdPKdPKS1_PKPdEviT_T9_T10_S7_lS9_S7_lS8_T11_S7_li ; -- Begin function _ZL29rocblas_internal_gemmt_kernelIlLi16ELi32ELi8ELc84ELc78ELc76ELb0ELb0EdPKdPKS1_PKPdEviT_T9_T10_S7_lS9_S7_lS8_T11_S7_li
	.p2align	8
	.type	_ZL29rocblas_internal_gemmt_kernelIlLi16ELi32ELi8ELc84ELc78ELc76ELb0ELb0EdPKdPKS1_PKPdEviT_T9_T10_S7_lS9_S7_lS8_T11_S7_li,@function
_ZL29rocblas_internal_gemmt_kernelIlLi16ELi32ELi8ELc84ELc78ELc76ELb0ELb0EdPKdPKS1_PKPdEviT_T9_T10_S7_lS9_S7_lS8_T11_S7_li: ; @_ZL29rocblas_internal_gemmt_kernelIlLi16ELi32ELi8ELc84ELc78ELc76ELb0ELb0EdPKdPKS1_PKPdEviT_T9_T10_S7_lS9_S7_lS8_T11_S7_li
; %bb.0:
	s_load_dwordx8 s[24:31], s[0:1], 0x48
	s_load_dwordx16 s[8:23], s[0:1], 0x8
	s_waitcnt lgkmcnt(0)
	s_load_dwordx2 s[6:7], s[24:25], 0x0
	s_load_dwordx2 s[34:35], s[10:11], 0x0
	s_waitcnt lgkmcnt(0)
	v_cmp_neq_f64_e64 s[10:11], s[6:7], 1.0
	s_and_b64 vcc, exec, s[10:11]
	s_cbranch_vccnz .LBB480_2
; %bb.1:
	s_cmp_lg_u64 s[8:9], 0
	s_cselect_b64 s[10:11], -1, 0
	v_cmp_neq_f64_e64 s[24:25], s[34:35], 0
	s_and_b64 s[10:11], s[10:11], s[24:25]
.LBB480_2:
	s_andn2_b64 vcc, exec, s[10:11]
	s_cbranch_vccnz .LBB480_28
; %bb.3:
	s_mov_b32 s5, 0
	s_load_dword s24, s[0:1], 0x0
	s_lshl_b64 s[0:1], s[4:5], 3
	s_add_u32 s4, s26, s0
	s_addc_u32 s5, s27, s1
	s_load_dwordx2 s[4:5], s[4:5], 0x0
	s_lshl_b32 s25, s2, 5
	s_lshl_b32 s26, s3, 5
	v_cmp_eq_f64_e64 s[2:3], s[34:35], 0
	v_cmp_lt_i64_e64 s[10:11], s[8:9], 1
	s_or_b64 s[2:3], s[2:3], s[10:11]
	v_and_b32_e32 v9, 0x3ff, v0
	v_bfe_u32 v11, v0, 10, 10
	v_mov_b64_e32 v[6:7], 0
	s_and_b64 vcc, exec, s[2:3]
	v_mov_b64_e32 v[4:5], 0
	v_mov_b64_e32 v[2:3], 0
	;; [unrolled: 1-line block ×3, first 2 shown]
	s_cbranch_vccnz .LBB480_12
; %bb.4:
	s_add_u32 s2, s18, s0
	s_addc_u32 s3, s19, s1
	s_load_dwordx2 s[2:3], s[2:3], 0x0
	s_lshl_b64 s[10:11], s[22:23], 3
	v_lshl_add_u32 v0, v11, 4, v9
	v_lshrrev_b32_e32 v10, 5, v0
	v_lshrrev_b32_e32 v2, 3, v0
	s_waitcnt lgkmcnt(0)
	s_add_u32 s10, s2, s10
	s_addc_u32 s11, s3, s11
	s_add_u32 s0, s12, s0
	s_addc_u32 s1, s13, s1
	s_load_dwordx2 s[0:1], s[0:1], 0x0
	v_and_b32_e32 v0, 31, v0
	s_lshl_b64 s[2:3], s[16:17], 3
	v_or_b32_e32 v1, s25, v0
	v_lshlrev_b32_e32 v0, 3, v0
	s_waitcnt lgkmcnt(0)
	s_add_u32 s2, s0, s2
	s_addc_u32 s3, s1, s3
	v_cmp_gt_i32_e64 s[0:1], s24, v1
	v_lshl_or_b32 v18, v10, 8, v0
	s_ashr_i32 s16, s25, 31
	v_mul_lo_u32 v4, s15, v1
	v_mad_u64_u32 v[0:1], s[12:13], s14, v1, 0
	s_mul_i32 s12, s14, s16
	v_and_b32_e32 v8, 7, v9
	v_add3_u32 v1, v1, s12, v4
	v_lshl_add_u64 v[12:13], v[0:1], 3, s[2:3]
	v_lshlrev_b32_e32 v0, 3, v8
	v_add_u32_e32 v3, s26, v2
	v_lshl_or_b32 v0, v2, 6, v0
	v_add_u32_e32 v19, 0x800, v0
	v_ashrrev_i32_e32 v0, 31, v3
	v_mul_lo_u32 v2, s20, v0
	v_mul_lo_u32 v4, s21, v3
	v_mad_u64_u32 v[0:1], s[12:13], s20, v3, 0
	v_add3_u32 v1, v1, v2, v4
	v_lshl_add_u64 v[14:15], v[0:1], 3, s[10:11]
	v_mov_b32_e32 v0, 0x800
	v_cmp_gt_i32_e64 s[2:3], s24, v3
	v_lshlrev_b32_e32 v20, 3, v9
	v_lshl_add_u32 v21, v11, 6, v0
	v_mov_b32_e32 v17, 0
	v_mov_b64_e32 v[0:1], 0
	s_mov_b64 s[10:11], 0
	v_mov_b64_e32 v[2:3], 0
	v_mov_b64_e32 v[4:5], 0
	;; [unrolled: 1-line block ×3, first 2 shown]
	s_branch .LBB480_6
.LBB480_5:                              ;   in Loop: Header=BB480_6 Depth=1
	s_or_b64 exec, exec, s[12:13]
	s_waitcnt vmcnt(0) lgkmcnt(0)
	ds_write_b64 v19, v[22:23]
	s_waitcnt lgkmcnt(0)
	s_barrier
	ds_read2_b64 v[22:25], v20 offset1:16
	ds_read_b128 v[26:29], v21
	ds_read_b128 v[30:33], v21 offset:16
	ds_read_b128 v[34:37], v21 offset:32
	;; [unrolled: 1-line block ×4, first 2 shown]
	ds_read2_b64 v[46:49], v20 offset0:32 offset1:48
	s_waitcnt lgkmcnt(5)
	v_fmac_f64_e32 v[6:7], v[22:23], v[26:27]
	v_fmac_f64_e32 v[4:5], v[24:25], v[26:27]
	ds_read_b128 v[50:53], v21 offset:1040
	s_waitcnt lgkmcnt(2)
	v_fmac_f64_e32 v[2:3], v[22:23], v[42:43]
	v_fmac_f64_e32 v[0:1], v[24:25], v[42:43]
	ds_read2_b64 v[22:25], v20 offset0:64 offset1:80
	s_waitcnt lgkmcnt(2)
	v_fmac_f64_e32 v[6:7], v[46:47], v[28:29]
	v_fmac_f64_e32 v[4:5], v[48:49], v[28:29]
	ds_read2_b64 v[26:29], v20 offset0:96 offset1:112
	v_fmac_f64_e32 v[2:3], v[46:47], v[44:45]
	v_fmac_f64_e32 v[0:1], v[48:49], v[44:45]
	s_waitcnt lgkmcnt(1)
	v_fmac_f64_e32 v[6:7], v[22:23], v[30:31]
	v_fmac_f64_e32 v[4:5], v[24:25], v[30:31]
	ds_read_b128 v[42:45], v21 offset:1072
	v_fmac_f64_e32 v[2:3], v[22:23], v[50:51]
	v_fmac_f64_e32 v[0:1], v[24:25], v[50:51]
	s_waitcnt lgkmcnt(1)
	v_fmac_f64_e32 v[6:7], v[26:27], v[32:33]
	ds_read2_b64 v[22:25], v20 offset0:128 offset1:144
	v_fmac_f64_e32 v[4:5], v[28:29], v[32:33]
	v_fmac_f64_e32 v[2:3], v[26:27], v[52:53]
	;; [unrolled: 1-line block ×3, first 2 shown]
	ds_read_b128 v[26:29], v21 offset:1056
	ds_read2_b64 v[30:33], v20 offset0:160 offset1:176
	s_waitcnt lgkmcnt(2)
	v_fmac_f64_e32 v[6:7], v[22:23], v[34:35]
	v_fmac_f64_e32 v[4:5], v[24:25], v[34:35]
	s_add_u32 s10, s10, 8
	s_waitcnt lgkmcnt(1)
	v_fmac_f64_e32 v[2:3], v[22:23], v[26:27]
	v_fmac_f64_e32 v[0:1], v[24:25], v[26:27]
	ds_read2_b64 v[22:25], v20 offset0:192 offset1:208
	s_waitcnt lgkmcnt(1)
	v_fmac_f64_e32 v[2:3], v[30:31], v[28:29]
	v_fmac_f64_e32 v[0:1], v[32:33], v[28:29]
	ds_read2_b64 v[26:29], v20 offset0:224 offset1:240
	v_fmac_f64_e32 v[6:7], v[30:31], v[36:37]
	s_addc_u32 s11, s11, 0
	v_fmac_f64_e32 v[4:5], v[32:33], v[36:37]
	s_waitcnt lgkmcnt(1)
	v_fmac_f64_e32 v[6:7], v[22:23], v[38:39]
	v_fmac_f64_e32 v[2:3], v[22:23], v[42:43]
	v_mov_b64_e32 v[22:23], s[10:11]
	v_fmac_f64_e32 v[4:5], v[24:25], v[38:39]
	v_fmac_f64_e32 v[0:1], v[24:25], v[42:43]
	v_cmp_gt_i64_e32 vcc, s[8:9], v[22:23]
	s_waitcnt lgkmcnt(0)
	v_fmac_f64_e32 v[6:7], v[26:27], v[40:41]
	v_fmac_f64_e32 v[4:5], v[28:29], v[40:41]
	;; [unrolled: 1-line block ×4, first 2 shown]
	s_barrier
	s_cbranch_vccz .LBB480_12
.LBB480_6:                              ; =>This Inner Loop Header: Depth=1
	v_mov_b64_e32 v[22:23], 0
	s_and_saveexec_b64 s[12:13], s[0:1]
	s_cbranch_execz .LBB480_10
; %bb.7:                                ;   in Loop: Header=BB480_6 Depth=1
	v_add_u32_e32 v16, s10, v10
	v_cmp_gt_u64_e32 vcc, s[8:9], v[16:17]
	v_mov_b64_e32 v[22:23], 0
	s_and_saveexec_b64 s[14:15], vcc
	s_cbranch_execz .LBB480_9
; %bb.8:                                ;   in Loop: Header=BB480_6 Depth=1
	v_lshl_add_u64 v[22:23], v[16:17], 3, v[12:13]
	flat_load_dwordx2 v[22:23], v[22:23]
.LBB480_9:                              ;   in Loop: Header=BB480_6 Depth=1
	s_or_b64 exec, exec, s[14:15]
.LBB480_10:                             ;   in Loop: Header=BB480_6 Depth=1
	s_or_b64 exec, exec, s[12:13]
	v_add_u32_e32 v16, s10, v8
	v_cmp_gt_u64_e32 vcc, s[8:9], v[16:17]
	s_waitcnt vmcnt(0) lgkmcnt(0)
	ds_write_b64 v18, v[22:23]
	s_and_b64 s[14:15], vcc, s[2:3]
	v_mov_b64_e32 v[22:23], 0
	s_and_saveexec_b64 s[12:13], s[14:15]
	s_cbranch_execz .LBB480_5
; %bb.11:                               ;   in Loop: Header=BB480_6 Depth=1
	v_lshl_add_u64 v[22:23], v[16:17], 3, v[14:15]
	flat_load_dwordx2 v[22:23], v[22:23]
	s_branch .LBB480_5
.LBB480_12:
	s_lshl_b64 s[0:1], s[30:31], 3
	s_waitcnt lgkmcnt(0)
	s_add_u32 s8, s4, s0
	v_add_u32_e32 v14, s26, v11
	s_addc_u32 s9, s5, s1
	v_add_u32_e32 v8, s25, v9
	v_ashrrev_i32_e32 v9, 31, v14
	v_mad_u64_u32 v[10:11], s[0:1], s28, v14, 0
	v_mul_lo_u32 v9, s28, v9
	v_mul_lo_u32 v12, s29, v14
	v_cmp_neq_f64_e64 s[0:1], s[6:7], 0
	v_add3_u32 v11, v11, v9, v12
	v_cmp_le_i32_e32 vcc, v14, v8
	v_cmp_gt_i32_e64 s[2:3], s24, v8
	v_cndmask_b32_e64 v12, 0, 1, s[0:1]
	v_lshl_add_u64 v[10:11], v[10:11], 3, s[8:9]
	s_and_b64 s[10:11], vcc, s[2:3]
	v_ashrrev_i32_e32 v9, 31, v8
	v_cmp_ne_u32_e64 s[0:1], 1, v12
	s_and_saveexec_b64 s[4:5], s[10:11]
	s_cbranch_execz .LBB480_16
; %bb.13:
	v_mul_f64 v[6:7], s[34:35], v[6:7]
	s_and_b64 vcc, exec, s[0:1]
	v_lshl_add_u64 v[12:13], v[8:9], 3, v[10:11]
	s_cbranch_vccnz .LBB480_15
; %bb.14:
	flat_load_dwordx2 v[16:17], v[12:13]
	s_waitcnt vmcnt(0) lgkmcnt(0)
	v_fmac_f64_e32 v[6:7], s[6:7], v[16:17]
.LBB480_15:
	flat_store_dwordx2 v[12:13], v[6:7]
.LBB480_16:
	s_or_b64 exec, exec, s[4:5]
	v_add_u32_e32 v6, 16, v8
	v_cmp_le_i32_e32 vcc, v14, v6
	v_cmp_gt_i32_e64 s[4:5], s24, v6
	s_and_b64 s[12:13], vcc, s[4:5]
	v_ashrrev_i32_e32 v7, 31, v6
	s_and_saveexec_b64 s[10:11], s[12:13]
	s_cbranch_execz .LBB480_20
; %bb.17:
	v_mul_f64 v[4:5], s[34:35], v[4:5]
	s_and_b64 vcc, exec, s[0:1]
	v_lshl_add_u64 v[10:11], v[6:7], 3, v[10:11]
	s_cbranch_vccnz .LBB480_19
; %bb.18:
	flat_load_dwordx2 v[12:13], v[10:11]
	s_waitcnt vmcnt(0) lgkmcnt(0)
	v_fmac_f64_e32 v[4:5], s[6:7], v[12:13]
.LBB480_19:
	flat_store_dwordx2 v[10:11], v[4:5]
.LBB480_20:
	s_or_b64 exec, exec, s[10:11]
	v_add_u32_e32 v10, 16, v14
	v_ashrrev_i32_e32 v4, 31, v10
	v_mul_lo_u32 v11, s28, v4
	v_mul_lo_u32 v12, s29, v10
	v_mad_u64_u32 v[4:5], s[10:11], s28, v10, 0
	v_add3_u32 v5, v5, v11, v12
	v_cmp_le_i32_e32 vcc, v10, v8
	v_lshl_add_u64 v[4:5], v[4:5], 3, s[8:9]
	s_and_b64 s[8:9], vcc, s[2:3]
	s_and_saveexec_b64 s[2:3], s[8:9]
	s_cbranch_execz .LBB480_24
; %bb.21:
	v_mul_f64 v[2:3], s[34:35], v[2:3]
	s_and_b64 vcc, exec, s[0:1]
	v_lshl_add_u64 v[8:9], v[8:9], 3, v[4:5]
	s_cbranch_vccnz .LBB480_23
; %bb.22:
	flat_load_dwordx2 v[12:13], v[8:9]
	s_waitcnt vmcnt(0) lgkmcnt(0)
	v_fmac_f64_e32 v[2:3], s[6:7], v[12:13]
.LBB480_23:
	flat_store_dwordx2 v[8:9], v[2:3]
.LBB480_24:
	s_or_b64 exec, exec, s[2:3]
	v_cmp_le_i32_e32 vcc, v10, v6
	s_and_b64 s[2:3], vcc, s[4:5]
	s_and_saveexec_b64 s[4:5], s[2:3]
	s_cbranch_execz .LBB480_28
; %bb.25:
	v_mul_f64 v[0:1], s[34:35], v[0:1]
	s_and_b64 vcc, exec, s[0:1]
	v_lshl_add_u64 v[2:3], v[6:7], 3, v[4:5]
	s_cbranch_vccnz .LBB480_27
; %bb.26:
	flat_load_dwordx2 v[4:5], v[2:3]
	s_waitcnt vmcnt(0) lgkmcnt(0)
	v_fmac_f64_e32 v[0:1], s[6:7], v[4:5]
.LBB480_27:
	flat_store_dwordx2 v[2:3], v[0:1]
.LBB480_28:
	s_endpgm
	.section	.rodata,"a",@progbits
	.p2align	6, 0x0
	.amdhsa_kernel _ZL29rocblas_internal_gemmt_kernelIlLi16ELi32ELi8ELc84ELc78ELc76ELb0ELb0EdPKdPKS1_PKPdEviT_T9_T10_S7_lS9_S7_lS8_T11_S7_li
		.amdhsa_group_segment_fixed_size 4096
		.amdhsa_private_segment_fixed_size 0
		.amdhsa_kernarg_size 108
		.amdhsa_user_sgpr_count 2
		.amdhsa_user_sgpr_dispatch_ptr 0
		.amdhsa_user_sgpr_queue_ptr 0
		.amdhsa_user_sgpr_kernarg_segment_ptr 1
		.amdhsa_user_sgpr_dispatch_id 0
		.amdhsa_user_sgpr_kernarg_preload_length 0
		.amdhsa_user_sgpr_kernarg_preload_offset 0
		.amdhsa_user_sgpr_private_segment_size 0
		.amdhsa_uses_dynamic_stack 0
		.amdhsa_enable_private_segment 0
		.amdhsa_system_sgpr_workgroup_id_x 1
		.amdhsa_system_sgpr_workgroup_id_y 1
		.amdhsa_system_sgpr_workgroup_id_z 1
		.amdhsa_system_sgpr_workgroup_info 0
		.amdhsa_system_vgpr_workitem_id 1
		.amdhsa_next_free_vgpr 54
		.amdhsa_next_free_sgpr 36
		.amdhsa_accum_offset 56
		.amdhsa_reserve_vcc 1
		.amdhsa_float_round_mode_32 0
		.amdhsa_float_round_mode_16_64 0
		.amdhsa_float_denorm_mode_32 3
		.amdhsa_float_denorm_mode_16_64 3
		.amdhsa_dx10_clamp 1
		.amdhsa_ieee_mode 1
		.amdhsa_fp16_overflow 0
		.amdhsa_tg_split 0
		.amdhsa_exception_fp_ieee_invalid_op 0
		.amdhsa_exception_fp_denorm_src 0
		.amdhsa_exception_fp_ieee_div_zero 0
		.amdhsa_exception_fp_ieee_overflow 0
		.amdhsa_exception_fp_ieee_underflow 0
		.amdhsa_exception_fp_ieee_inexact 0
		.amdhsa_exception_int_div_zero 0
	.end_amdhsa_kernel
	.section	.text._ZL29rocblas_internal_gemmt_kernelIlLi16ELi32ELi8ELc84ELc78ELc76ELb0ELb0EdPKdPKS1_PKPdEviT_T9_T10_S7_lS9_S7_lS8_T11_S7_li,"axG",@progbits,_ZL29rocblas_internal_gemmt_kernelIlLi16ELi32ELi8ELc84ELc78ELc76ELb0ELb0EdPKdPKS1_PKPdEviT_T9_T10_S7_lS9_S7_lS8_T11_S7_li,comdat
.Lfunc_end480:
	.size	_ZL29rocblas_internal_gemmt_kernelIlLi16ELi32ELi8ELc84ELc78ELc76ELb0ELb0EdPKdPKS1_PKPdEviT_T9_T10_S7_lS9_S7_lS8_T11_S7_li, .Lfunc_end480-_ZL29rocblas_internal_gemmt_kernelIlLi16ELi32ELi8ELc84ELc78ELc76ELb0ELb0EdPKdPKS1_PKPdEviT_T9_T10_S7_lS9_S7_lS8_T11_S7_li
                                        ; -- End function
	.set _ZL29rocblas_internal_gemmt_kernelIlLi16ELi32ELi8ELc84ELc78ELc76ELb0ELb0EdPKdPKS1_PKPdEviT_T9_T10_S7_lS9_S7_lS8_T11_S7_li.num_vgpr, 54
	.set _ZL29rocblas_internal_gemmt_kernelIlLi16ELi32ELi8ELc84ELc78ELc76ELb0ELb0EdPKdPKS1_PKPdEviT_T9_T10_S7_lS9_S7_lS8_T11_S7_li.num_agpr, 0
	.set _ZL29rocblas_internal_gemmt_kernelIlLi16ELi32ELi8ELc84ELc78ELc76ELb0ELb0EdPKdPKS1_PKPdEviT_T9_T10_S7_lS9_S7_lS8_T11_S7_li.numbered_sgpr, 36
	.set _ZL29rocblas_internal_gemmt_kernelIlLi16ELi32ELi8ELc84ELc78ELc76ELb0ELb0EdPKdPKS1_PKPdEviT_T9_T10_S7_lS9_S7_lS8_T11_S7_li.num_named_barrier, 0
	.set _ZL29rocblas_internal_gemmt_kernelIlLi16ELi32ELi8ELc84ELc78ELc76ELb0ELb0EdPKdPKS1_PKPdEviT_T9_T10_S7_lS9_S7_lS8_T11_S7_li.private_seg_size, 0
	.set _ZL29rocblas_internal_gemmt_kernelIlLi16ELi32ELi8ELc84ELc78ELc76ELb0ELb0EdPKdPKS1_PKPdEviT_T9_T10_S7_lS9_S7_lS8_T11_S7_li.uses_vcc, 1
	.set _ZL29rocblas_internal_gemmt_kernelIlLi16ELi32ELi8ELc84ELc78ELc76ELb0ELb0EdPKdPKS1_PKPdEviT_T9_T10_S7_lS9_S7_lS8_T11_S7_li.uses_flat_scratch, 0
	.set _ZL29rocblas_internal_gemmt_kernelIlLi16ELi32ELi8ELc84ELc78ELc76ELb0ELb0EdPKdPKS1_PKPdEviT_T9_T10_S7_lS9_S7_lS8_T11_S7_li.has_dyn_sized_stack, 0
	.set _ZL29rocblas_internal_gemmt_kernelIlLi16ELi32ELi8ELc84ELc78ELc76ELb0ELb0EdPKdPKS1_PKPdEviT_T9_T10_S7_lS9_S7_lS8_T11_S7_li.has_recursion, 0
	.set _ZL29rocblas_internal_gemmt_kernelIlLi16ELi32ELi8ELc84ELc78ELc76ELb0ELb0EdPKdPKS1_PKPdEviT_T9_T10_S7_lS9_S7_lS8_T11_S7_li.has_indirect_call, 0
	.section	.AMDGPU.csdata,"",@progbits
; Kernel info:
; codeLenInByte = 1356
; TotalNumSgprs: 42
; NumVgprs: 54
; NumAgprs: 0
; TotalNumVgprs: 54
; ScratchSize: 0
; MemoryBound: 0
; FloatMode: 240
; IeeeMode: 1
; LDSByteSize: 4096 bytes/workgroup (compile time only)
; SGPRBlocks: 5
; VGPRBlocks: 6
; NumSGPRsForWavesPerEU: 42
; NumVGPRsForWavesPerEU: 54
; AccumOffset: 56
; Occupancy: 8
; WaveLimiterHint : 1
; COMPUTE_PGM_RSRC2:SCRATCH_EN: 0
; COMPUTE_PGM_RSRC2:USER_SGPR: 2
; COMPUTE_PGM_RSRC2:TRAP_HANDLER: 0
; COMPUTE_PGM_RSRC2:TGID_X_EN: 1
; COMPUTE_PGM_RSRC2:TGID_Y_EN: 1
; COMPUTE_PGM_RSRC2:TGID_Z_EN: 1
; COMPUTE_PGM_RSRC2:TIDIG_COMP_CNT: 1
; COMPUTE_PGM_RSRC3_GFX90A:ACCUM_OFFSET: 13
; COMPUTE_PGM_RSRC3_GFX90A:TG_SPLIT: 0
	.section	.text._ZL29rocblas_internal_gemmt_kernelIlLi16ELi32ELi8ELc84ELc84ELc76ELb0ELb0EdPKdPKS1_PKPdEviT_T9_T10_S7_lS9_S7_lS8_T11_S7_li,"axG",@progbits,_ZL29rocblas_internal_gemmt_kernelIlLi16ELi32ELi8ELc84ELc84ELc76ELb0ELb0EdPKdPKS1_PKPdEviT_T9_T10_S7_lS9_S7_lS8_T11_S7_li,comdat
	.globl	_ZL29rocblas_internal_gemmt_kernelIlLi16ELi32ELi8ELc84ELc84ELc76ELb0ELb0EdPKdPKS1_PKPdEviT_T9_T10_S7_lS9_S7_lS8_T11_S7_li ; -- Begin function _ZL29rocblas_internal_gemmt_kernelIlLi16ELi32ELi8ELc84ELc84ELc76ELb0ELb0EdPKdPKS1_PKPdEviT_T9_T10_S7_lS9_S7_lS8_T11_S7_li
	.p2align	8
	.type	_ZL29rocblas_internal_gemmt_kernelIlLi16ELi32ELi8ELc84ELc84ELc76ELb0ELb0EdPKdPKS1_PKPdEviT_T9_T10_S7_lS9_S7_lS8_T11_S7_li,@function
_ZL29rocblas_internal_gemmt_kernelIlLi16ELi32ELi8ELc84ELc84ELc76ELb0ELb0EdPKdPKS1_PKPdEviT_T9_T10_S7_lS9_S7_lS8_T11_S7_li: ; @_ZL29rocblas_internal_gemmt_kernelIlLi16ELi32ELi8ELc84ELc84ELc76ELb0ELb0EdPKdPKS1_PKPdEviT_T9_T10_S7_lS9_S7_lS8_T11_S7_li
; %bb.0:
	s_load_dwordx8 s[24:31], s[0:1], 0x48
	s_load_dwordx16 s[8:23], s[0:1], 0x8
	s_waitcnt lgkmcnt(0)
	s_load_dwordx2 s[6:7], s[24:25], 0x0
	s_load_dwordx2 s[34:35], s[10:11], 0x0
	s_waitcnt lgkmcnt(0)
	v_cmp_neq_f64_e64 s[10:11], s[6:7], 1.0
	s_and_b64 vcc, exec, s[10:11]
	s_cbranch_vccnz .LBB481_2
; %bb.1:
	s_cmp_lg_u64 s[8:9], 0
	s_cselect_b64 s[10:11], -1, 0
	v_cmp_neq_f64_e64 s[24:25], s[34:35], 0
	s_and_b64 s[10:11], s[10:11], s[24:25]
.LBB481_2:
	s_andn2_b64 vcc, exec, s[10:11]
	s_cbranch_vccnz .LBB481_28
; %bb.3:
	s_mov_b32 s5, 0
	s_load_dword s24, s[0:1], 0x0
	s_lshl_b64 s[0:1], s[4:5], 3
	s_add_u32 s4, s26, s0
	s_addc_u32 s5, s27, s1
	s_load_dwordx2 s[4:5], s[4:5], 0x0
	s_lshl_b32 s25, s2, 5
	s_lshl_b32 s26, s3, 5
	v_cmp_eq_f64_e64 s[2:3], s[34:35], 0
	v_cmp_lt_i64_e64 s[10:11], s[8:9], 1
	s_or_b64 s[2:3], s[2:3], s[10:11]
	v_and_b32_e32 v9, 0x3ff, v0
	v_bfe_u32 v11, v0, 10, 10
	v_mov_b64_e32 v[6:7], 0
	s_and_b64 vcc, exec, s[2:3]
	v_mov_b64_e32 v[4:5], 0
	v_mov_b64_e32 v[2:3], 0
	;; [unrolled: 1-line block ×3, first 2 shown]
	s_cbranch_vccnz .LBB481_12
; %bb.4:
	s_add_u32 s2, s18, s0
	s_addc_u32 s3, s19, s1
	s_load_dwordx2 s[2:3], s[2:3], 0x0
	s_lshl_b64 s[10:11], s[22:23], 3
	v_lshl_add_u32 v1, v11, 4, v9
	v_lshrrev_b32_e32 v10, 5, v1
	v_lshrrev_b32_e32 v4, 3, v1
	s_waitcnt lgkmcnt(0)
	s_add_u32 s10, s2, s10
	s_addc_u32 s11, s3, s11
	s_add_u32 s0, s12, s0
	s_addc_u32 s1, s13, s1
	s_load_dwordx2 s[0:1], s[0:1], 0x0
	v_and_b32_e32 v1, 31, v1
	s_lshl_b64 s[2:3], s[16:17], 3
	v_or_b32_e32 v2, s25, v1
	v_lshlrev_b32_e32 v1, 3, v1
	s_waitcnt lgkmcnt(0)
	s_add_u32 s2, s0, s2
	s_addc_u32 s3, s1, s3
	v_cmp_gt_i32_e64 s[0:1], s24, v2
	v_lshl_or_b32 v18, v10, 8, v1
	s_ashr_i32 s16, s25, 31
	v_mul_lo_u32 v1, s15, v2
	v_mad_u64_u32 v[2:3], s[12:13], s14, v2, 0
	v_and_b32_e32 v8, 7, v9
	s_mul_i32 s12, s14, s16
	v_add3_u32 v3, v3, s12, v1
	v_lshlrev_b32_e32 v1, 3, v8
	v_add_u32_e32 v0, s26, v4
	v_lshl_or_b32 v1, v4, 6, v1
	v_add_u32_e32 v19, 0x800, v1
	v_ashrrev_i32_e32 v1, 31, v0
	v_lshl_add_u64 v[12:13], v[2:3], 3, s[2:3]
	v_cmp_gt_i32_e64 s[2:3], s24, v0
	v_lshl_add_u64 v[14:15], v[0:1], 3, s[10:11]
	v_mov_b32_e32 v0, 0x800
	v_lshlrev_b32_e32 v20, 3, v9
	v_lshl_add_u32 v21, v11, 6, v0
	v_mov_b32_e32 v17, 0
	v_mov_b64_e32 v[0:1], 0
	s_mov_b64 s[10:11], 0
	v_mov_b64_e32 v[2:3], 0
	v_mov_b64_e32 v[4:5], 0
	;; [unrolled: 1-line block ×3, first 2 shown]
	s_branch .LBB481_6
.LBB481_5:                              ;   in Loop: Header=BB481_6 Depth=1
	s_or_b64 exec, exec, s[12:13]
	s_waitcnt vmcnt(0) lgkmcnt(0)
	ds_write_b64 v19, v[22:23]
	s_waitcnt lgkmcnt(0)
	s_barrier
	ds_read2_b64 v[22:25], v20 offset1:16
	ds_read_b128 v[26:29], v21
	ds_read_b128 v[30:33], v21 offset:16
	ds_read_b128 v[34:37], v21 offset:32
	;; [unrolled: 1-line block ×4, first 2 shown]
	ds_read2_b64 v[46:49], v20 offset0:32 offset1:48
	s_waitcnt lgkmcnt(5)
	v_fmac_f64_e32 v[6:7], v[22:23], v[26:27]
	v_fmac_f64_e32 v[4:5], v[24:25], v[26:27]
	ds_read_b128 v[50:53], v21 offset:1040
	s_waitcnt lgkmcnt(2)
	v_fmac_f64_e32 v[2:3], v[22:23], v[42:43]
	v_fmac_f64_e32 v[0:1], v[24:25], v[42:43]
	ds_read2_b64 v[22:25], v20 offset0:64 offset1:80
	s_waitcnt lgkmcnt(2)
	v_fmac_f64_e32 v[6:7], v[46:47], v[28:29]
	v_fmac_f64_e32 v[4:5], v[48:49], v[28:29]
	ds_read2_b64 v[26:29], v20 offset0:96 offset1:112
	v_fmac_f64_e32 v[2:3], v[46:47], v[44:45]
	v_fmac_f64_e32 v[0:1], v[48:49], v[44:45]
	s_waitcnt lgkmcnt(1)
	v_fmac_f64_e32 v[6:7], v[22:23], v[30:31]
	v_fmac_f64_e32 v[4:5], v[24:25], v[30:31]
	ds_read_b128 v[42:45], v21 offset:1072
	v_fmac_f64_e32 v[2:3], v[22:23], v[50:51]
	v_fmac_f64_e32 v[0:1], v[24:25], v[50:51]
	s_waitcnt lgkmcnt(1)
	v_fmac_f64_e32 v[6:7], v[26:27], v[32:33]
	ds_read2_b64 v[22:25], v20 offset0:128 offset1:144
	v_fmac_f64_e32 v[4:5], v[28:29], v[32:33]
	v_fmac_f64_e32 v[2:3], v[26:27], v[52:53]
	;; [unrolled: 1-line block ×3, first 2 shown]
	ds_read_b128 v[26:29], v21 offset:1056
	ds_read2_b64 v[30:33], v20 offset0:160 offset1:176
	s_waitcnt lgkmcnt(2)
	v_fmac_f64_e32 v[6:7], v[22:23], v[34:35]
	v_fmac_f64_e32 v[4:5], v[24:25], v[34:35]
	s_add_u32 s10, s10, 8
	s_waitcnt lgkmcnt(1)
	v_fmac_f64_e32 v[2:3], v[22:23], v[26:27]
	v_fmac_f64_e32 v[0:1], v[24:25], v[26:27]
	ds_read2_b64 v[22:25], v20 offset0:192 offset1:208
	s_waitcnt lgkmcnt(1)
	v_fmac_f64_e32 v[2:3], v[30:31], v[28:29]
	v_fmac_f64_e32 v[0:1], v[32:33], v[28:29]
	ds_read2_b64 v[26:29], v20 offset0:224 offset1:240
	v_fmac_f64_e32 v[6:7], v[30:31], v[36:37]
	s_addc_u32 s11, s11, 0
	v_fmac_f64_e32 v[4:5], v[32:33], v[36:37]
	s_waitcnt lgkmcnt(1)
	v_fmac_f64_e32 v[6:7], v[22:23], v[38:39]
	v_fmac_f64_e32 v[2:3], v[22:23], v[42:43]
	v_mov_b64_e32 v[22:23], s[10:11]
	v_fmac_f64_e32 v[4:5], v[24:25], v[38:39]
	v_fmac_f64_e32 v[0:1], v[24:25], v[42:43]
	v_cmp_gt_i64_e32 vcc, s[8:9], v[22:23]
	s_waitcnt lgkmcnt(0)
	v_fmac_f64_e32 v[6:7], v[26:27], v[40:41]
	v_fmac_f64_e32 v[4:5], v[28:29], v[40:41]
	;; [unrolled: 1-line block ×4, first 2 shown]
	s_barrier
	s_cbranch_vccz .LBB481_12
.LBB481_6:                              ; =>This Inner Loop Header: Depth=1
	v_mov_b64_e32 v[22:23], 0
	s_and_saveexec_b64 s[12:13], s[0:1]
	s_cbranch_execz .LBB481_10
; %bb.7:                                ;   in Loop: Header=BB481_6 Depth=1
	v_add_u32_e32 v16, s10, v10
	v_cmp_gt_u64_e32 vcc, s[8:9], v[16:17]
	v_mov_b64_e32 v[22:23], 0
	s_and_saveexec_b64 s[14:15], vcc
	s_cbranch_execz .LBB481_9
; %bb.8:                                ;   in Loop: Header=BB481_6 Depth=1
	v_lshl_add_u64 v[22:23], v[16:17], 3, v[12:13]
	flat_load_dwordx2 v[22:23], v[22:23]
.LBB481_9:                              ;   in Loop: Header=BB481_6 Depth=1
	s_or_b64 exec, exec, s[14:15]
.LBB481_10:                             ;   in Loop: Header=BB481_6 Depth=1
	s_or_b64 exec, exec, s[12:13]
	v_add_u32_e32 v16, s10, v8
	v_cmp_gt_u64_e32 vcc, s[8:9], v[16:17]
	s_waitcnt vmcnt(0) lgkmcnt(0)
	ds_write_b64 v18, v[22:23]
	s_and_b64 s[14:15], vcc, s[2:3]
	v_mov_b64_e32 v[22:23], 0
	s_and_saveexec_b64 s[12:13], s[14:15]
	s_cbranch_execz .LBB481_5
; %bb.11:                               ;   in Loop: Header=BB481_6 Depth=1
	v_mad_u64_u32 v[22:23], s[14:15], s20, v16, 0
	v_mov_b32_e32 v24, v23
	v_mad_u64_u32 v[24:25], s[14:15], s21, v16, v[24:25]
	v_mov_b32_e32 v23, v24
	v_lshl_add_u64 v[22:23], v[22:23], 3, v[14:15]
	flat_load_dwordx2 v[22:23], v[22:23]
	s_branch .LBB481_5
.LBB481_12:
	s_lshl_b64 s[0:1], s[30:31], 3
	s_waitcnt lgkmcnt(0)
	s_add_u32 s8, s4, s0
	v_add_u32_e32 v14, s26, v11
	s_addc_u32 s9, s5, s1
	v_add_u32_e32 v8, s25, v9
	v_ashrrev_i32_e32 v9, 31, v14
	v_mad_u64_u32 v[10:11], s[0:1], s28, v14, 0
	v_mul_lo_u32 v9, s28, v9
	v_mul_lo_u32 v12, s29, v14
	v_cmp_neq_f64_e64 s[0:1], s[6:7], 0
	v_add3_u32 v11, v11, v9, v12
	v_cmp_le_i32_e32 vcc, v14, v8
	v_cmp_gt_i32_e64 s[2:3], s24, v8
	v_cndmask_b32_e64 v12, 0, 1, s[0:1]
	v_lshl_add_u64 v[10:11], v[10:11], 3, s[8:9]
	s_and_b64 s[10:11], vcc, s[2:3]
	v_ashrrev_i32_e32 v9, 31, v8
	v_cmp_ne_u32_e64 s[0:1], 1, v12
	s_and_saveexec_b64 s[4:5], s[10:11]
	s_cbranch_execz .LBB481_16
; %bb.13:
	v_mul_f64 v[6:7], s[34:35], v[6:7]
	s_and_b64 vcc, exec, s[0:1]
	v_lshl_add_u64 v[12:13], v[8:9], 3, v[10:11]
	s_cbranch_vccnz .LBB481_15
; %bb.14:
	flat_load_dwordx2 v[16:17], v[12:13]
	s_waitcnt vmcnt(0) lgkmcnt(0)
	v_fmac_f64_e32 v[6:7], s[6:7], v[16:17]
.LBB481_15:
	flat_store_dwordx2 v[12:13], v[6:7]
.LBB481_16:
	s_or_b64 exec, exec, s[4:5]
	v_add_u32_e32 v6, 16, v8
	v_cmp_le_i32_e32 vcc, v14, v6
	v_cmp_gt_i32_e64 s[4:5], s24, v6
	s_and_b64 s[12:13], vcc, s[4:5]
	v_ashrrev_i32_e32 v7, 31, v6
	s_and_saveexec_b64 s[10:11], s[12:13]
	s_cbranch_execz .LBB481_20
; %bb.17:
	v_mul_f64 v[4:5], s[34:35], v[4:5]
	s_and_b64 vcc, exec, s[0:1]
	v_lshl_add_u64 v[10:11], v[6:7], 3, v[10:11]
	s_cbranch_vccnz .LBB481_19
; %bb.18:
	flat_load_dwordx2 v[12:13], v[10:11]
	s_waitcnt vmcnt(0) lgkmcnt(0)
	v_fmac_f64_e32 v[4:5], s[6:7], v[12:13]
.LBB481_19:
	flat_store_dwordx2 v[10:11], v[4:5]
.LBB481_20:
	s_or_b64 exec, exec, s[10:11]
	v_add_u32_e32 v10, 16, v14
	v_ashrrev_i32_e32 v4, 31, v10
	v_mul_lo_u32 v11, s28, v4
	v_mul_lo_u32 v12, s29, v10
	v_mad_u64_u32 v[4:5], s[10:11], s28, v10, 0
	v_add3_u32 v5, v5, v11, v12
	v_cmp_le_i32_e32 vcc, v10, v8
	v_lshl_add_u64 v[4:5], v[4:5], 3, s[8:9]
	s_and_b64 s[8:9], vcc, s[2:3]
	s_and_saveexec_b64 s[2:3], s[8:9]
	s_cbranch_execz .LBB481_24
; %bb.21:
	v_mul_f64 v[2:3], s[34:35], v[2:3]
	s_and_b64 vcc, exec, s[0:1]
	v_lshl_add_u64 v[8:9], v[8:9], 3, v[4:5]
	s_cbranch_vccnz .LBB481_23
; %bb.22:
	flat_load_dwordx2 v[12:13], v[8:9]
	s_waitcnt vmcnt(0) lgkmcnt(0)
	v_fmac_f64_e32 v[2:3], s[6:7], v[12:13]
.LBB481_23:
	flat_store_dwordx2 v[8:9], v[2:3]
.LBB481_24:
	s_or_b64 exec, exec, s[2:3]
	v_cmp_le_i32_e32 vcc, v10, v6
	s_and_b64 s[2:3], vcc, s[4:5]
	s_and_saveexec_b64 s[4:5], s[2:3]
	s_cbranch_execz .LBB481_28
; %bb.25:
	v_mul_f64 v[0:1], s[34:35], v[0:1]
	s_and_b64 vcc, exec, s[0:1]
	v_lshl_add_u64 v[2:3], v[6:7], 3, v[4:5]
	s_cbranch_vccnz .LBB481_27
; %bb.26:
	flat_load_dwordx2 v[4:5], v[2:3]
	s_waitcnt vmcnt(0) lgkmcnt(0)
	v_fmac_f64_e32 v[0:1], s[6:7], v[4:5]
.LBB481_27:
	flat_store_dwordx2 v[2:3], v[0:1]
.LBB481_28:
	s_endpgm
	.section	.rodata,"a",@progbits
	.p2align	6, 0x0
	.amdhsa_kernel _ZL29rocblas_internal_gemmt_kernelIlLi16ELi32ELi8ELc84ELc84ELc76ELb0ELb0EdPKdPKS1_PKPdEviT_T9_T10_S7_lS9_S7_lS8_T11_S7_li
		.amdhsa_group_segment_fixed_size 4096
		.amdhsa_private_segment_fixed_size 0
		.amdhsa_kernarg_size 108
		.amdhsa_user_sgpr_count 2
		.amdhsa_user_sgpr_dispatch_ptr 0
		.amdhsa_user_sgpr_queue_ptr 0
		.amdhsa_user_sgpr_kernarg_segment_ptr 1
		.amdhsa_user_sgpr_dispatch_id 0
		.amdhsa_user_sgpr_kernarg_preload_length 0
		.amdhsa_user_sgpr_kernarg_preload_offset 0
		.amdhsa_user_sgpr_private_segment_size 0
		.amdhsa_uses_dynamic_stack 0
		.amdhsa_enable_private_segment 0
		.amdhsa_system_sgpr_workgroup_id_x 1
		.amdhsa_system_sgpr_workgroup_id_y 1
		.amdhsa_system_sgpr_workgroup_id_z 1
		.amdhsa_system_sgpr_workgroup_info 0
		.amdhsa_system_vgpr_workitem_id 1
		.amdhsa_next_free_vgpr 54
		.amdhsa_next_free_sgpr 36
		.amdhsa_accum_offset 56
		.amdhsa_reserve_vcc 1
		.amdhsa_float_round_mode_32 0
		.amdhsa_float_round_mode_16_64 0
		.amdhsa_float_denorm_mode_32 3
		.amdhsa_float_denorm_mode_16_64 3
		.amdhsa_dx10_clamp 1
		.amdhsa_ieee_mode 1
		.amdhsa_fp16_overflow 0
		.amdhsa_tg_split 0
		.amdhsa_exception_fp_ieee_invalid_op 0
		.amdhsa_exception_fp_denorm_src 0
		.amdhsa_exception_fp_ieee_div_zero 0
		.amdhsa_exception_fp_ieee_overflow 0
		.amdhsa_exception_fp_ieee_underflow 0
		.amdhsa_exception_fp_ieee_inexact 0
		.amdhsa_exception_int_div_zero 0
	.end_amdhsa_kernel
	.section	.text._ZL29rocblas_internal_gemmt_kernelIlLi16ELi32ELi8ELc84ELc84ELc76ELb0ELb0EdPKdPKS1_PKPdEviT_T9_T10_S7_lS9_S7_lS8_T11_S7_li,"axG",@progbits,_ZL29rocblas_internal_gemmt_kernelIlLi16ELi32ELi8ELc84ELc84ELc76ELb0ELb0EdPKdPKS1_PKPdEviT_T9_T10_S7_lS9_S7_lS8_T11_S7_li,comdat
.Lfunc_end481:
	.size	_ZL29rocblas_internal_gemmt_kernelIlLi16ELi32ELi8ELc84ELc84ELc76ELb0ELb0EdPKdPKS1_PKPdEviT_T9_T10_S7_lS9_S7_lS8_T11_S7_li, .Lfunc_end481-_ZL29rocblas_internal_gemmt_kernelIlLi16ELi32ELi8ELc84ELc84ELc76ELb0ELb0EdPKdPKS1_PKPdEviT_T9_T10_S7_lS9_S7_lS8_T11_S7_li
                                        ; -- End function
	.set _ZL29rocblas_internal_gemmt_kernelIlLi16ELi32ELi8ELc84ELc84ELc76ELb0ELb0EdPKdPKS1_PKPdEviT_T9_T10_S7_lS9_S7_lS8_T11_S7_li.num_vgpr, 54
	.set _ZL29rocblas_internal_gemmt_kernelIlLi16ELi32ELi8ELc84ELc84ELc76ELb0ELb0EdPKdPKS1_PKPdEviT_T9_T10_S7_lS9_S7_lS8_T11_S7_li.num_agpr, 0
	.set _ZL29rocblas_internal_gemmt_kernelIlLi16ELi32ELi8ELc84ELc84ELc76ELb0ELb0EdPKdPKS1_PKPdEviT_T9_T10_S7_lS9_S7_lS8_T11_S7_li.numbered_sgpr, 36
	.set _ZL29rocblas_internal_gemmt_kernelIlLi16ELi32ELi8ELc84ELc84ELc76ELb0ELb0EdPKdPKS1_PKPdEviT_T9_T10_S7_lS9_S7_lS8_T11_S7_li.num_named_barrier, 0
	.set _ZL29rocblas_internal_gemmt_kernelIlLi16ELi32ELi8ELc84ELc84ELc76ELb0ELb0EdPKdPKS1_PKPdEviT_T9_T10_S7_lS9_S7_lS8_T11_S7_li.private_seg_size, 0
	.set _ZL29rocblas_internal_gemmt_kernelIlLi16ELi32ELi8ELc84ELc84ELc76ELb0ELb0EdPKdPKS1_PKPdEviT_T9_T10_S7_lS9_S7_lS8_T11_S7_li.uses_vcc, 1
	.set _ZL29rocblas_internal_gemmt_kernelIlLi16ELi32ELi8ELc84ELc84ELc76ELb0ELb0EdPKdPKS1_PKPdEviT_T9_T10_S7_lS9_S7_lS8_T11_S7_li.uses_flat_scratch, 0
	.set _ZL29rocblas_internal_gemmt_kernelIlLi16ELi32ELi8ELc84ELc84ELc76ELb0ELb0EdPKdPKS1_PKPdEviT_T9_T10_S7_lS9_S7_lS8_T11_S7_li.has_dyn_sized_stack, 0
	.set _ZL29rocblas_internal_gemmt_kernelIlLi16ELi32ELi8ELc84ELc84ELc76ELb0ELb0EdPKdPKS1_PKPdEviT_T9_T10_S7_lS9_S7_lS8_T11_S7_li.has_recursion, 0
	.set _ZL29rocblas_internal_gemmt_kernelIlLi16ELi32ELi8ELc84ELc84ELc76ELb0ELb0EdPKdPKS1_PKPdEviT_T9_T10_S7_lS9_S7_lS8_T11_S7_li.has_indirect_call, 0
	.section	.AMDGPU.csdata,"",@progbits
; Kernel info:
; codeLenInByte = 1348
; TotalNumSgprs: 42
; NumVgprs: 54
; NumAgprs: 0
; TotalNumVgprs: 54
; ScratchSize: 0
; MemoryBound: 0
; FloatMode: 240
; IeeeMode: 1
; LDSByteSize: 4096 bytes/workgroup (compile time only)
; SGPRBlocks: 5
; VGPRBlocks: 6
; NumSGPRsForWavesPerEU: 42
; NumVGPRsForWavesPerEU: 54
; AccumOffset: 56
; Occupancy: 8
; WaveLimiterHint : 1
; COMPUTE_PGM_RSRC2:SCRATCH_EN: 0
; COMPUTE_PGM_RSRC2:USER_SGPR: 2
; COMPUTE_PGM_RSRC2:TRAP_HANDLER: 0
; COMPUTE_PGM_RSRC2:TGID_X_EN: 1
; COMPUTE_PGM_RSRC2:TGID_Y_EN: 1
; COMPUTE_PGM_RSRC2:TGID_Z_EN: 1
; COMPUTE_PGM_RSRC2:TIDIG_COMP_CNT: 1
; COMPUTE_PGM_RSRC3_GFX90A:ACCUM_OFFSET: 13
; COMPUTE_PGM_RSRC3_GFX90A:TG_SPLIT: 0
	.section	.text._ZL29rocblas_internal_gemmt_kernelIlLi16ELi32ELi8ELc84ELc67ELc76ELb0ELb0EdPKdPKS1_PKPdEviT_T9_T10_S7_lS9_S7_lS8_T11_S7_li,"axG",@progbits,_ZL29rocblas_internal_gemmt_kernelIlLi16ELi32ELi8ELc84ELc67ELc76ELb0ELb0EdPKdPKS1_PKPdEviT_T9_T10_S7_lS9_S7_lS8_T11_S7_li,comdat
	.globl	_ZL29rocblas_internal_gemmt_kernelIlLi16ELi32ELi8ELc84ELc67ELc76ELb0ELb0EdPKdPKS1_PKPdEviT_T9_T10_S7_lS9_S7_lS8_T11_S7_li ; -- Begin function _ZL29rocblas_internal_gemmt_kernelIlLi16ELi32ELi8ELc84ELc67ELc76ELb0ELb0EdPKdPKS1_PKPdEviT_T9_T10_S7_lS9_S7_lS8_T11_S7_li
	.p2align	8
	.type	_ZL29rocblas_internal_gemmt_kernelIlLi16ELi32ELi8ELc84ELc67ELc76ELb0ELb0EdPKdPKS1_PKPdEviT_T9_T10_S7_lS9_S7_lS8_T11_S7_li,@function
_ZL29rocblas_internal_gemmt_kernelIlLi16ELi32ELi8ELc84ELc67ELc76ELb0ELb0EdPKdPKS1_PKPdEviT_T9_T10_S7_lS9_S7_lS8_T11_S7_li: ; @_ZL29rocblas_internal_gemmt_kernelIlLi16ELi32ELi8ELc84ELc67ELc76ELb0ELb0EdPKdPKS1_PKPdEviT_T9_T10_S7_lS9_S7_lS8_T11_S7_li
; %bb.0:
	s_load_dwordx8 s[24:31], s[0:1], 0x48
	s_load_dwordx16 s[8:23], s[0:1], 0x8
	s_waitcnt lgkmcnt(0)
	s_load_dwordx2 s[6:7], s[24:25], 0x0
	s_load_dwordx2 s[34:35], s[10:11], 0x0
	s_waitcnt lgkmcnt(0)
	v_cmp_neq_f64_e64 s[10:11], s[6:7], 1.0
	s_and_b64 vcc, exec, s[10:11]
	s_cbranch_vccnz .LBB482_2
; %bb.1:
	s_cmp_lg_u64 s[8:9], 0
	s_cselect_b64 s[10:11], -1, 0
	v_cmp_neq_f64_e64 s[24:25], s[34:35], 0
	s_and_b64 s[10:11], s[10:11], s[24:25]
.LBB482_2:
	s_andn2_b64 vcc, exec, s[10:11]
	s_cbranch_vccnz .LBB482_28
; %bb.3:
	s_mov_b32 s5, 0
	s_load_dword s24, s[0:1], 0x0
	s_lshl_b64 s[0:1], s[4:5], 3
	s_add_u32 s4, s26, s0
	s_addc_u32 s5, s27, s1
	s_load_dwordx2 s[4:5], s[4:5], 0x0
	s_lshl_b32 s25, s2, 5
	s_lshl_b32 s26, s3, 5
	v_cmp_eq_f64_e64 s[2:3], s[34:35], 0
	v_cmp_lt_i64_e64 s[10:11], s[8:9], 1
	s_or_b64 s[2:3], s[2:3], s[10:11]
	v_and_b32_e32 v9, 0x3ff, v0
	v_bfe_u32 v11, v0, 10, 10
	v_mov_b64_e32 v[6:7], 0
	s_and_b64 vcc, exec, s[2:3]
	v_mov_b64_e32 v[4:5], 0
	v_mov_b64_e32 v[2:3], 0
	v_mov_b64_e32 v[0:1], 0
	s_cbranch_vccnz .LBB482_12
; %bb.4:
	s_add_u32 s2, s18, s0
	s_addc_u32 s3, s19, s1
	s_load_dwordx2 s[2:3], s[2:3], 0x0
	s_lshl_b64 s[10:11], s[22:23], 3
	v_lshl_add_u32 v1, v11, 4, v9
	v_lshrrev_b32_e32 v10, 5, v1
	v_lshrrev_b32_e32 v4, 3, v1
	s_waitcnt lgkmcnt(0)
	s_add_u32 s10, s2, s10
	s_addc_u32 s11, s3, s11
	s_add_u32 s0, s12, s0
	s_addc_u32 s1, s13, s1
	s_load_dwordx2 s[0:1], s[0:1], 0x0
	v_and_b32_e32 v1, 31, v1
	s_lshl_b64 s[2:3], s[16:17], 3
	v_or_b32_e32 v2, s25, v1
	v_lshlrev_b32_e32 v1, 3, v1
	s_waitcnt lgkmcnt(0)
	s_add_u32 s2, s0, s2
	s_addc_u32 s3, s1, s3
	v_cmp_gt_i32_e64 s[0:1], s24, v2
	v_lshl_or_b32 v18, v10, 8, v1
	s_ashr_i32 s16, s25, 31
	v_mul_lo_u32 v1, s15, v2
	v_mad_u64_u32 v[2:3], s[12:13], s14, v2, 0
	v_and_b32_e32 v8, 7, v9
	s_mul_i32 s12, s14, s16
	v_add3_u32 v3, v3, s12, v1
	v_lshlrev_b32_e32 v1, 3, v8
	v_add_u32_e32 v0, s26, v4
	v_lshl_or_b32 v1, v4, 6, v1
	v_add_u32_e32 v19, 0x800, v1
	v_ashrrev_i32_e32 v1, 31, v0
	v_lshl_add_u64 v[12:13], v[2:3], 3, s[2:3]
	v_cmp_gt_i32_e64 s[2:3], s24, v0
	v_lshl_add_u64 v[14:15], v[0:1], 3, s[10:11]
	v_mov_b32_e32 v0, 0x800
	v_lshlrev_b32_e32 v20, 3, v9
	v_lshl_add_u32 v21, v11, 6, v0
	v_mov_b32_e32 v17, 0
	v_mov_b64_e32 v[0:1], 0
	s_mov_b64 s[10:11], 0
	v_mov_b64_e32 v[2:3], 0
	v_mov_b64_e32 v[4:5], 0
	;; [unrolled: 1-line block ×3, first 2 shown]
	s_branch .LBB482_6
.LBB482_5:                              ;   in Loop: Header=BB482_6 Depth=1
	s_or_b64 exec, exec, s[12:13]
	s_waitcnt vmcnt(0) lgkmcnt(0)
	ds_write_b64 v19, v[22:23]
	s_waitcnt lgkmcnt(0)
	s_barrier
	ds_read2_b64 v[22:25], v20 offset1:16
	ds_read_b128 v[26:29], v21
	ds_read_b128 v[30:33], v21 offset:16
	ds_read_b128 v[34:37], v21 offset:32
	;; [unrolled: 1-line block ×4, first 2 shown]
	ds_read2_b64 v[46:49], v20 offset0:32 offset1:48
	s_waitcnt lgkmcnt(5)
	v_fmac_f64_e32 v[6:7], v[22:23], v[26:27]
	v_fmac_f64_e32 v[4:5], v[24:25], v[26:27]
	ds_read_b128 v[50:53], v21 offset:1040
	s_waitcnt lgkmcnt(2)
	v_fmac_f64_e32 v[2:3], v[22:23], v[42:43]
	v_fmac_f64_e32 v[0:1], v[24:25], v[42:43]
	ds_read2_b64 v[22:25], v20 offset0:64 offset1:80
	s_waitcnt lgkmcnt(2)
	v_fmac_f64_e32 v[6:7], v[46:47], v[28:29]
	v_fmac_f64_e32 v[4:5], v[48:49], v[28:29]
	ds_read2_b64 v[26:29], v20 offset0:96 offset1:112
	v_fmac_f64_e32 v[2:3], v[46:47], v[44:45]
	v_fmac_f64_e32 v[0:1], v[48:49], v[44:45]
	s_waitcnt lgkmcnt(1)
	v_fmac_f64_e32 v[6:7], v[22:23], v[30:31]
	v_fmac_f64_e32 v[4:5], v[24:25], v[30:31]
	ds_read_b128 v[42:45], v21 offset:1072
	v_fmac_f64_e32 v[2:3], v[22:23], v[50:51]
	v_fmac_f64_e32 v[0:1], v[24:25], v[50:51]
	s_waitcnt lgkmcnt(1)
	v_fmac_f64_e32 v[6:7], v[26:27], v[32:33]
	ds_read2_b64 v[22:25], v20 offset0:128 offset1:144
	v_fmac_f64_e32 v[4:5], v[28:29], v[32:33]
	v_fmac_f64_e32 v[2:3], v[26:27], v[52:53]
	;; [unrolled: 1-line block ×3, first 2 shown]
	ds_read_b128 v[26:29], v21 offset:1056
	ds_read2_b64 v[30:33], v20 offset0:160 offset1:176
	s_waitcnt lgkmcnt(2)
	v_fmac_f64_e32 v[6:7], v[22:23], v[34:35]
	v_fmac_f64_e32 v[4:5], v[24:25], v[34:35]
	s_add_u32 s10, s10, 8
	s_waitcnt lgkmcnt(1)
	v_fmac_f64_e32 v[2:3], v[22:23], v[26:27]
	v_fmac_f64_e32 v[0:1], v[24:25], v[26:27]
	ds_read2_b64 v[22:25], v20 offset0:192 offset1:208
	s_waitcnt lgkmcnt(1)
	v_fmac_f64_e32 v[2:3], v[30:31], v[28:29]
	v_fmac_f64_e32 v[0:1], v[32:33], v[28:29]
	ds_read2_b64 v[26:29], v20 offset0:224 offset1:240
	v_fmac_f64_e32 v[6:7], v[30:31], v[36:37]
	s_addc_u32 s11, s11, 0
	v_fmac_f64_e32 v[4:5], v[32:33], v[36:37]
	s_waitcnt lgkmcnt(1)
	v_fmac_f64_e32 v[6:7], v[22:23], v[38:39]
	v_fmac_f64_e32 v[2:3], v[22:23], v[42:43]
	v_mov_b64_e32 v[22:23], s[10:11]
	v_fmac_f64_e32 v[4:5], v[24:25], v[38:39]
	v_fmac_f64_e32 v[0:1], v[24:25], v[42:43]
	v_cmp_gt_i64_e32 vcc, s[8:9], v[22:23]
	s_waitcnt lgkmcnt(0)
	v_fmac_f64_e32 v[6:7], v[26:27], v[40:41]
	v_fmac_f64_e32 v[4:5], v[28:29], v[40:41]
	;; [unrolled: 1-line block ×4, first 2 shown]
	s_barrier
	s_cbranch_vccz .LBB482_12
.LBB482_6:                              ; =>This Inner Loop Header: Depth=1
	v_mov_b64_e32 v[22:23], 0
	s_and_saveexec_b64 s[12:13], s[0:1]
	s_cbranch_execz .LBB482_10
; %bb.7:                                ;   in Loop: Header=BB482_6 Depth=1
	v_add_u32_e32 v16, s10, v10
	v_cmp_gt_u64_e32 vcc, s[8:9], v[16:17]
	v_mov_b64_e32 v[22:23], 0
	s_and_saveexec_b64 s[14:15], vcc
	s_cbranch_execz .LBB482_9
; %bb.8:                                ;   in Loop: Header=BB482_6 Depth=1
	v_lshl_add_u64 v[22:23], v[16:17], 3, v[12:13]
	flat_load_dwordx2 v[22:23], v[22:23]
.LBB482_9:                              ;   in Loop: Header=BB482_6 Depth=1
	s_or_b64 exec, exec, s[14:15]
.LBB482_10:                             ;   in Loop: Header=BB482_6 Depth=1
	s_or_b64 exec, exec, s[12:13]
	v_add_u32_e32 v16, s10, v8
	v_cmp_gt_u64_e32 vcc, s[8:9], v[16:17]
	s_waitcnt vmcnt(0) lgkmcnt(0)
	ds_write_b64 v18, v[22:23]
	s_and_b64 s[14:15], vcc, s[2:3]
	v_mov_b64_e32 v[22:23], 0
	s_and_saveexec_b64 s[12:13], s[14:15]
	s_cbranch_execz .LBB482_5
; %bb.11:                               ;   in Loop: Header=BB482_6 Depth=1
	v_mad_u64_u32 v[22:23], s[14:15], s20, v16, 0
	v_mov_b32_e32 v24, v23
	v_mad_u64_u32 v[24:25], s[14:15], s21, v16, v[24:25]
	v_mov_b32_e32 v23, v24
	v_lshl_add_u64 v[22:23], v[22:23], 3, v[14:15]
	flat_load_dwordx2 v[22:23], v[22:23]
	s_branch .LBB482_5
.LBB482_12:
	s_lshl_b64 s[0:1], s[30:31], 3
	s_waitcnt lgkmcnt(0)
	s_add_u32 s8, s4, s0
	v_add_u32_e32 v14, s26, v11
	s_addc_u32 s9, s5, s1
	v_add_u32_e32 v8, s25, v9
	v_ashrrev_i32_e32 v9, 31, v14
	v_mad_u64_u32 v[10:11], s[0:1], s28, v14, 0
	v_mul_lo_u32 v9, s28, v9
	v_mul_lo_u32 v12, s29, v14
	v_cmp_neq_f64_e64 s[0:1], s[6:7], 0
	v_add3_u32 v11, v11, v9, v12
	v_cmp_le_i32_e32 vcc, v14, v8
	v_cmp_gt_i32_e64 s[2:3], s24, v8
	v_cndmask_b32_e64 v12, 0, 1, s[0:1]
	v_lshl_add_u64 v[10:11], v[10:11], 3, s[8:9]
	s_and_b64 s[10:11], vcc, s[2:3]
	v_ashrrev_i32_e32 v9, 31, v8
	v_cmp_ne_u32_e64 s[0:1], 1, v12
	s_and_saveexec_b64 s[4:5], s[10:11]
	s_cbranch_execz .LBB482_16
; %bb.13:
	v_mul_f64 v[6:7], s[34:35], v[6:7]
	s_and_b64 vcc, exec, s[0:1]
	v_lshl_add_u64 v[12:13], v[8:9], 3, v[10:11]
	s_cbranch_vccnz .LBB482_15
; %bb.14:
	flat_load_dwordx2 v[16:17], v[12:13]
	s_waitcnt vmcnt(0) lgkmcnt(0)
	v_fmac_f64_e32 v[6:7], s[6:7], v[16:17]
.LBB482_15:
	flat_store_dwordx2 v[12:13], v[6:7]
.LBB482_16:
	s_or_b64 exec, exec, s[4:5]
	v_add_u32_e32 v6, 16, v8
	v_cmp_le_i32_e32 vcc, v14, v6
	v_cmp_gt_i32_e64 s[4:5], s24, v6
	s_and_b64 s[12:13], vcc, s[4:5]
	v_ashrrev_i32_e32 v7, 31, v6
	s_and_saveexec_b64 s[10:11], s[12:13]
	s_cbranch_execz .LBB482_20
; %bb.17:
	v_mul_f64 v[4:5], s[34:35], v[4:5]
	s_and_b64 vcc, exec, s[0:1]
	v_lshl_add_u64 v[10:11], v[6:7], 3, v[10:11]
	s_cbranch_vccnz .LBB482_19
; %bb.18:
	flat_load_dwordx2 v[12:13], v[10:11]
	s_waitcnt vmcnt(0) lgkmcnt(0)
	v_fmac_f64_e32 v[4:5], s[6:7], v[12:13]
.LBB482_19:
	flat_store_dwordx2 v[10:11], v[4:5]
.LBB482_20:
	s_or_b64 exec, exec, s[10:11]
	v_add_u32_e32 v10, 16, v14
	v_ashrrev_i32_e32 v4, 31, v10
	v_mul_lo_u32 v11, s28, v4
	v_mul_lo_u32 v12, s29, v10
	v_mad_u64_u32 v[4:5], s[10:11], s28, v10, 0
	v_add3_u32 v5, v5, v11, v12
	v_cmp_le_i32_e32 vcc, v10, v8
	v_lshl_add_u64 v[4:5], v[4:5], 3, s[8:9]
	s_and_b64 s[8:9], vcc, s[2:3]
	s_and_saveexec_b64 s[2:3], s[8:9]
	s_cbranch_execz .LBB482_24
; %bb.21:
	v_mul_f64 v[2:3], s[34:35], v[2:3]
	s_and_b64 vcc, exec, s[0:1]
	v_lshl_add_u64 v[8:9], v[8:9], 3, v[4:5]
	s_cbranch_vccnz .LBB482_23
; %bb.22:
	flat_load_dwordx2 v[12:13], v[8:9]
	s_waitcnt vmcnt(0) lgkmcnt(0)
	v_fmac_f64_e32 v[2:3], s[6:7], v[12:13]
.LBB482_23:
	flat_store_dwordx2 v[8:9], v[2:3]
.LBB482_24:
	s_or_b64 exec, exec, s[2:3]
	v_cmp_le_i32_e32 vcc, v10, v6
	s_and_b64 s[2:3], vcc, s[4:5]
	s_and_saveexec_b64 s[4:5], s[2:3]
	s_cbranch_execz .LBB482_28
; %bb.25:
	v_mul_f64 v[0:1], s[34:35], v[0:1]
	s_and_b64 vcc, exec, s[0:1]
	v_lshl_add_u64 v[2:3], v[6:7], 3, v[4:5]
	s_cbranch_vccnz .LBB482_27
; %bb.26:
	flat_load_dwordx2 v[4:5], v[2:3]
	s_waitcnt vmcnt(0) lgkmcnt(0)
	v_fmac_f64_e32 v[0:1], s[6:7], v[4:5]
.LBB482_27:
	flat_store_dwordx2 v[2:3], v[0:1]
.LBB482_28:
	s_endpgm
	.section	.rodata,"a",@progbits
	.p2align	6, 0x0
	.amdhsa_kernel _ZL29rocblas_internal_gemmt_kernelIlLi16ELi32ELi8ELc84ELc67ELc76ELb0ELb0EdPKdPKS1_PKPdEviT_T9_T10_S7_lS9_S7_lS8_T11_S7_li
		.amdhsa_group_segment_fixed_size 4096
		.amdhsa_private_segment_fixed_size 0
		.amdhsa_kernarg_size 108
		.amdhsa_user_sgpr_count 2
		.amdhsa_user_sgpr_dispatch_ptr 0
		.amdhsa_user_sgpr_queue_ptr 0
		.amdhsa_user_sgpr_kernarg_segment_ptr 1
		.amdhsa_user_sgpr_dispatch_id 0
		.amdhsa_user_sgpr_kernarg_preload_length 0
		.amdhsa_user_sgpr_kernarg_preload_offset 0
		.amdhsa_user_sgpr_private_segment_size 0
		.amdhsa_uses_dynamic_stack 0
		.amdhsa_enable_private_segment 0
		.amdhsa_system_sgpr_workgroup_id_x 1
		.amdhsa_system_sgpr_workgroup_id_y 1
		.amdhsa_system_sgpr_workgroup_id_z 1
		.amdhsa_system_sgpr_workgroup_info 0
		.amdhsa_system_vgpr_workitem_id 1
		.amdhsa_next_free_vgpr 54
		.amdhsa_next_free_sgpr 36
		.amdhsa_accum_offset 56
		.amdhsa_reserve_vcc 1
		.amdhsa_float_round_mode_32 0
		.amdhsa_float_round_mode_16_64 0
		.amdhsa_float_denorm_mode_32 3
		.amdhsa_float_denorm_mode_16_64 3
		.amdhsa_dx10_clamp 1
		.amdhsa_ieee_mode 1
		.amdhsa_fp16_overflow 0
		.amdhsa_tg_split 0
		.amdhsa_exception_fp_ieee_invalid_op 0
		.amdhsa_exception_fp_denorm_src 0
		.amdhsa_exception_fp_ieee_div_zero 0
		.amdhsa_exception_fp_ieee_overflow 0
		.amdhsa_exception_fp_ieee_underflow 0
		.amdhsa_exception_fp_ieee_inexact 0
		.amdhsa_exception_int_div_zero 0
	.end_amdhsa_kernel
	.section	.text._ZL29rocblas_internal_gemmt_kernelIlLi16ELi32ELi8ELc84ELc67ELc76ELb0ELb0EdPKdPKS1_PKPdEviT_T9_T10_S7_lS9_S7_lS8_T11_S7_li,"axG",@progbits,_ZL29rocblas_internal_gemmt_kernelIlLi16ELi32ELi8ELc84ELc67ELc76ELb0ELb0EdPKdPKS1_PKPdEviT_T9_T10_S7_lS9_S7_lS8_T11_S7_li,comdat
.Lfunc_end482:
	.size	_ZL29rocblas_internal_gemmt_kernelIlLi16ELi32ELi8ELc84ELc67ELc76ELb0ELb0EdPKdPKS1_PKPdEviT_T9_T10_S7_lS9_S7_lS8_T11_S7_li, .Lfunc_end482-_ZL29rocblas_internal_gemmt_kernelIlLi16ELi32ELi8ELc84ELc67ELc76ELb0ELb0EdPKdPKS1_PKPdEviT_T9_T10_S7_lS9_S7_lS8_T11_S7_li
                                        ; -- End function
	.set _ZL29rocblas_internal_gemmt_kernelIlLi16ELi32ELi8ELc84ELc67ELc76ELb0ELb0EdPKdPKS1_PKPdEviT_T9_T10_S7_lS9_S7_lS8_T11_S7_li.num_vgpr, 54
	.set _ZL29rocblas_internal_gemmt_kernelIlLi16ELi32ELi8ELc84ELc67ELc76ELb0ELb0EdPKdPKS1_PKPdEviT_T9_T10_S7_lS9_S7_lS8_T11_S7_li.num_agpr, 0
	.set _ZL29rocblas_internal_gemmt_kernelIlLi16ELi32ELi8ELc84ELc67ELc76ELb0ELb0EdPKdPKS1_PKPdEviT_T9_T10_S7_lS9_S7_lS8_T11_S7_li.numbered_sgpr, 36
	.set _ZL29rocblas_internal_gemmt_kernelIlLi16ELi32ELi8ELc84ELc67ELc76ELb0ELb0EdPKdPKS1_PKPdEviT_T9_T10_S7_lS9_S7_lS8_T11_S7_li.num_named_barrier, 0
	.set _ZL29rocblas_internal_gemmt_kernelIlLi16ELi32ELi8ELc84ELc67ELc76ELb0ELb0EdPKdPKS1_PKPdEviT_T9_T10_S7_lS9_S7_lS8_T11_S7_li.private_seg_size, 0
	.set _ZL29rocblas_internal_gemmt_kernelIlLi16ELi32ELi8ELc84ELc67ELc76ELb0ELb0EdPKdPKS1_PKPdEviT_T9_T10_S7_lS9_S7_lS8_T11_S7_li.uses_vcc, 1
	.set _ZL29rocblas_internal_gemmt_kernelIlLi16ELi32ELi8ELc84ELc67ELc76ELb0ELb0EdPKdPKS1_PKPdEviT_T9_T10_S7_lS9_S7_lS8_T11_S7_li.uses_flat_scratch, 0
	.set _ZL29rocblas_internal_gemmt_kernelIlLi16ELi32ELi8ELc84ELc67ELc76ELb0ELb0EdPKdPKS1_PKPdEviT_T9_T10_S7_lS9_S7_lS8_T11_S7_li.has_dyn_sized_stack, 0
	.set _ZL29rocblas_internal_gemmt_kernelIlLi16ELi32ELi8ELc84ELc67ELc76ELb0ELb0EdPKdPKS1_PKPdEviT_T9_T10_S7_lS9_S7_lS8_T11_S7_li.has_recursion, 0
	.set _ZL29rocblas_internal_gemmt_kernelIlLi16ELi32ELi8ELc84ELc67ELc76ELb0ELb0EdPKdPKS1_PKPdEviT_T9_T10_S7_lS9_S7_lS8_T11_S7_li.has_indirect_call, 0
	.section	.AMDGPU.csdata,"",@progbits
; Kernel info:
; codeLenInByte = 1348
; TotalNumSgprs: 42
; NumVgprs: 54
; NumAgprs: 0
; TotalNumVgprs: 54
; ScratchSize: 0
; MemoryBound: 0
; FloatMode: 240
; IeeeMode: 1
; LDSByteSize: 4096 bytes/workgroup (compile time only)
; SGPRBlocks: 5
; VGPRBlocks: 6
; NumSGPRsForWavesPerEU: 42
; NumVGPRsForWavesPerEU: 54
; AccumOffset: 56
; Occupancy: 8
; WaveLimiterHint : 1
; COMPUTE_PGM_RSRC2:SCRATCH_EN: 0
; COMPUTE_PGM_RSRC2:USER_SGPR: 2
; COMPUTE_PGM_RSRC2:TRAP_HANDLER: 0
; COMPUTE_PGM_RSRC2:TGID_X_EN: 1
; COMPUTE_PGM_RSRC2:TGID_Y_EN: 1
; COMPUTE_PGM_RSRC2:TGID_Z_EN: 1
; COMPUTE_PGM_RSRC2:TIDIG_COMP_CNT: 1
; COMPUTE_PGM_RSRC3_GFX90A:ACCUM_OFFSET: 13
; COMPUTE_PGM_RSRC3_GFX90A:TG_SPLIT: 0
	.section	.text._ZL29rocblas_internal_gemmt_kernelIlLi16ELi32ELi8ELc67ELc78ELc76ELb0ELb0EdPKdPKS1_PKPdEviT_T9_T10_S7_lS9_S7_lS8_T11_S7_li,"axG",@progbits,_ZL29rocblas_internal_gemmt_kernelIlLi16ELi32ELi8ELc67ELc78ELc76ELb0ELb0EdPKdPKS1_PKPdEviT_T9_T10_S7_lS9_S7_lS8_T11_S7_li,comdat
	.globl	_ZL29rocblas_internal_gemmt_kernelIlLi16ELi32ELi8ELc67ELc78ELc76ELb0ELb0EdPKdPKS1_PKPdEviT_T9_T10_S7_lS9_S7_lS8_T11_S7_li ; -- Begin function _ZL29rocblas_internal_gemmt_kernelIlLi16ELi32ELi8ELc67ELc78ELc76ELb0ELb0EdPKdPKS1_PKPdEviT_T9_T10_S7_lS9_S7_lS8_T11_S7_li
	.p2align	8
	.type	_ZL29rocblas_internal_gemmt_kernelIlLi16ELi32ELi8ELc67ELc78ELc76ELb0ELb0EdPKdPKS1_PKPdEviT_T9_T10_S7_lS9_S7_lS8_T11_S7_li,@function
_ZL29rocblas_internal_gemmt_kernelIlLi16ELi32ELi8ELc67ELc78ELc76ELb0ELb0EdPKdPKS1_PKPdEviT_T9_T10_S7_lS9_S7_lS8_T11_S7_li: ; @_ZL29rocblas_internal_gemmt_kernelIlLi16ELi32ELi8ELc67ELc78ELc76ELb0ELb0EdPKdPKS1_PKPdEviT_T9_T10_S7_lS9_S7_lS8_T11_S7_li
; %bb.0:
	s_load_dwordx8 s[24:31], s[0:1], 0x48
	s_load_dwordx16 s[8:23], s[0:1], 0x8
	s_waitcnt lgkmcnt(0)
	s_load_dwordx2 s[6:7], s[24:25], 0x0
	s_load_dwordx2 s[34:35], s[10:11], 0x0
	s_waitcnt lgkmcnt(0)
	v_cmp_neq_f64_e64 s[10:11], s[6:7], 1.0
	s_and_b64 vcc, exec, s[10:11]
	s_cbranch_vccnz .LBB483_2
; %bb.1:
	s_cmp_lg_u64 s[8:9], 0
	s_cselect_b64 s[10:11], -1, 0
	v_cmp_neq_f64_e64 s[24:25], s[34:35], 0
	s_and_b64 s[10:11], s[10:11], s[24:25]
.LBB483_2:
	s_andn2_b64 vcc, exec, s[10:11]
	s_cbranch_vccnz .LBB483_28
; %bb.3:
	s_mov_b32 s5, 0
	s_load_dword s24, s[0:1], 0x0
	s_lshl_b64 s[0:1], s[4:5], 3
	s_add_u32 s4, s26, s0
	s_addc_u32 s5, s27, s1
	s_load_dwordx2 s[4:5], s[4:5], 0x0
	s_lshl_b32 s25, s2, 5
	s_lshl_b32 s26, s3, 5
	v_cmp_eq_f64_e64 s[2:3], s[34:35], 0
	v_cmp_lt_i64_e64 s[10:11], s[8:9], 1
	s_or_b64 s[2:3], s[2:3], s[10:11]
	v_and_b32_e32 v9, 0x3ff, v0
	v_bfe_u32 v11, v0, 10, 10
	v_mov_b64_e32 v[6:7], 0
	s_and_b64 vcc, exec, s[2:3]
	v_mov_b64_e32 v[4:5], 0
	v_mov_b64_e32 v[2:3], 0
	;; [unrolled: 1-line block ×3, first 2 shown]
	s_cbranch_vccnz .LBB483_12
; %bb.4:
	s_add_u32 s2, s18, s0
	s_addc_u32 s3, s19, s1
	s_load_dwordx2 s[2:3], s[2:3], 0x0
	s_lshl_b64 s[10:11], s[22:23], 3
	v_lshl_add_u32 v0, v11, 4, v9
	v_lshrrev_b32_e32 v10, 5, v0
	v_lshrrev_b32_e32 v2, 3, v0
	s_waitcnt lgkmcnt(0)
	s_add_u32 s10, s2, s10
	s_addc_u32 s11, s3, s11
	s_add_u32 s0, s12, s0
	s_addc_u32 s1, s13, s1
	s_load_dwordx2 s[0:1], s[0:1], 0x0
	v_and_b32_e32 v0, 31, v0
	s_lshl_b64 s[2:3], s[16:17], 3
	v_or_b32_e32 v1, s25, v0
	v_lshlrev_b32_e32 v0, 3, v0
	s_waitcnt lgkmcnt(0)
	s_add_u32 s2, s0, s2
	s_addc_u32 s3, s1, s3
	v_cmp_gt_i32_e64 s[0:1], s24, v1
	v_lshl_or_b32 v18, v10, 8, v0
	s_ashr_i32 s16, s25, 31
	v_mul_lo_u32 v4, s15, v1
	v_mad_u64_u32 v[0:1], s[12:13], s14, v1, 0
	s_mul_i32 s12, s14, s16
	v_and_b32_e32 v8, 7, v9
	v_add3_u32 v1, v1, s12, v4
	v_lshl_add_u64 v[12:13], v[0:1], 3, s[2:3]
	v_lshlrev_b32_e32 v0, 3, v8
	v_add_u32_e32 v3, s26, v2
	v_lshl_or_b32 v0, v2, 6, v0
	v_add_u32_e32 v19, 0x800, v0
	v_ashrrev_i32_e32 v0, 31, v3
	v_mul_lo_u32 v2, s20, v0
	v_mul_lo_u32 v4, s21, v3
	v_mad_u64_u32 v[0:1], s[12:13], s20, v3, 0
	v_add3_u32 v1, v1, v2, v4
	v_lshl_add_u64 v[14:15], v[0:1], 3, s[10:11]
	v_mov_b32_e32 v0, 0x800
	v_cmp_gt_i32_e64 s[2:3], s24, v3
	v_lshlrev_b32_e32 v20, 3, v9
	v_lshl_add_u32 v21, v11, 6, v0
	v_mov_b32_e32 v17, 0
	v_mov_b64_e32 v[0:1], 0
	s_mov_b64 s[10:11], 0
	v_mov_b64_e32 v[2:3], 0
	v_mov_b64_e32 v[4:5], 0
	;; [unrolled: 1-line block ×3, first 2 shown]
	s_branch .LBB483_6
.LBB483_5:                              ;   in Loop: Header=BB483_6 Depth=1
	s_or_b64 exec, exec, s[12:13]
	s_waitcnt vmcnt(0) lgkmcnt(0)
	ds_write_b64 v19, v[22:23]
	s_waitcnt lgkmcnt(0)
	s_barrier
	ds_read2_b64 v[22:25], v20 offset1:16
	ds_read_b128 v[26:29], v21
	ds_read_b128 v[30:33], v21 offset:16
	ds_read_b128 v[34:37], v21 offset:32
	;; [unrolled: 1-line block ×4, first 2 shown]
	ds_read2_b64 v[46:49], v20 offset0:32 offset1:48
	s_waitcnt lgkmcnt(5)
	v_fmac_f64_e32 v[6:7], v[22:23], v[26:27]
	v_fmac_f64_e32 v[4:5], v[24:25], v[26:27]
	ds_read_b128 v[50:53], v21 offset:1040
	s_waitcnt lgkmcnt(2)
	v_fmac_f64_e32 v[2:3], v[22:23], v[42:43]
	v_fmac_f64_e32 v[0:1], v[24:25], v[42:43]
	ds_read2_b64 v[22:25], v20 offset0:64 offset1:80
	s_waitcnt lgkmcnt(2)
	v_fmac_f64_e32 v[6:7], v[46:47], v[28:29]
	v_fmac_f64_e32 v[4:5], v[48:49], v[28:29]
	ds_read2_b64 v[26:29], v20 offset0:96 offset1:112
	v_fmac_f64_e32 v[2:3], v[46:47], v[44:45]
	v_fmac_f64_e32 v[0:1], v[48:49], v[44:45]
	s_waitcnt lgkmcnt(1)
	v_fmac_f64_e32 v[6:7], v[22:23], v[30:31]
	v_fmac_f64_e32 v[4:5], v[24:25], v[30:31]
	ds_read_b128 v[42:45], v21 offset:1072
	v_fmac_f64_e32 v[2:3], v[22:23], v[50:51]
	v_fmac_f64_e32 v[0:1], v[24:25], v[50:51]
	s_waitcnt lgkmcnt(1)
	v_fmac_f64_e32 v[6:7], v[26:27], v[32:33]
	ds_read2_b64 v[22:25], v20 offset0:128 offset1:144
	v_fmac_f64_e32 v[4:5], v[28:29], v[32:33]
	v_fmac_f64_e32 v[2:3], v[26:27], v[52:53]
	;; [unrolled: 1-line block ×3, first 2 shown]
	ds_read_b128 v[26:29], v21 offset:1056
	ds_read2_b64 v[30:33], v20 offset0:160 offset1:176
	s_waitcnt lgkmcnt(2)
	v_fmac_f64_e32 v[6:7], v[22:23], v[34:35]
	v_fmac_f64_e32 v[4:5], v[24:25], v[34:35]
	s_add_u32 s10, s10, 8
	s_waitcnt lgkmcnt(1)
	v_fmac_f64_e32 v[2:3], v[22:23], v[26:27]
	v_fmac_f64_e32 v[0:1], v[24:25], v[26:27]
	ds_read2_b64 v[22:25], v20 offset0:192 offset1:208
	s_waitcnt lgkmcnt(1)
	v_fmac_f64_e32 v[2:3], v[30:31], v[28:29]
	v_fmac_f64_e32 v[0:1], v[32:33], v[28:29]
	ds_read2_b64 v[26:29], v20 offset0:224 offset1:240
	v_fmac_f64_e32 v[6:7], v[30:31], v[36:37]
	s_addc_u32 s11, s11, 0
	v_fmac_f64_e32 v[4:5], v[32:33], v[36:37]
	s_waitcnt lgkmcnt(1)
	v_fmac_f64_e32 v[6:7], v[22:23], v[38:39]
	v_fmac_f64_e32 v[2:3], v[22:23], v[42:43]
	v_mov_b64_e32 v[22:23], s[10:11]
	v_fmac_f64_e32 v[4:5], v[24:25], v[38:39]
	v_fmac_f64_e32 v[0:1], v[24:25], v[42:43]
	v_cmp_gt_i64_e32 vcc, s[8:9], v[22:23]
	s_waitcnt lgkmcnt(0)
	v_fmac_f64_e32 v[6:7], v[26:27], v[40:41]
	v_fmac_f64_e32 v[4:5], v[28:29], v[40:41]
	;; [unrolled: 1-line block ×4, first 2 shown]
	s_barrier
	s_cbranch_vccz .LBB483_12
.LBB483_6:                              ; =>This Inner Loop Header: Depth=1
	v_mov_b64_e32 v[22:23], 0
	s_and_saveexec_b64 s[12:13], s[0:1]
	s_cbranch_execz .LBB483_10
; %bb.7:                                ;   in Loop: Header=BB483_6 Depth=1
	v_add_u32_e32 v16, s10, v10
	v_cmp_gt_u64_e32 vcc, s[8:9], v[16:17]
	v_mov_b64_e32 v[22:23], 0
	s_and_saveexec_b64 s[14:15], vcc
	s_cbranch_execz .LBB483_9
; %bb.8:                                ;   in Loop: Header=BB483_6 Depth=1
	v_lshl_add_u64 v[22:23], v[16:17], 3, v[12:13]
	flat_load_dwordx2 v[22:23], v[22:23]
.LBB483_9:                              ;   in Loop: Header=BB483_6 Depth=1
	s_or_b64 exec, exec, s[14:15]
.LBB483_10:                             ;   in Loop: Header=BB483_6 Depth=1
	s_or_b64 exec, exec, s[12:13]
	v_add_u32_e32 v16, s10, v8
	v_cmp_gt_u64_e32 vcc, s[8:9], v[16:17]
	s_waitcnt vmcnt(0) lgkmcnt(0)
	ds_write_b64 v18, v[22:23]
	s_and_b64 s[14:15], vcc, s[2:3]
	v_mov_b64_e32 v[22:23], 0
	s_and_saveexec_b64 s[12:13], s[14:15]
	s_cbranch_execz .LBB483_5
; %bb.11:                               ;   in Loop: Header=BB483_6 Depth=1
	v_lshl_add_u64 v[22:23], v[16:17], 3, v[14:15]
	flat_load_dwordx2 v[22:23], v[22:23]
	s_branch .LBB483_5
.LBB483_12:
	s_lshl_b64 s[0:1], s[30:31], 3
	s_waitcnt lgkmcnt(0)
	s_add_u32 s8, s4, s0
	v_add_u32_e32 v14, s26, v11
	s_addc_u32 s9, s5, s1
	v_add_u32_e32 v8, s25, v9
	v_ashrrev_i32_e32 v9, 31, v14
	v_mad_u64_u32 v[10:11], s[0:1], s28, v14, 0
	v_mul_lo_u32 v9, s28, v9
	v_mul_lo_u32 v12, s29, v14
	v_cmp_neq_f64_e64 s[0:1], s[6:7], 0
	v_add3_u32 v11, v11, v9, v12
	v_cmp_le_i32_e32 vcc, v14, v8
	v_cmp_gt_i32_e64 s[2:3], s24, v8
	v_cndmask_b32_e64 v12, 0, 1, s[0:1]
	v_lshl_add_u64 v[10:11], v[10:11], 3, s[8:9]
	s_and_b64 s[10:11], vcc, s[2:3]
	v_ashrrev_i32_e32 v9, 31, v8
	v_cmp_ne_u32_e64 s[0:1], 1, v12
	s_and_saveexec_b64 s[4:5], s[10:11]
	s_cbranch_execz .LBB483_16
; %bb.13:
	v_mul_f64 v[6:7], s[34:35], v[6:7]
	s_and_b64 vcc, exec, s[0:1]
	v_lshl_add_u64 v[12:13], v[8:9], 3, v[10:11]
	s_cbranch_vccnz .LBB483_15
; %bb.14:
	flat_load_dwordx2 v[16:17], v[12:13]
	s_waitcnt vmcnt(0) lgkmcnt(0)
	v_fmac_f64_e32 v[6:7], s[6:7], v[16:17]
.LBB483_15:
	flat_store_dwordx2 v[12:13], v[6:7]
.LBB483_16:
	s_or_b64 exec, exec, s[4:5]
	v_add_u32_e32 v6, 16, v8
	v_cmp_le_i32_e32 vcc, v14, v6
	v_cmp_gt_i32_e64 s[4:5], s24, v6
	s_and_b64 s[12:13], vcc, s[4:5]
	v_ashrrev_i32_e32 v7, 31, v6
	s_and_saveexec_b64 s[10:11], s[12:13]
	s_cbranch_execz .LBB483_20
; %bb.17:
	v_mul_f64 v[4:5], s[34:35], v[4:5]
	s_and_b64 vcc, exec, s[0:1]
	v_lshl_add_u64 v[10:11], v[6:7], 3, v[10:11]
	s_cbranch_vccnz .LBB483_19
; %bb.18:
	flat_load_dwordx2 v[12:13], v[10:11]
	s_waitcnt vmcnt(0) lgkmcnt(0)
	v_fmac_f64_e32 v[4:5], s[6:7], v[12:13]
.LBB483_19:
	flat_store_dwordx2 v[10:11], v[4:5]
.LBB483_20:
	s_or_b64 exec, exec, s[10:11]
	v_add_u32_e32 v10, 16, v14
	v_ashrrev_i32_e32 v4, 31, v10
	v_mul_lo_u32 v11, s28, v4
	v_mul_lo_u32 v12, s29, v10
	v_mad_u64_u32 v[4:5], s[10:11], s28, v10, 0
	v_add3_u32 v5, v5, v11, v12
	v_cmp_le_i32_e32 vcc, v10, v8
	v_lshl_add_u64 v[4:5], v[4:5], 3, s[8:9]
	s_and_b64 s[8:9], vcc, s[2:3]
	s_and_saveexec_b64 s[2:3], s[8:9]
	s_cbranch_execz .LBB483_24
; %bb.21:
	v_mul_f64 v[2:3], s[34:35], v[2:3]
	s_and_b64 vcc, exec, s[0:1]
	v_lshl_add_u64 v[8:9], v[8:9], 3, v[4:5]
	s_cbranch_vccnz .LBB483_23
; %bb.22:
	flat_load_dwordx2 v[12:13], v[8:9]
	s_waitcnt vmcnt(0) lgkmcnt(0)
	v_fmac_f64_e32 v[2:3], s[6:7], v[12:13]
.LBB483_23:
	flat_store_dwordx2 v[8:9], v[2:3]
.LBB483_24:
	s_or_b64 exec, exec, s[2:3]
	v_cmp_le_i32_e32 vcc, v10, v6
	s_and_b64 s[2:3], vcc, s[4:5]
	s_and_saveexec_b64 s[4:5], s[2:3]
	s_cbranch_execz .LBB483_28
; %bb.25:
	v_mul_f64 v[0:1], s[34:35], v[0:1]
	s_and_b64 vcc, exec, s[0:1]
	v_lshl_add_u64 v[2:3], v[6:7], 3, v[4:5]
	s_cbranch_vccnz .LBB483_27
; %bb.26:
	flat_load_dwordx2 v[4:5], v[2:3]
	s_waitcnt vmcnt(0) lgkmcnt(0)
	v_fmac_f64_e32 v[0:1], s[6:7], v[4:5]
.LBB483_27:
	flat_store_dwordx2 v[2:3], v[0:1]
.LBB483_28:
	s_endpgm
	.section	.rodata,"a",@progbits
	.p2align	6, 0x0
	.amdhsa_kernel _ZL29rocblas_internal_gemmt_kernelIlLi16ELi32ELi8ELc67ELc78ELc76ELb0ELb0EdPKdPKS1_PKPdEviT_T9_T10_S7_lS9_S7_lS8_T11_S7_li
		.amdhsa_group_segment_fixed_size 4096
		.amdhsa_private_segment_fixed_size 0
		.amdhsa_kernarg_size 108
		.amdhsa_user_sgpr_count 2
		.amdhsa_user_sgpr_dispatch_ptr 0
		.amdhsa_user_sgpr_queue_ptr 0
		.amdhsa_user_sgpr_kernarg_segment_ptr 1
		.amdhsa_user_sgpr_dispatch_id 0
		.amdhsa_user_sgpr_kernarg_preload_length 0
		.amdhsa_user_sgpr_kernarg_preload_offset 0
		.amdhsa_user_sgpr_private_segment_size 0
		.amdhsa_uses_dynamic_stack 0
		.amdhsa_enable_private_segment 0
		.amdhsa_system_sgpr_workgroup_id_x 1
		.amdhsa_system_sgpr_workgroup_id_y 1
		.amdhsa_system_sgpr_workgroup_id_z 1
		.amdhsa_system_sgpr_workgroup_info 0
		.amdhsa_system_vgpr_workitem_id 1
		.amdhsa_next_free_vgpr 54
		.amdhsa_next_free_sgpr 36
		.amdhsa_accum_offset 56
		.amdhsa_reserve_vcc 1
		.amdhsa_float_round_mode_32 0
		.amdhsa_float_round_mode_16_64 0
		.amdhsa_float_denorm_mode_32 3
		.amdhsa_float_denorm_mode_16_64 3
		.amdhsa_dx10_clamp 1
		.amdhsa_ieee_mode 1
		.amdhsa_fp16_overflow 0
		.amdhsa_tg_split 0
		.amdhsa_exception_fp_ieee_invalid_op 0
		.amdhsa_exception_fp_denorm_src 0
		.amdhsa_exception_fp_ieee_div_zero 0
		.amdhsa_exception_fp_ieee_overflow 0
		.amdhsa_exception_fp_ieee_underflow 0
		.amdhsa_exception_fp_ieee_inexact 0
		.amdhsa_exception_int_div_zero 0
	.end_amdhsa_kernel
	.section	.text._ZL29rocblas_internal_gemmt_kernelIlLi16ELi32ELi8ELc67ELc78ELc76ELb0ELb0EdPKdPKS1_PKPdEviT_T9_T10_S7_lS9_S7_lS8_T11_S7_li,"axG",@progbits,_ZL29rocblas_internal_gemmt_kernelIlLi16ELi32ELi8ELc67ELc78ELc76ELb0ELb0EdPKdPKS1_PKPdEviT_T9_T10_S7_lS9_S7_lS8_T11_S7_li,comdat
.Lfunc_end483:
	.size	_ZL29rocblas_internal_gemmt_kernelIlLi16ELi32ELi8ELc67ELc78ELc76ELb0ELb0EdPKdPKS1_PKPdEviT_T9_T10_S7_lS9_S7_lS8_T11_S7_li, .Lfunc_end483-_ZL29rocblas_internal_gemmt_kernelIlLi16ELi32ELi8ELc67ELc78ELc76ELb0ELb0EdPKdPKS1_PKPdEviT_T9_T10_S7_lS9_S7_lS8_T11_S7_li
                                        ; -- End function
	.set _ZL29rocblas_internal_gemmt_kernelIlLi16ELi32ELi8ELc67ELc78ELc76ELb0ELb0EdPKdPKS1_PKPdEviT_T9_T10_S7_lS9_S7_lS8_T11_S7_li.num_vgpr, 54
	.set _ZL29rocblas_internal_gemmt_kernelIlLi16ELi32ELi8ELc67ELc78ELc76ELb0ELb0EdPKdPKS1_PKPdEviT_T9_T10_S7_lS9_S7_lS8_T11_S7_li.num_agpr, 0
	.set _ZL29rocblas_internal_gemmt_kernelIlLi16ELi32ELi8ELc67ELc78ELc76ELb0ELb0EdPKdPKS1_PKPdEviT_T9_T10_S7_lS9_S7_lS8_T11_S7_li.numbered_sgpr, 36
	.set _ZL29rocblas_internal_gemmt_kernelIlLi16ELi32ELi8ELc67ELc78ELc76ELb0ELb0EdPKdPKS1_PKPdEviT_T9_T10_S7_lS9_S7_lS8_T11_S7_li.num_named_barrier, 0
	.set _ZL29rocblas_internal_gemmt_kernelIlLi16ELi32ELi8ELc67ELc78ELc76ELb0ELb0EdPKdPKS1_PKPdEviT_T9_T10_S7_lS9_S7_lS8_T11_S7_li.private_seg_size, 0
	.set _ZL29rocblas_internal_gemmt_kernelIlLi16ELi32ELi8ELc67ELc78ELc76ELb0ELb0EdPKdPKS1_PKPdEviT_T9_T10_S7_lS9_S7_lS8_T11_S7_li.uses_vcc, 1
	.set _ZL29rocblas_internal_gemmt_kernelIlLi16ELi32ELi8ELc67ELc78ELc76ELb0ELb0EdPKdPKS1_PKPdEviT_T9_T10_S7_lS9_S7_lS8_T11_S7_li.uses_flat_scratch, 0
	.set _ZL29rocblas_internal_gemmt_kernelIlLi16ELi32ELi8ELc67ELc78ELc76ELb0ELb0EdPKdPKS1_PKPdEviT_T9_T10_S7_lS9_S7_lS8_T11_S7_li.has_dyn_sized_stack, 0
	.set _ZL29rocblas_internal_gemmt_kernelIlLi16ELi32ELi8ELc67ELc78ELc76ELb0ELb0EdPKdPKS1_PKPdEviT_T9_T10_S7_lS9_S7_lS8_T11_S7_li.has_recursion, 0
	.set _ZL29rocblas_internal_gemmt_kernelIlLi16ELi32ELi8ELc67ELc78ELc76ELb0ELb0EdPKdPKS1_PKPdEviT_T9_T10_S7_lS9_S7_lS8_T11_S7_li.has_indirect_call, 0
	.section	.AMDGPU.csdata,"",@progbits
; Kernel info:
; codeLenInByte = 1356
; TotalNumSgprs: 42
; NumVgprs: 54
; NumAgprs: 0
; TotalNumVgprs: 54
; ScratchSize: 0
; MemoryBound: 0
; FloatMode: 240
; IeeeMode: 1
; LDSByteSize: 4096 bytes/workgroup (compile time only)
; SGPRBlocks: 5
; VGPRBlocks: 6
; NumSGPRsForWavesPerEU: 42
; NumVGPRsForWavesPerEU: 54
; AccumOffset: 56
; Occupancy: 8
; WaveLimiterHint : 1
; COMPUTE_PGM_RSRC2:SCRATCH_EN: 0
; COMPUTE_PGM_RSRC2:USER_SGPR: 2
; COMPUTE_PGM_RSRC2:TRAP_HANDLER: 0
; COMPUTE_PGM_RSRC2:TGID_X_EN: 1
; COMPUTE_PGM_RSRC2:TGID_Y_EN: 1
; COMPUTE_PGM_RSRC2:TGID_Z_EN: 1
; COMPUTE_PGM_RSRC2:TIDIG_COMP_CNT: 1
; COMPUTE_PGM_RSRC3_GFX90A:ACCUM_OFFSET: 13
; COMPUTE_PGM_RSRC3_GFX90A:TG_SPLIT: 0
	.section	.text._ZL29rocblas_internal_gemmt_kernelIlLi16ELi32ELi8ELc67ELc84ELc76ELb0ELb0EdPKdPKS1_PKPdEviT_T9_T10_S7_lS9_S7_lS8_T11_S7_li,"axG",@progbits,_ZL29rocblas_internal_gemmt_kernelIlLi16ELi32ELi8ELc67ELc84ELc76ELb0ELb0EdPKdPKS1_PKPdEviT_T9_T10_S7_lS9_S7_lS8_T11_S7_li,comdat
	.globl	_ZL29rocblas_internal_gemmt_kernelIlLi16ELi32ELi8ELc67ELc84ELc76ELb0ELb0EdPKdPKS1_PKPdEviT_T9_T10_S7_lS9_S7_lS8_T11_S7_li ; -- Begin function _ZL29rocblas_internal_gemmt_kernelIlLi16ELi32ELi8ELc67ELc84ELc76ELb0ELb0EdPKdPKS1_PKPdEviT_T9_T10_S7_lS9_S7_lS8_T11_S7_li
	.p2align	8
	.type	_ZL29rocblas_internal_gemmt_kernelIlLi16ELi32ELi8ELc67ELc84ELc76ELb0ELb0EdPKdPKS1_PKPdEviT_T9_T10_S7_lS9_S7_lS8_T11_S7_li,@function
_ZL29rocblas_internal_gemmt_kernelIlLi16ELi32ELi8ELc67ELc84ELc76ELb0ELb0EdPKdPKS1_PKPdEviT_T9_T10_S7_lS9_S7_lS8_T11_S7_li: ; @_ZL29rocblas_internal_gemmt_kernelIlLi16ELi32ELi8ELc67ELc84ELc76ELb0ELb0EdPKdPKS1_PKPdEviT_T9_T10_S7_lS9_S7_lS8_T11_S7_li
; %bb.0:
	s_load_dwordx8 s[24:31], s[0:1], 0x48
	s_load_dwordx16 s[8:23], s[0:1], 0x8
	s_waitcnt lgkmcnt(0)
	s_load_dwordx2 s[6:7], s[24:25], 0x0
	s_load_dwordx2 s[34:35], s[10:11], 0x0
	s_waitcnt lgkmcnt(0)
	v_cmp_neq_f64_e64 s[10:11], s[6:7], 1.0
	s_and_b64 vcc, exec, s[10:11]
	s_cbranch_vccnz .LBB484_2
; %bb.1:
	s_cmp_lg_u64 s[8:9], 0
	s_cselect_b64 s[10:11], -1, 0
	v_cmp_neq_f64_e64 s[24:25], s[34:35], 0
	s_and_b64 s[10:11], s[10:11], s[24:25]
.LBB484_2:
	s_andn2_b64 vcc, exec, s[10:11]
	s_cbranch_vccnz .LBB484_28
; %bb.3:
	s_mov_b32 s5, 0
	s_load_dword s24, s[0:1], 0x0
	s_lshl_b64 s[0:1], s[4:5], 3
	s_add_u32 s4, s26, s0
	s_addc_u32 s5, s27, s1
	s_load_dwordx2 s[4:5], s[4:5], 0x0
	s_lshl_b32 s25, s2, 5
	s_lshl_b32 s26, s3, 5
	v_cmp_eq_f64_e64 s[2:3], s[34:35], 0
	v_cmp_lt_i64_e64 s[10:11], s[8:9], 1
	s_or_b64 s[2:3], s[2:3], s[10:11]
	v_and_b32_e32 v9, 0x3ff, v0
	v_bfe_u32 v11, v0, 10, 10
	v_mov_b64_e32 v[6:7], 0
	s_and_b64 vcc, exec, s[2:3]
	v_mov_b64_e32 v[4:5], 0
	v_mov_b64_e32 v[2:3], 0
	;; [unrolled: 1-line block ×3, first 2 shown]
	s_cbranch_vccnz .LBB484_12
; %bb.4:
	s_add_u32 s2, s18, s0
	s_addc_u32 s3, s19, s1
	s_load_dwordx2 s[2:3], s[2:3], 0x0
	s_lshl_b64 s[10:11], s[22:23], 3
	v_lshl_add_u32 v1, v11, 4, v9
	v_lshrrev_b32_e32 v10, 5, v1
	v_lshrrev_b32_e32 v4, 3, v1
	s_waitcnt lgkmcnt(0)
	s_add_u32 s10, s2, s10
	s_addc_u32 s11, s3, s11
	s_add_u32 s0, s12, s0
	s_addc_u32 s1, s13, s1
	s_load_dwordx2 s[0:1], s[0:1], 0x0
	v_and_b32_e32 v1, 31, v1
	s_lshl_b64 s[2:3], s[16:17], 3
	v_or_b32_e32 v2, s25, v1
	v_lshlrev_b32_e32 v1, 3, v1
	s_waitcnt lgkmcnt(0)
	s_add_u32 s2, s0, s2
	s_addc_u32 s3, s1, s3
	v_cmp_gt_i32_e64 s[0:1], s24, v2
	v_lshl_or_b32 v18, v10, 8, v1
	s_ashr_i32 s16, s25, 31
	v_mul_lo_u32 v1, s15, v2
	v_mad_u64_u32 v[2:3], s[12:13], s14, v2, 0
	v_and_b32_e32 v8, 7, v9
	s_mul_i32 s12, s14, s16
	v_add3_u32 v3, v3, s12, v1
	v_lshlrev_b32_e32 v1, 3, v8
	v_add_u32_e32 v0, s26, v4
	v_lshl_or_b32 v1, v4, 6, v1
	v_add_u32_e32 v19, 0x800, v1
	v_ashrrev_i32_e32 v1, 31, v0
	v_lshl_add_u64 v[12:13], v[2:3], 3, s[2:3]
	v_cmp_gt_i32_e64 s[2:3], s24, v0
	v_lshl_add_u64 v[14:15], v[0:1], 3, s[10:11]
	v_mov_b32_e32 v0, 0x800
	v_lshlrev_b32_e32 v20, 3, v9
	v_lshl_add_u32 v21, v11, 6, v0
	v_mov_b32_e32 v17, 0
	v_mov_b64_e32 v[0:1], 0
	s_mov_b64 s[10:11], 0
	v_mov_b64_e32 v[2:3], 0
	v_mov_b64_e32 v[4:5], 0
	;; [unrolled: 1-line block ×3, first 2 shown]
	s_branch .LBB484_6
.LBB484_5:                              ;   in Loop: Header=BB484_6 Depth=1
	s_or_b64 exec, exec, s[12:13]
	s_waitcnt vmcnt(0) lgkmcnt(0)
	ds_write_b64 v19, v[22:23]
	s_waitcnt lgkmcnt(0)
	s_barrier
	ds_read2_b64 v[22:25], v20 offset1:16
	ds_read_b128 v[26:29], v21
	ds_read_b128 v[30:33], v21 offset:16
	ds_read_b128 v[34:37], v21 offset:32
	;; [unrolled: 1-line block ×4, first 2 shown]
	ds_read2_b64 v[46:49], v20 offset0:32 offset1:48
	s_waitcnt lgkmcnt(5)
	v_fmac_f64_e32 v[6:7], v[22:23], v[26:27]
	v_fmac_f64_e32 v[4:5], v[24:25], v[26:27]
	ds_read_b128 v[50:53], v21 offset:1040
	s_waitcnt lgkmcnt(2)
	v_fmac_f64_e32 v[2:3], v[22:23], v[42:43]
	v_fmac_f64_e32 v[0:1], v[24:25], v[42:43]
	ds_read2_b64 v[22:25], v20 offset0:64 offset1:80
	s_waitcnt lgkmcnt(2)
	v_fmac_f64_e32 v[6:7], v[46:47], v[28:29]
	v_fmac_f64_e32 v[4:5], v[48:49], v[28:29]
	ds_read2_b64 v[26:29], v20 offset0:96 offset1:112
	v_fmac_f64_e32 v[2:3], v[46:47], v[44:45]
	v_fmac_f64_e32 v[0:1], v[48:49], v[44:45]
	s_waitcnt lgkmcnt(1)
	v_fmac_f64_e32 v[6:7], v[22:23], v[30:31]
	v_fmac_f64_e32 v[4:5], v[24:25], v[30:31]
	ds_read_b128 v[42:45], v21 offset:1072
	v_fmac_f64_e32 v[2:3], v[22:23], v[50:51]
	v_fmac_f64_e32 v[0:1], v[24:25], v[50:51]
	s_waitcnt lgkmcnt(1)
	v_fmac_f64_e32 v[6:7], v[26:27], v[32:33]
	ds_read2_b64 v[22:25], v20 offset0:128 offset1:144
	v_fmac_f64_e32 v[4:5], v[28:29], v[32:33]
	v_fmac_f64_e32 v[2:3], v[26:27], v[52:53]
	v_fmac_f64_e32 v[0:1], v[28:29], v[52:53]
	ds_read_b128 v[26:29], v21 offset:1056
	ds_read2_b64 v[30:33], v20 offset0:160 offset1:176
	s_waitcnt lgkmcnt(2)
	v_fmac_f64_e32 v[6:7], v[22:23], v[34:35]
	v_fmac_f64_e32 v[4:5], v[24:25], v[34:35]
	s_add_u32 s10, s10, 8
	s_waitcnt lgkmcnt(1)
	v_fmac_f64_e32 v[2:3], v[22:23], v[26:27]
	v_fmac_f64_e32 v[0:1], v[24:25], v[26:27]
	ds_read2_b64 v[22:25], v20 offset0:192 offset1:208
	s_waitcnt lgkmcnt(1)
	v_fmac_f64_e32 v[2:3], v[30:31], v[28:29]
	v_fmac_f64_e32 v[0:1], v[32:33], v[28:29]
	ds_read2_b64 v[26:29], v20 offset0:224 offset1:240
	v_fmac_f64_e32 v[6:7], v[30:31], v[36:37]
	s_addc_u32 s11, s11, 0
	v_fmac_f64_e32 v[4:5], v[32:33], v[36:37]
	s_waitcnt lgkmcnt(1)
	v_fmac_f64_e32 v[6:7], v[22:23], v[38:39]
	v_fmac_f64_e32 v[2:3], v[22:23], v[42:43]
	v_mov_b64_e32 v[22:23], s[10:11]
	v_fmac_f64_e32 v[4:5], v[24:25], v[38:39]
	v_fmac_f64_e32 v[0:1], v[24:25], v[42:43]
	v_cmp_gt_i64_e32 vcc, s[8:9], v[22:23]
	s_waitcnt lgkmcnt(0)
	v_fmac_f64_e32 v[6:7], v[26:27], v[40:41]
	v_fmac_f64_e32 v[4:5], v[28:29], v[40:41]
	;; [unrolled: 1-line block ×4, first 2 shown]
	s_barrier
	s_cbranch_vccz .LBB484_12
.LBB484_6:                              ; =>This Inner Loop Header: Depth=1
	v_mov_b64_e32 v[22:23], 0
	s_and_saveexec_b64 s[12:13], s[0:1]
	s_cbranch_execz .LBB484_10
; %bb.7:                                ;   in Loop: Header=BB484_6 Depth=1
	v_add_u32_e32 v16, s10, v10
	v_cmp_gt_u64_e32 vcc, s[8:9], v[16:17]
	v_mov_b64_e32 v[22:23], 0
	s_and_saveexec_b64 s[14:15], vcc
	s_cbranch_execz .LBB484_9
; %bb.8:                                ;   in Loop: Header=BB484_6 Depth=1
	v_lshl_add_u64 v[22:23], v[16:17], 3, v[12:13]
	flat_load_dwordx2 v[22:23], v[22:23]
.LBB484_9:                              ;   in Loop: Header=BB484_6 Depth=1
	s_or_b64 exec, exec, s[14:15]
.LBB484_10:                             ;   in Loop: Header=BB484_6 Depth=1
	s_or_b64 exec, exec, s[12:13]
	v_add_u32_e32 v16, s10, v8
	v_cmp_gt_u64_e32 vcc, s[8:9], v[16:17]
	s_waitcnt vmcnt(0) lgkmcnt(0)
	ds_write_b64 v18, v[22:23]
	s_and_b64 s[14:15], vcc, s[2:3]
	v_mov_b64_e32 v[22:23], 0
	s_and_saveexec_b64 s[12:13], s[14:15]
	s_cbranch_execz .LBB484_5
; %bb.11:                               ;   in Loop: Header=BB484_6 Depth=1
	v_mad_u64_u32 v[22:23], s[14:15], s20, v16, 0
	v_mov_b32_e32 v24, v23
	v_mad_u64_u32 v[24:25], s[14:15], s21, v16, v[24:25]
	v_mov_b32_e32 v23, v24
	v_lshl_add_u64 v[22:23], v[22:23], 3, v[14:15]
	flat_load_dwordx2 v[22:23], v[22:23]
	s_branch .LBB484_5
.LBB484_12:
	s_lshl_b64 s[0:1], s[30:31], 3
	s_waitcnt lgkmcnt(0)
	s_add_u32 s8, s4, s0
	v_add_u32_e32 v14, s26, v11
	s_addc_u32 s9, s5, s1
	v_add_u32_e32 v8, s25, v9
	v_ashrrev_i32_e32 v9, 31, v14
	v_mad_u64_u32 v[10:11], s[0:1], s28, v14, 0
	v_mul_lo_u32 v9, s28, v9
	v_mul_lo_u32 v12, s29, v14
	v_cmp_neq_f64_e64 s[0:1], s[6:7], 0
	v_add3_u32 v11, v11, v9, v12
	v_cmp_le_i32_e32 vcc, v14, v8
	v_cmp_gt_i32_e64 s[2:3], s24, v8
	v_cndmask_b32_e64 v12, 0, 1, s[0:1]
	v_lshl_add_u64 v[10:11], v[10:11], 3, s[8:9]
	s_and_b64 s[10:11], vcc, s[2:3]
	v_ashrrev_i32_e32 v9, 31, v8
	v_cmp_ne_u32_e64 s[0:1], 1, v12
	s_and_saveexec_b64 s[4:5], s[10:11]
	s_cbranch_execz .LBB484_16
; %bb.13:
	v_mul_f64 v[6:7], s[34:35], v[6:7]
	s_and_b64 vcc, exec, s[0:1]
	v_lshl_add_u64 v[12:13], v[8:9], 3, v[10:11]
	s_cbranch_vccnz .LBB484_15
; %bb.14:
	flat_load_dwordx2 v[16:17], v[12:13]
	s_waitcnt vmcnt(0) lgkmcnt(0)
	v_fmac_f64_e32 v[6:7], s[6:7], v[16:17]
.LBB484_15:
	flat_store_dwordx2 v[12:13], v[6:7]
.LBB484_16:
	s_or_b64 exec, exec, s[4:5]
	v_add_u32_e32 v6, 16, v8
	v_cmp_le_i32_e32 vcc, v14, v6
	v_cmp_gt_i32_e64 s[4:5], s24, v6
	s_and_b64 s[12:13], vcc, s[4:5]
	v_ashrrev_i32_e32 v7, 31, v6
	s_and_saveexec_b64 s[10:11], s[12:13]
	s_cbranch_execz .LBB484_20
; %bb.17:
	v_mul_f64 v[4:5], s[34:35], v[4:5]
	s_and_b64 vcc, exec, s[0:1]
	v_lshl_add_u64 v[10:11], v[6:7], 3, v[10:11]
	s_cbranch_vccnz .LBB484_19
; %bb.18:
	flat_load_dwordx2 v[12:13], v[10:11]
	s_waitcnt vmcnt(0) lgkmcnt(0)
	v_fmac_f64_e32 v[4:5], s[6:7], v[12:13]
.LBB484_19:
	flat_store_dwordx2 v[10:11], v[4:5]
.LBB484_20:
	s_or_b64 exec, exec, s[10:11]
	v_add_u32_e32 v10, 16, v14
	v_ashrrev_i32_e32 v4, 31, v10
	v_mul_lo_u32 v11, s28, v4
	v_mul_lo_u32 v12, s29, v10
	v_mad_u64_u32 v[4:5], s[10:11], s28, v10, 0
	v_add3_u32 v5, v5, v11, v12
	v_cmp_le_i32_e32 vcc, v10, v8
	v_lshl_add_u64 v[4:5], v[4:5], 3, s[8:9]
	s_and_b64 s[8:9], vcc, s[2:3]
	s_and_saveexec_b64 s[2:3], s[8:9]
	s_cbranch_execz .LBB484_24
; %bb.21:
	v_mul_f64 v[2:3], s[34:35], v[2:3]
	s_and_b64 vcc, exec, s[0:1]
	v_lshl_add_u64 v[8:9], v[8:9], 3, v[4:5]
	s_cbranch_vccnz .LBB484_23
; %bb.22:
	flat_load_dwordx2 v[12:13], v[8:9]
	s_waitcnt vmcnt(0) lgkmcnt(0)
	v_fmac_f64_e32 v[2:3], s[6:7], v[12:13]
.LBB484_23:
	flat_store_dwordx2 v[8:9], v[2:3]
.LBB484_24:
	s_or_b64 exec, exec, s[2:3]
	v_cmp_le_i32_e32 vcc, v10, v6
	s_and_b64 s[2:3], vcc, s[4:5]
	s_and_saveexec_b64 s[4:5], s[2:3]
	s_cbranch_execz .LBB484_28
; %bb.25:
	v_mul_f64 v[0:1], s[34:35], v[0:1]
	s_and_b64 vcc, exec, s[0:1]
	v_lshl_add_u64 v[2:3], v[6:7], 3, v[4:5]
	s_cbranch_vccnz .LBB484_27
; %bb.26:
	flat_load_dwordx2 v[4:5], v[2:3]
	s_waitcnt vmcnt(0) lgkmcnt(0)
	v_fmac_f64_e32 v[0:1], s[6:7], v[4:5]
.LBB484_27:
	flat_store_dwordx2 v[2:3], v[0:1]
.LBB484_28:
	s_endpgm
	.section	.rodata,"a",@progbits
	.p2align	6, 0x0
	.amdhsa_kernel _ZL29rocblas_internal_gemmt_kernelIlLi16ELi32ELi8ELc67ELc84ELc76ELb0ELb0EdPKdPKS1_PKPdEviT_T9_T10_S7_lS9_S7_lS8_T11_S7_li
		.amdhsa_group_segment_fixed_size 4096
		.amdhsa_private_segment_fixed_size 0
		.amdhsa_kernarg_size 108
		.amdhsa_user_sgpr_count 2
		.amdhsa_user_sgpr_dispatch_ptr 0
		.amdhsa_user_sgpr_queue_ptr 0
		.amdhsa_user_sgpr_kernarg_segment_ptr 1
		.amdhsa_user_sgpr_dispatch_id 0
		.amdhsa_user_sgpr_kernarg_preload_length 0
		.amdhsa_user_sgpr_kernarg_preload_offset 0
		.amdhsa_user_sgpr_private_segment_size 0
		.amdhsa_uses_dynamic_stack 0
		.amdhsa_enable_private_segment 0
		.amdhsa_system_sgpr_workgroup_id_x 1
		.amdhsa_system_sgpr_workgroup_id_y 1
		.amdhsa_system_sgpr_workgroup_id_z 1
		.amdhsa_system_sgpr_workgroup_info 0
		.amdhsa_system_vgpr_workitem_id 1
		.amdhsa_next_free_vgpr 54
		.amdhsa_next_free_sgpr 36
		.amdhsa_accum_offset 56
		.amdhsa_reserve_vcc 1
		.amdhsa_float_round_mode_32 0
		.amdhsa_float_round_mode_16_64 0
		.amdhsa_float_denorm_mode_32 3
		.amdhsa_float_denorm_mode_16_64 3
		.amdhsa_dx10_clamp 1
		.amdhsa_ieee_mode 1
		.amdhsa_fp16_overflow 0
		.amdhsa_tg_split 0
		.amdhsa_exception_fp_ieee_invalid_op 0
		.amdhsa_exception_fp_denorm_src 0
		.amdhsa_exception_fp_ieee_div_zero 0
		.amdhsa_exception_fp_ieee_overflow 0
		.amdhsa_exception_fp_ieee_underflow 0
		.amdhsa_exception_fp_ieee_inexact 0
		.amdhsa_exception_int_div_zero 0
	.end_amdhsa_kernel
	.section	.text._ZL29rocblas_internal_gemmt_kernelIlLi16ELi32ELi8ELc67ELc84ELc76ELb0ELb0EdPKdPKS1_PKPdEviT_T9_T10_S7_lS9_S7_lS8_T11_S7_li,"axG",@progbits,_ZL29rocblas_internal_gemmt_kernelIlLi16ELi32ELi8ELc67ELc84ELc76ELb0ELb0EdPKdPKS1_PKPdEviT_T9_T10_S7_lS9_S7_lS8_T11_S7_li,comdat
.Lfunc_end484:
	.size	_ZL29rocblas_internal_gemmt_kernelIlLi16ELi32ELi8ELc67ELc84ELc76ELb0ELb0EdPKdPKS1_PKPdEviT_T9_T10_S7_lS9_S7_lS8_T11_S7_li, .Lfunc_end484-_ZL29rocblas_internal_gemmt_kernelIlLi16ELi32ELi8ELc67ELc84ELc76ELb0ELb0EdPKdPKS1_PKPdEviT_T9_T10_S7_lS9_S7_lS8_T11_S7_li
                                        ; -- End function
	.set _ZL29rocblas_internal_gemmt_kernelIlLi16ELi32ELi8ELc67ELc84ELc76ELb0ELb0EdPKdPKS1_PKPdEviT_T9_T10_S7_lS9_S7_lS8_T11_S7_li.num_vgpr, 54
	.set _ZL29rocblas_internal_gemmt_kernelIlLi16ELi32ELi8ELc67ELc84ELc76ELb0ELb0EdPKdPKS1_PKPdEviT_T9_T10_S7_lS9_S7_lS8_T11_S7_li.num_agpr, 0
	.set _ZL29rocblas_internal_gemmt_kernelIlLi16ELi32ELi8ELc67ELc84ELc76ELb0ELb0EdPKdPKS1_PKPdEviT_T9_T10_S7_lS9_S7_lS8_T11_S7_li.numbered_sgpr, 36
	.set _ZL29rocblas_internal_gemmt_kernelIlLi16ELi32ELi8ELc67ELc84ELc76ELb0ELb0EdPKdPKS1_PKPdEviT_T9_T10_S7_lS9_S7_lS8_T11_S7_li.num_named_barrier, 0
	.set _ZL29rocblas_internal_gemmt_kernelIlLi16ELi32ELi8ELc67ELc84ELc76ELb0ELb0EdPKdPKS1_PKPdEviT_T9_T10_S7_lS9_S7_lS8_T11_S7_li.private_seg_size, 0
	.set _ZL29rocblas_internal_gemmt_kernelIlLi16ELi32ELi8ELc67ELc84ELc76ELb0ELb0EdPKdPKS1_PKPdEviT_T9_T10_S7_lS9_S7_lS8_T11_S7_li.uses_vcc, 1
	.set _ZL29rocblas_internal_gemmt_kernelIlLi16ELi32ELi8ELc67ELc84ELc76ELb0ELb0EdPKdPKS1_PKPdEviT_T9_T10_S7_lS9_S7_lS8_T11_S7_li.uses_flat_scratch, 0
	.set _ZL29rocblas_internal_gemmt_kernelIlLi16ELi32ELi8ELc67ELc84ELc76ELb0ELb0EdPKdPKS1_PKPdEviT_T9_T10_S7_lS9_S7_lS8_T11_S7_li.has_dyn_sized_stack, 0
	.set _ZL29rocblas_internal_gemmt_kernelIlLi16ELi32ELi8ELc67ELc84ELc76ELb0ELb0EdPKdPKS1_PKPdEviT_T9_T10_S7_lS9_S7_lS8_T11_S7_li.has_recursion, 0
	.set _ZL29rocblas_internal_gemmt_kernelIlLi16ELi32ELi8ELc67ELc84ELc76ELb0ELb0EdPKdPKS1_PKPdEviT_T9_T10_S7_lS9_S7_lS8_T11_S7_li.has_indirect_call, 0
	.section	.AMDGPU.csdata,"",@progbits
; Kernel info:
; codeLenInByte = 1348
; TotalNumSgprs: 42
; NumVgprs: 54
; NumAgprs: 0
; TotalNumVgprs: 54
; ScratchSize: 0
; MemoryBound: 0
; FloatMode: 240
; IeeeMode: 1
; LDSByteSize: 4096 bytes/workgroup (compile time only)
; SGPRBlocks: 5
; VGPRBlocks: 6
; NumSGPRsForWavesPerEU: 42
; NumVGPRsForWavesPerEU: 54
; AccumOffset: 56
; Occupancy: 8
; WaveLimiterHint : 1
; COMPUTE_PGM_RSRC2:SCRATCH_EN: 0
; COMPUTE_PGM_RSRC2:USER_SGPR: 2
; COMPUTE_PGM_RSRC2:TRAP_HANDLER: 0
; COMPUTE_PGM_RSRC2:TGID_X_EN: 1
; COMPUTE_PGM_RSRC2:TGID_Y_EN: 1
; COMPUTE_PGM_RSRC2:TGID_Z_EN: 1
; COMPUTE_PGM_RSRC2:TIDIG_COMP_CNT: 1
; COMPUTE_PGM_RSRC3_GFX90A:ACCUM_OFFSET: 13
; COMPUTE_PGM_RSRC3_GFX90A:TG_SPLIT: 0
	.section	.text._ZL29rocblas_internal_gemmt_kernelIlLi16ELi32ELi8ELc67ELc67ELc76ELb0ELb0EdPKdPKS1_PKPdEviT_T9_T10_S7_lS9_S7_lS8_T11_S7_li,"axG",@progbits,_ZL29rocblas_internal_gemmt_kernelIlLi16ELi32ELi8ELc67ELc67ELc76ELb0ELb0EdPKdPKS1_PKPdEviT_T9_T10_S7_lS9_S7_lS8_T11_S7_li,comdat
	.globl	_ZL29rocblas_internal_gemmt_kernelIlLi16ELi32ELi8ELc67ELc67ELc76ELb0ELb0EdPKdPKS1_PKPdEviT_T9_T10_S7_lS9_S7_lS8_T11_S7_li ; -- Begin function _ZL29rocblas_internal_gemmt_kernelIlLi16ELi32ELi8ELc67ELc67ELc76ELb0ELb0EdPKdPKS1_PKPdEviT_T9_T10_S7_lS9_S7_lS8_T11_S7_li
	.p2align	8
	.type	_ZL29rocblas_internal_gemmt_kernelIlLi16ELi32ELi8ELc67ELc67ELc76ELb0ELb0EdPKdPKS1_PKPdEviT_T9_T10_S7_lS9_S7_lS8_T11_S7_li,@function
_ZL29rocblas_internal_gemmt_kernelIlLi16ELi32ELi8ELc67ELc67ELc76ELb0ELb0EdPKdPKS1_PKPdEviT_T9_T10_S7_lS9_S7_lS8_T11_S7_li: ; @_ZL29rocblas_internal_gemmt_kernelIlLi16ELi32ELi8ELc67ELc67ELc76ELb0ELb0EdPKdPKS1_PKPdEviT_T9_T10_S7_lS9_S7_lS8_T11_S7_li
; %bb.0:
	s_load_dwordx8 s[24:31], s[0:1], 0x48
	s_load_dwordx16 s[8:23], s[0:1], 0x8
	s_waitcnt lgkmcnt(0)
	s_load_dwordx2 s[6:7], s[24:25], 0x0
	s_load_dwordx2 s[34:35], s[10:11], 0x0
	s_waitcnt lgkmcnt(0)
	v_cmp_neq_f64_e64 s[10:11], s[6:7], 1.0
	s_and_b64 vcc, exec, s[10:11]
	s_cbranch_vccnz .LBB485_2
; %bb.1:
	s_cmp_lg_u64 s[8:9], 0
	s_cselect_b64 s[10:11], -1, 0
	v_cmp_neq_f64_e64 s[24:25], s[34:35], 0
	s_and_b64 s[10:11], s[10:11], s[24:25]
.LBB485_2:
	s_andn2_b64 vcc, exec, s[10:11]
	s_cbranch_vccnz .LBB485_28
; %bb.3:
	s_mov_b32 s5, 0
	s_load_dword s24, s[0:1], 0x0
	s_lshl_b64 s[0:1], s[4:5], 3
	s_add_u32 s4, s26, s0
	s_addc_u32 s5, s27, s1
	s_load_dwordx2 s[4:5], s[4:5], 0x0
	s_lshl_b32 s25, s2, 5
	s_lshl_b32 s26, s3, 5
	v_cmp_eq_f64_e64 s[2:3], s[34:35], 0
	v_cmp_lt_i64_e64 s[10:11], s[8:9], 1
	s_or_b64 s[2:3], s[2:3], s[10:11]
	v_and_b32_e32 v9, 0x3ff, v0
	v_bfe_u32 v11, v0, 10, 10
	v_mov_b64_e32 v[6:7], 0
	s_and_b64 vcc, exec, s[2:3]
	v_mov_b64_e32 v[4:5], 0
	v_mov_b64_e32 v[2:3], 0
	;; [unrolled: 1-line block ×3, first 2 shown]
	s_cbranch_vccnz .LBB485_12
; %bb.4:
	s_add_u32 s2, s18, s0
	s_addc_u32 s3, s19, s1
	s_load_dwordx2 s[2:3], s[2:3], 0x0
	s_lshl_b64 s[10:11], s[22:23], 3
	v_lshl_add_u32 v1, v11, 4, v9
	v_lshrrev_b32_e32 v10, 5, v1
	v_lshrrev_b32_e32 v4, 3, v1
	s_waitcnt lgkmcnt(0)
	s_add_u32 s10, s2, s10
	s_addc_u32 s11, s3, s11
	s_add_u32 s0, s12, s0
	s_addc_u32 s1, s13, s1
	s_load_dwordx2 s[0:1], s[0:1], 0x0
	v_and_b32_e32 v1, 31, v1
	s_lshl_b64 s[2:3], s[16:17], 3
	v_or_b32_e32 v2, s25, v1
	v_lshlrev_b32_e32 v1, 3, v1
	s_waitcnt lgkmcnt(0)
	s_add_u32 s2, s0, s2
	s_addc_u32 s3, s1, s3
	v_cmp_gt_i32_e64 s[0:1], s24, v2
	v_lshl_or_b32 v18, v10, 8, v1
	s_ashr_i32 s16, s25, 31
	v_mul_lo_u32 v1, s15, v2
	v_mad_u64_u32 v[2:3], s[12:13], s14, v2, 0
	v_and_b32_e32 v8, 7, v9
	s_mul_i32 s12, s14, s16
	v_add3_u32 v3, v3, s12, v1
	v_lshlrev_b32_e32 v1, 3, v8
	v_add_u32_e32 v0, s26, v4
	v_lshl_or_b32 v1, v4, 6, v1
	v_add_u32_e32 v19, 0x800, v1
	v_ashrrev_i32_e32 v1, 31, v0
	v_lshl_add_u64 v[12:13], v[2:3], 3, s[2:3]
	v_cmp_gt_i32_e64 s[2:3], s24, v0
	v_lshl_add_u64 v[14:15], v[0:1], 3, s[10:11]
	v_mov_b32_e32 v0, 0x800
	v_lshlrev_b32_e32 v20, 3, v9
	v_lshl_add_u32 v21, v11, 6, v0
	v_mov_b32_e32 v17, 0
	v_mov_b64_e32 v[0:1], 0
	s_mov_b64 s[10:11], 0
	v_mov_b64_e32 v[2:3], 0
	v_mov_b64_e32 v[4:5], 0
	;; [unrolled: 1-line block ×3, first 2 shown]
	s_branch .LBB485_6
.LBB485_5:                              ;   in Loop: Header=BB485_6 Depth=1
	s_or_b64 exec, exec, s[12:13]
	s_waitcnt vmcnt(0) lgkmcnt(0)
	ds_write_b64 v19, v[22:23]
	s_waitcnt lgkmcnt(0)
	s_barrier
	ds_read2_b64 v[22:25], v20 offset1:16
	ds_read_b128 v[26:29], v21
	ds_read_b128 v[30:33], v21 offset:16
	ds_read_b128 v[34:37], v21 offset:32
	;; [unrolled: 1-line block ×4, first 2 shown]
	ds_read2_b64 v[46:49], v20 offset0:32 offset1:48
	s_waitcnt lgkmcnt(5)
	v_fmac_f64_e32 v[6:7], v[22:23], v[26:27]
	v_fmac_f64_e32 v[4:5], v[24:25], v[26:27]
	ds_read_b128 v[50:53], v21 offset:1040
	s_waitcnt lgkmcnt(2)
	v_fmac_f64_e32 v[2:3], v[22:23], v[42:43]
	v_fmac_f64_e32 v[0:1], v[24:25], v[42:43]
	ds_read2_b64 v[22:25], v20 offset0:64 offset1:80
	s_waitcnt lgkmcnt(2)
	v_fmac_f64_e32 v[6:7], v[46:47], v[28:29]
	v_fmac_f64_e32 v[4:5], v[48:49], v[28:29]
	ds_read2_b64 v[26:29], v20 offset0:96 offset1:112
	v_fmac_f64_e32 v[2:3], v[46:47], v[44:45]
	v_fmac_f64_e32 v[0:1], v[48:49], v[44:45]
	s_waitcnt lgkmcnt(1)
	v_fmac_f64_e32 v[6:7], v[22:23], v[30:31]
	v_fmac_f64_e32 v[4:5], v[24:25], v[30:31]
	ds_read_b128 v[42:45], v21 offset:1072
	v_fmac_f64_e32 v[2:3], v[22:23], v[50:51]
	v_fmac_f64_e32 v[0:1], v[24:25], v[50:51]
	s_waitcnt lgkmcnt(1)
	v_fmac_f64_e32 v[6:7], v[26:27], v[32:33]
	ds_read2_b64 v[22:25], v20 offset0:128 offset1:144
	v_fmac_f64_e32 v[4:5], v[28:29], v[32:33]
	v_fmac_f64_e32 v[2:3], v[26:27], v[52:53]
	;; [unrolled: 1-line block ×3, first 2 shown]
	ds_read_b128 v[26:29], v21 offset:1056
	ds_read2_b64 v[30:33], v20 offset0:160 offset1:176
	s_waitcnt lgkmcnt(2)
	v_fmac_f64_e32 v[6:7], v[22:23], v[34:35]
	v_fmac_f64_e32 v[4:5], v[24:25], v[34:35]
	s_add_u32 s10, s10, 8
	s_waitcnt lgkmcnt(1)
	v_fmac_f64_e32 v[2:3], v[22:23], v[26:27]
	v_fmac_f64_e32 v[0:1], v[24:25], v[26:27]
	ds_read2_b64 v[22:25], v20 offset0:192 offset1:208
	s_waitcnt lgkmcnt(1)
	v_fmac_f64_e32 v[2:3], v[30:31], v[28:29]
	v_fmac_f64_e32 v[0:1], v[32:33], v[28:29]
	ds_read2_b64 v[26:29], v20 offset0:224 offset1:240
	v_fmac_f64_e32 v[6:7], v[30:31], v[36:37]
	s_addc_u32 s11, s11, 0
	v_fmac_f64_e32 v[4:5], v[32:33], v[36:37]
	s_waitcnt lgkmcnt(1)
	v_fmac_f64_e32 v[6:7], v[22:23], v[38:39]
	v_fmac_f64_e32 v[2:3], v[22:23], v[42:43]
	v_mov_b64_e32 v[22:23], s[10:11]
	v_fmac_f64_e32 v[4:5], v[24:25], v[38:39]
	v_fmac_f64_e32 v[0:1], v[24:25], v[42:43]
	v_cmp_gt_i64_e32 vcc, s[8:9], v[22:23]
	s_waitcnt lgkmcnt(0)
	v_fmac_f64_e32 v[6:7], v[26:27], v[40:41]
	v_fmac_f64_e32 v[4:5], v[28:29], v[40:41]
	;; [unrolled: 1-line block ×4, first 2 shown]
	s_barrier
	s_cbranch_vccz .LBB485_12
.LBB485_6:                              ; =>This Inner Loop Header: Depth=1
	v_mov_b64_e32 v[22:23], 0
	s_and_saveexec_b64 s[12:13], s[0:1]
	s_cbranch_execz .LBB485_10
; %bb.7:                                ;   in Loop: Header=BB485_6 Depth=1
	v_add_u32_e32 v16, s10, v10
	v_cmp_gt_u64_e32 vcc, s[8:9], v[16:17]
	v_mov_b64_e32 v[22:23], 0
	s_and_saveexec_b64 s[14:15], vcc
	s_cbranch_execz .LBB485_9
; %bb.8:                                ;   in Loop: Header=BB485_6 Depth=1
	v_lshl_add_u64 v[22:23], v[16:17], 3, v[12:13]
	flat_load_dwordx2 v[22:23], v[22:23]
.LBB485_9:                              ;   in Loop: Header=BB485_6 Depth=1
	s_or_b64 exec, exec, s[14:15]
.LBB485_10:                             ;   in Loop: Header=BB485_6 Depth=1
	s_or_b64 exec, exec, s[12:13]
	v_add_u32_e32 v16, s10, v8
	v_cmp_gt_u64_e32 vcc, s[8:9], v[16:17]
	s_waitcnt vmcnt(0) lgkmcnt(0)
	ds_write_b64 v18, v[22:23]
	s_and_b64 s[14:15], vcc, s[2:3]
	v_mov_b64_e32 v[22:23], 0
	s_and_saveexec_b64 s[12:13], s[14:15]
	s_cbranch_execz .LBB485_5
; %bb.11:                               ;   in Loop: Header=BB485_6 Depth=1
	v_mad_u64_u32 v[22:23], s[14:15], s20, v16, 0
	v_mov_b32_e32 v24, v23
	v_mad_u64_u32 v[24:25], s[14:15], s21, v16, v[24:25]
	v_mov_b32_e32 v23, v24
	v_lshl_add_u64 v[22:23], v[22:23], 3, v[14:15]
	flat_load_dwordx2 v[22:23], v[22:23]
	s_branch .LBB485_5
.LBB485_12:
	s_lshl_b64 s[0:1], s[30:31], 3
	s_waitcnt lgkmcnt(0)
	s_add_u32 s8, s4, s0
	v_add_u32_e32 v14, s26, v11
	s_addc_u32 s9, s5, s1
	v_add_u32_e32 v8, s25, v9
	v_ashrrev_i32_e32 v9, 31, v14
	v_mad_u64_u32 v[10:11], s[0:1], s28, v14, 0
	v_mul_lo_u32 v9, s28, v9
	v_mul_lo_u32 v12, s29, v14
	v_cmp_neq_f64_e64 s[0:1], s[6:7], 0
	v_add3_u32 v11, v11, v9, v12
	v_cmp_le_i32_e32 vcc, v14, v8
	v_cmp_gt_i32_e64 s[2:3], s24, v8
	v_cndmask_b32_e64 v12, 0, 1, s[0:1]
	v_lshl_add_u64 v[10:11], v[10:11], 3, s[8:9]
	s_and_b64 s[10:11], vcc, s[2:3]
	v_ashrrev_i32_e32 v9, 31, v8
	v_cmp_ne_u32_e64 s[0:1], 1, v12
	s_and_saveexec_b64 s[4:5], s[10:11]
	s_cbranch_execz .LBB485_16
; %bb.13:
	v_mul_f64 v[6:7], s[34:35], v[6:7]
	s_and_b64 vcc, exec, s[0:1]
	v_lshl_add_u64 v[12:13], v[8:9], 3, v[10:11]
	s_cbranch_vccnz .LBB485_15
; %bb.14:
	flat_load_dwordx2 v[16:17], v[12:13]
	s_waitcnt vmcnt(0) lgkmcnt(0)
	v_fmac_f64_e32 v[6:7], s[6:7], v[16:17]
.LBB485_15:
	flat_store_dwordx2 v[12:13], v[6:7]
.LBB485_16:
	s_or_b64 exec, exec, s[4:5]
	v_add_u32_e32 v6, 16, v8
	v_cmp_le_i32_e32 vcc, v14, v6
	v_cmp_gt_i32_e64 s[4:5], s24, v6
	s_and_b64 s[12:13], vcc, s[4:5]
	v_ashrrev_i32_e32 v7, 31, v6
	s_and_saveexec_b64 s[10:11], s[12:13]
	s_cbranch_execz .LBB485_20
; %bb.17:
	v_mul_f64 v[4:5], s[34:35], v[4:5]
	s_and_b64 vcc, exec, s[0:1]
	v_lshl_add_u64 v[10:11], v[6:7], 3, v[10:11]
	s_cbranch_vccnz .LBB485_19
; %bb.18:
	flat_load_dwordx2 v[12:13], v[10:11]
	s_waitcnt vmcnt(0) lgkmcnt(0)
	v_fmac_f64_e32 v[4:5], s[6:7], v[12:13]
.LBB485_19:
	flat_store_dwordx2 v[10:11], v[4:5]
.LBB485_20:
	s_or_b64 exec, exec, s[10:11]
	v_add_u32_e32 v10, 16, v14
	v_ashrrev_i32_e32 v4, 31, v10
	v_mul_lo_u32 v11, s28, v4
	v_mul_lo_u32 v12, s29, v10
	v_mad_u64_u32 v[4:5], s[10:11], s28, v10, 0
	v_add3_u32 v5, v5, v11, v12
	v_cmp_le_i32_e32 vcc, v10, v8
	v_lshl_add_u64 v[4:5], v[4:5], 3, s[8:9]
	s_and_b64 s[8:9], vcc, s[2:3]
	s_and_saveexec_b64 s[2:3], s[8:9]
	s_cbranch_execz .LBB485_24
; %bb.21:
	v_mul_f64 v[2:3], s[34:35], v[2:3]
	s_and_b64 vcc, exec, s[0:1]
	v_lshl_add_u64 v[8:9], v[8:9], 3, v[4:5]
	s_cbranch_vccnz .LBB485_23
; %bb.22:
	flat_load_dwordx2 v[12:13], v[8:9]
	s_waitcnt vmcnt(0) lgkmcnt(0)
	v_fmac_f64_e32 v[2:3], s[6:7], v[12:13]
.LBB485_23:
	flat_store_dwordx2 v[8:9], v[2:3]
.LBB485_24:
	s_or_b64 exec, exec, s[2:3]
	v_cmp_le_i32_e32 vcc, v10, v6
	s_and_b64 s[2:3], vcc, s[4:5]
	s_and_saveexec_b64 s[4:5], s[2:3]
	s_cbranch_execz .LBB485_28
; %bb.25:
	v_mul_f64 v[0:1], s[34:35], v[0:1]
	s_and_b64 vcc, exec, s[0:1]
	v_lshl_add_u64 v[2:3], v[6:7], 3, v[4:5]
	s_cbranch_vccnz .LBB485_27
; %bb.26:
	flat_load_dwordx2 v[4:5], v[2:3]
	s_waitcnt vmcnt(0) lgkmcnt(0)
	v_fmac_f64_e32 v[0:1], s[6:7], v[4:5]
.LBB485_27:
	flat_store_dwordx2 v[2:3], v[0:1]
.LBB485_28:
	s_endpgm
	.section	.rodata,"a",@progbits
	.p2align	6, 0x0
	.amdhsa_kernel _ZL29rocblas_internal_gemmt_kernelIlLi16ELi32ELi8ELc67ELc67ELc76ELb0ELb0EdPKdPKS1_PKPdEviT_T9_T10_S7_lS9_S7_lS8_T11_S7_li
		.amdhsa_group_segment_fixed_size 4096
		.amdhsa_private_segment_fixed_size 0
		.amdhsa_kernarg_size 108
		.amdhsa_user_sgpr_count 2
		.amdhsa_user_sgpr_dispatch_ptr 0
		.amdhsa_user_sgpr_queue_ptr 0
		.amdhsa_user_sgpr_kernarg_segment_ptr 1
		.amdhsa_user_sgpr_dispatch_id 0
		.amdhsa_user_sgpr_kernarg_preload_length 0
		.amdhsa_user_sgpr_kernarg_preload_offset 0
		.amdhsa_user_sgpr_private_segment_size 0
		.amdhsa_uses_dynamic_stack 0
		.amdhsa_enable_private_segment 0
		.amdhsa_system_sgpr_workgroup_id_x 1
		.amdhsa_system_sgpr_workgroup_id_y 1
		.amdhsa_system_sgpr_workgroup_id_z 1
		.amdhsa_system_sgpr_workgroup_info 0
		.amdhsa_system_vgpr_workitem_id 1
		.amdhsa_next_free_vgpr 54
		.amdhsa_next_free_sgpr 36
		.amdhsa_accum_offset 56
		.amdhsa_reserve_vcc 1
		.amdhsa_float_round_mode_32 0
		.amdhsa_float_round_mode_16_64 0
		.amdhsa_float_denorm_mode_32 3
		.amdhsa_float_denorm_mode_16_64 3
		.amdhsa_dx10_clamp 1
		.amdhsa_ieee_mode 1
		.amdhsa_fp16_overflow 0
		.amdhsa_tg_split 0
		.amdhsa_exception_fp_ieee_invalid_op 0
		.amdhsa_exception_fp_denorm_src 0
		.amdhsa_exception_fp_ieee_div_zero 0
		.amdhsa_exception_fp_ieee_overflow 0
		.amdhsa_exception_fp_ieee_underflow 0
		.amdhsa_exception_fp_ieee_inexact 0
		.amdhsa_exception_int_div_zero 0
	.end_amdhsa_kernel
	.section	.text._ZL29rocblas_internal_gemmt_kernelIlLi16ELi32ELi8ELc67ELc67ELc76ELb0ELb0EdPKdPKS1_PKPdEviT_T9_T10_S7_lS9_S7_lS8_T11_S7_li,"axG",@progbits,_ZL29rocblas_internal_gemmt_kernelIlLi16ELi32ELi8ELc67ELc67ELc76ELb0ELb0EdPKdPKS1_PKPdEviT_T9_T10_S7_lS9_S7_lS8_T11_S7_li,comdat
.Lfunc_end485:
	.size	_ZL29rocblas_internal_gemmt_kernelIlLi16ELi32ELi8ELc67ELc67ELc76ELb0ELb0EdPKdPKS1_PKPdEviT_T9_T10_S7_lS9_S7_lS8_T11_S7_li, .Lfunc_end485-_ZL29rocblas_internal_gemmt_kernelIlLi16ELi32ELi8ELc67ELc67ELc76ELb0ELb0EdPKdPKS1_PKPdEviT_T9_T10_S7_lS9_S7_lS8_T11_S7_li
                                        ; -- End function
	.set _ZL29rocblas_internal_gemmt_kernelIlLi16ELi32ELi8ELc67ELc67ELc76ELb0ELb0EdPKdPKS1_PKPdEviT_T9_T10_S7_lS9_S7_lS8_T11_S7_li.num_vgpr, 54
	.set _ZL29rocblas_internal_gemmt_kernelIlLi16ELi32ELi8ELc67ELc67ELc76ELb0ELb0EdPKdPKS1_PKPdEviT_T9_T10_S7_lS9_S7_lS8_T11_S7_li.num_agpr, 0
	.set _ZL29rocblas_internal_gemmt_kernelIlLi16ELi32ELi8ELc67ELc67ELc76ELb0ELb0EdPKdPKS1_PKPdEviT_T9_T10_S7_lS9_S7_lS8_T11_S7_li.numbered_sgpr, 36
	.set _ZL29rocblas_internal_gemmt_kernelIlLi16ELi32ELi8ELc67ELc67ELc76ELb0ELb0EdPKdPKS1_PKPdEviT_T9_T10_S7_lS9_S7_lS8_T11_S7_li.num_named_barrier, 0
	.set _ZL29rocblas_internal_gemmt_kernelIlLi16ELi32ELi8ELc67ELc67ELc76ELb0ELb0EdPKdPKS1_PKPdEviT_T9_T10_S7_lS9_S7_lS8_T11_S7_li.private_seg_size, 0
	.set _ZL29rocblas_internal_gemmt_kernelIlLi16ELi32ELi8ELc67ELc67ELc76ELb0ELb0EdPKdPKS1_PKPdEviT_T9_T10_S7_lS9_S7_lS8_T11_S7_li.uses_vcc, 1
	.set _ZL29rocblas_internal_gemmt_kernelIlLi16ELi32ELi8ELc67ELc67ELc76ELb0ELb0EdPKdPKS1_PKPdEviT_T9_T10_S7_lS9_S7_lS8_T11_S7_li.uses_flat_scratch, 0
	.set _ZL29rocblas_internal_gemmt_kernelIlLi16ELi32ELi8ELc67ELc67ELc76ELb0ELb0EdPKdPKS1_PKPdEviT_T9_T10_S7_lS9_S7_lS8_T11_S7_li.has_dyn_sized_stack, 0
	.set _ZL29rocblas_internal_gemmt_kernelIlLi16ELi32ELi8ELc67ELc67ELc76ELb0ELb0EdPKdPKS1_PKPdEviT_T9_T10_S7_lS9_S7_lS8_T11_S7_li.has_recursion, 0
	.set _ZL29rocblas_internal_gemmt_kernelIlLi16ELi32ELi8ELc67ELc67ELc76ELb0ELb0EdPKdPKS1_PKPdEviT_T9_T10_S7_lS9_S7_lS8_T11_S7_li.has_indirect_call, 0
	.section	.AMDGPU.csdata,"",@progbits
; Kernel info:
; codeLenInByte = 1348
; TotalNumSgprs: 42
; NumVgprs: 54
; NumAgprs: 0
; TotalNumVgprs: 54
; ScratchSize: 0
; MemoryBound: 0
; FloatMode: 240
; IeeeMode: 1
; LDSByteSize: 4096 bytes/workgroup (compile time only)
; SGPRBlocks: 5
; VGPRBlocks: 6
; NumSGPRsForWavesPerEU: 42
; NumVGPRsForWavesPerEU: 54
; AccumOffset: 56
; Occupancy: 8
; WaveLimiterHint : 1
; COMPUTE_PGM_RSRC2:SCRATCH_EN: 0
; COMPUTE_PGM_RSRC2:USER_SGPR: 2
; COMPUTE_PGM_RSRC2:TRAP_HANDLER: 0
; COMPUTE_PGM_RSRC2:TGID_X_EN: 1
; COMPUTE_PGM_RSRC2:TGID_Y_EN: 1
; COMPUTE_PGM_RSRC2:TGID_Z_EN: 1
; COMPUTE_PGM_RSRC2:TIDIG_COMP_CNT: 1
; COMPUTE_PGM_RSRC3_GFX90A:ACCUM_OFFSET: 13
; COMPUTE_PGM_RSRC3_GFX90A:TG_SPLIT: 0
	.section	.text._ZL29rocblas_internal_gemmt_kernelIlLi16ELi32ELi8ELc78ELc78ELc85ELb0ELb0EddPKPKdPKPdEviT_T9_T10_S7_lS9_S7_lS8_T11_S7_li,"axG",@progbits,_ZL29rocblas_internal_gemmt_kernelIlLi16ELi32ELi8ELc78ELc78ELc85ELb0ELb0EddPKPKdPKPdEviT_T9_T10_S7_lS9_S7_lS8_T11_S7_li,comdat
	.globl	_ZL29rocblas_internal_gemmt_kernelIlLi16ELi32ELi8ELc78ELc78ELc85ELb0ELb0EddPKPKdPKPdEviT_T9_T10_S7_lS9_S7_lS8_T11_S7_li ; -- Begin function _ZL29rocblas_internal_gemmt_kernelIlLi16ELi32ELi8ELc78ELc78ELc85ELb0ELb0EddPKPKdPKPdEviT_T9_T10_S7_lS9_S7_lS8_T11_S7_li
	.p2align	8
	.type	_ZL29rocblas_internal_gemmt_kernelIlLi16ELi32ELi8ELc78ELc78ELc85ELb0ELb0EddPKPKdPKPdEviT_T9_T10_S7_lS9_S7_lS8_T11_S7_li,@function
_ZL29rocblas_internal_gemmt_kernelIlLi16ELi32ELi8ELc78ELc78ELc85ELb0ELb0EddPKPKdPKPdEviT_T9_T10_S7_lS9_S7_lS8_T11_S7_li: ; @_ZL29rocblas_internal_gemmt_kernelIlLi16ELi32ELi8ELc78ELc78ELc85ELb0ELb0EddPKPKdPKPdEviT_T9_T10_S7_lS9_S7_lS8_T11_S7_li
; %bb.0:
	s_load_dwordx8 s[24:31], s[0:1], 0x48
	s_load_dwordx16 s[8:23], s[0:1], 0x8
	s_waitcnt lgkmcnt(0)
	v_cmp_neq_f64_e64 s[6:7], s[24:25], 1.0
	s_and_b64 vcc, exec, s[6:7]
	s_cbranch_vccnz .LBB486_2
; %bb.1:
	s_cmp_lg_u64 s[8:9], 0
	s_cselect_b64 s[6:7], -1, 0
	v_cmp_neq_f64_e64 s[34:35], s[10:11], 0
	s_and_b64 s[6:7], s[6:7], s[34:35]
.LBB486_2:
	s_andn2_b64 vcc, exec, s[6:7]
	s_cbranch_vccnz .LBB486_28
; %bb.3:
	s_mov_b32 s5, 0
	s_load_dword s33, s[0:1], 0x0
	s_lshl_b64 s[0:1], s[4:5], 3
	s_add_u32 s4, s26, s0
	s_addc_u32 s5, s27, s1
	s_load_dwordx2 s[4:5], s[4:5], 0x0
	s_lshl_b32 s26, s2, 5
	s_lshl_b32 s27, s3, 5
	v_cmp_eq_f64_e64 s[2:3], s[10:11], 0
	v_cmp_lt_i64_e64 s[6:7], s[8:9], 1
	s_or_b64 s[2:3], s[2:3], s[6:7]
	v_and_b32_e32 v9, 0x3ff, v0
	v_bfe_u32 v11, v0, 10, 10
	v_mov_b64_e32 v[6:7], 0
	s_and_b64 vcc, exec, s[2:3]
	v_mov_b64_e32 v[4:5], 0
	v_mov_b64_e32 v[2:3], 0
	;; [unrolled: 1-line block ×3, first 2 shown]
	s_cbranch_vccnz .LBB486_12
; %bb.4:
	s_add_u32 s2, s18, s0
	s_addc_u32 s3, s19, s1
	s_load_dwordx2 s[2:3], s[2:3], 0x0
	s_lshl_b64 s[6:7], s[22:23], 3
	v_lshl_add_u32 v0, v11, 4, v9
	v_and_b32_e32 v1, 31, v0
	v_lshrrev_b32_e32 v10, 5, v0
	s_waitcnt lgkmcnt(0)
	s_add_u32 s6, s2, s6
	s_addc_u32 s7, s3, s7
	s_add_u32 s0, s12, s0
	s_addc_u32 s1, s13, s1
	s_load_dwordx2 s[0:1], s[0:1], 0x0
	s_lshl_b64 s[2:3], s[16:17], 3
	v_lshrrev_b32_e32 v2, 3, v0
	v_or_b32_e32 v0, s26, v1
	v_lshlrev_b32_e32 v1, 3, v1
	s_waitcnt lgkmcnt(0)
	s_add_u32 s2, s0, s2
	v_and_b32_e32 v8, 7, v9
	s_addc_u32 s3, s1, s3
	v_lshl_or_b32 v18, v10, 8, v1
	v_ashrrev_i32_e32 v1, 31, v0
	v_cmp_gt_i32_e64 s[0:1], s33, v0
	v_lshl_add_u64 v[12:13], v[0:1], 3, s[2:3]
	v_lshlrev_b32_e32 v0, 3, v8
	v_add_u32_e32 v3, s27, v2
	v_lshl_or_b32 v0, v2, 6, v0
	v_add_u32_e32 v19, 0x800, v0
	v_ashrrev_i32_e32 v0, 31, v3
	v_mul_lo_u32 v2, s20, v0
	v_mul_lo_u32 v4, s21, v3
	v_mad_u64_u32 v[0:1], s[12:13], s20, v3, 0
	v_add3_u32 v1, v1, v2, v4
	v_lshl_add_u64 v[14:15], v[0:1], 3, s[6:7]
	v_mov_b32_e32 v0, 0x800
	v_cmp_gt_i32_e64 s[2:3], s33, v3
	v_lshlrev_b32_e32 v20, 3, v9
	v_lshl_add_u32 v21, v11, 6, v0
	v_mov_b32_e32 v17, 0
	v_mov_b64_e32 v[0:1], 0
	s_mov_b64 s[6:7], 0
	v_mov_b64_e32 v[2:3], 0
	v_mov_b64_e32 v[4:5], 0
	;; [unrolled: 1-line block ×3, first 2 shown]
	s_branch .LBB486_6
.LBB486_5:                              ;   in Loop: Header=BB486_6 Depth=1
	s_or_b64 exec, exec, s[12:13]
	s_waitcnt vmcnt(0) lgkmcnt(0)
	ds_write_b64 v19, v[22:23]
	s_waitcnt lgkmcnt(0)
	s_barrier
	ds_read2_b64 v[22:25], v20 offset1:16
	ds_read_b128 v[26:29], v21
	ds_read_b128 v[30:33], v21 offset:16
	ds_read_b128 v[34:37], v21 offset:32
	;; [unrolled: 1-line block ×4, first 2 shown]
	ds_read2_b64 v[46:49], v20 offset0:32 offset1:48
	s_waitcnt lgkmcnt(5)
	v_fmac_f64_e32 v[6:7], v[22:23], v[26:27]
	v_fmac_f64_e32 v[4:5], v[24:25], v[26:27]
	ds_read_b128 v[50:53], v21 offset:1040
	s_waitcnt lgkmcnt(2)
	v_fmac_f64_e32 v[2:3], v[22:23], v[42:43]
	v_fmac_f64_e32 v[0:1], v[24:25], v[42:43]
	ds_read2_b64 v[22:25], v20 offset0:64 offset1:80
	s_waitcnt lgkmcnt(2)
	v_fmac_f64_e32 v[6:7], v[46:47], v[28:29]
	v_fmac_f64_e32 v[4:5], v[48:49], v[28:29]
	ds_read2_b64 v[26:29], v20 offset0:96 offset1:112
	v_fmac_f64_e32 v[2:3], v[46:47], v[44:45]
	v_fmac_f64_e32 v[0:1], v[48:49], v[44:45]
	s_waitcnt lgkmcnt(1)
	v_fmac_f64_e32 v[6:7], v[22:23], v[30:31]
	v_fmac_f64_e32 v[4:5], v[24:25], v[30:31]
	ds_read_b128 v[42:45], v21 offset:1072
	v_fmac_f64_e32 v[2:3], v[22:23], v[50:51]
	v_fmac_f64_e32 v[0:1], v[24:25], v[50:51]
	s_waitcnt lgkmcnt(1)
	v_fmac_f64_e32 v[6:7], v[26:27], v[32:33]
	ds_read2_b64 v[22:25], v20 offset0:128 offset1:144
	v_fmac_f64_e32 v[4:5], v[28:29], v[32:33]
	v_fmac_f64_e32 v[2:3], v[26:27], v[52:53]
	;; [unrolled: 1-line block ×3, first 2 shown]
	ds_read_b128 v[26:29], v21 offset:1056
	ds_read2_b64 v[30:33], v20 offset0:160 offset1:176
	s_waitcnt lgkmcnt(2)
	v_fmac_f64_e32 v[6:7], v[22:23], v[34:35]
	v_fmac_f64_e32 v[4:5], v[24:25], v[34:35]
	s_add_u32 s6, s6, 8
	s_waitcnt lgkmcnt(1)
	v_fmac_f64_e32 v[2:3], v[22:23], v[26:27]
	v_fmac_f64_e32 v[0:1], v[24:25], v[26:27]
	ds_read2_b64 v[22:25], v20 offset0:192 offset1:208
	s_waitcnt lgkmcnt(1)
	v_fmac_f64_e32 v[2:3], v[30:31], v[28:29]
	v_fmac_f64_e32 v[0:1], v[32:33], v[28:29]
	ds_read2_b64 v[26:29], v20 offset0:224 offset1:240
	v_fmac_f64_e32 v[6:7], v[30:31], v[36:37]
	s_addc_u32 s7, s7, 0
	v_fmac_f64_e32 v[4:5], v[32:33], v[36:37]
	s_waitcnt lgkmcnt(1)
	v_fmac_f64_e32 v[6:7], v[22:23], v[38:39]
	v_fmac_f64_e32 v[2:3], v[22:23], v[42:43]
	v_mov_b64_e32 v[22:23], s[6:7]
	v_fmac_f64_e32 v[4:5], v[24:25], v[38:39]
	v_fmac_f64_e32 v[0:1], v[24:25], v[42:43]
	v_cmp_gt_i64_e32 vcc, s[8:9], v[22:23]
	s_waitcnt lgkmcnt(0)
	v_fmac_f64_e32 v[6:7], v[26:27], v[40:41]
	v_fmac_f64_e32 v[4:5], v[28:29], v[40:41]
	;; [unrolled: 1-line block ×4, first 2 shown]
	s_barrier
	s_cbranch_vccz .LBB486_12
.LBB486_6:                              ; =>This Inner Loop Header: Depth=1
	v_mov_b64_e32 v[22:23], 0
	s_and_saveexec_b64 s[12:13], s[0:1]
	s_cbranch_execz .LBB486_10
; %bb.7:                                ;   in Loop: Header=BB486_6 Depth=1
	v_add_u32_e32 v16, s6, v10
	v_cmp_gt_u64_e32 vcc, s[8:9], v[16:17]
	v_mov_b64_e32 v[22:23], 0
	s_and_saveexec_b64 s[16:17], vcc
	s_cbranch_execz .LBB486_9
; %bb.8:                                ;   in Loop: Header=BB486_6 Depth=1
	v_mad_u64_u32 v[22:23], s[18:19], s14, v16, 0
	v_mov_b32_e32 v24, v23
	v_mad_u64_u32 v[24:25], s[18:19], s15, v16, v[24:25]
	v_mov_b32_e32 v23, v24
	v_lshl_add_u64 v[22:23], v[22:23], 3, v[12:13]
	flat_load_dwordx2 v[22:23], v[22:23]
.LBB486_9:                              ;   in Loop: Header=BB486_6 Depth=1
	s_or_b64 exec, exec, s[16:17]
.LBB486_10:                             ;   in Loop: Header=BB486_6 Depth=1
	s_or_b64 exec, exec, s[12:13]
	v_add_u32_e32 v16, s6, v8
	v_cmp_gt_u64_e32 vcc, s[8:9], v[16:17]
	s_waitcnt vmcnt(0) lgkmcnt(0)
	ds_write_b64 v18, v[22:23]
	s_and_b64 s[16:17], vcc, s[2:3]
	v_mov_b64_e32 v[22:23], 0
	s_and_saveexec_b64 s[12:13], s[16:17]
	s_cbranch_execz .LBB486_5
; %bb.11:                               ;   in Loop: Header=BB486_6 Depth=1
	v_lshl_add_u64 v[22:23], v[16:17], 3, v[14:15]
	flat_load_dwordx2 v[22:23], v[22:23]
	s_branch .LBB486_5
.LBB486_12:
	s_lshl_b64 s[0:1], s[30:31], 3
	s_waitcnt lgkmcnt(0)
	s_add_u32 s4, s4, s0
	v_add_u32_e32 v14, s27, v11
	s_addc_u32 s5, s5, s1
	v_add_u32_e32 v8, s26, v9
	v_ashrrev_i32_e32 v9, 31, v14
	v_mad_u64_u32 v[10:11], s[0:1], s28, v14, 0
	v_mul_lo_u32 v9, s28, v9
	v_mul_lo_u32 v12, s29, v14
	v_cmp_neq_f64_e64 s[0:1], s[24:25], 0
	v_cmp_gt_i32_e64 s[2:3], s33, v14
	v_add3_u32 v11, v11, v9, v12
	v_cmp_le_i32_e32 vcc, v8, v14
	v_cndmask_b32_e64 v12, 0, 1, s[0:1]
	v_lshl_add_u64 v[10:11], v[10:11], 3, s[4:5]
	s_and_b64 s[8:9], s[2:3], vcc
	v_ashrrev_i32_e32 v9, 31, v8
	v_cmp_ne_u32_e64 s[0:1], 1, v12
	s_and_saveexec_b64 s[6:7], s[8:9]
	s_cbranch_execz .LBB486_16
; %bb.13:
	v_mul_f64 v[6:7], s[10:11], v[6:7]
	s_and_b64 vcc, exec, s[0:1]
	v_lshl_add_u64 v[12:13], v[8:9], 3, v[10:11]
	s_cbranch_vccnz .LBB486_15
; %bb.14:
	flat_load_dwordx2 v[16:17], v[12:13]
	s_waitcnt vmcnt(0) lgkmcnt(0)
	v_fmac_f64_e32 v[6:7], s[24:25], v[16:17]
.LBB486_15:
	flat_store_dwordx2 v[12:13], v[6:7]
.LBB486_16:
	s_or_b64 exec, exec, s[6:7]
	v_add_u32_e32 v6, 16, v8
	v_cmp_le_i32_e32 vcc, v6, v14
	s_and_b64 s[6:7], s[2:3], vcc
	v_ashrrev_i32_e32 v7, 31, v6
	s_and_saveexec_b64 s[2:3], s[6:7]
	s_cbranch_execz .LBB486_20
; %bb.17:
	v_mul_f64 v[4:5], s[10:11], v[4:5]
	s_and_b64 vcc, exec, s[0:1]
	v_lshl_add_u64 v[10:11], v[6:7], 3, v[10:11]
	s_cbranch_vccnz .LBB486_19
; %bb.18:
	flat_load_dwordx2 v[12:13], v[10:11]
	s_waitcnt vmcnt(0) lgkmcnt(0)
	v_fmac_f64_e32 v[4:5], s[24:25], v[12:13]
.LBB486_19:
	flat_store_dwordx2 v[10:11], v[4:5]
.LBB486_20:
	s_or_b64 exec, exec, s[2:3]
	v_add_u32_e32 v10, 16, v14
	v_ashrrev_i32_e32 v4, 31, v10
	v_mul_lo_u32 v11, s28, v4
	v_mul_lo_u32 v12, s29, v10
	v_mad_u64_u32 v[4:5], s[6:7], s28, v10, 0
	v_cmp_gt_i32_e64 s[2:3], s33, v10
	v_add3_u32 v5, v5, v11, v12
	v_cmp_le_i32_e32 vcc, v8, v10
	v_lshl_add_u64 v[4:5], v[4:5], 3, s[4:5]
	s_and_b64 s[6:7], s[2:3], vcc
	s_and_saveexec_b64 s[4:5], s[6:7]
	s_cbranch_execz .LBB486_24
; %bb.21:
	v_mul_f64 v[2:3], s[10:11], v[2:3]
	s_and_b64 vcc, exec, s[0:1]
	v_lshl_add_u64 v[8:9], v[8:9], 3, v[4:5]
	s_cbranch_vccnz .LBB486_23
; %bb.22:
	flat_load_dwordx2 v[12:13], v[8:9]
	s_waitcnt vmcnt(0) lgkmcnt(0)
	v_fmac_f64_e32 v[2:3], s[24:25], v[12:13]
.LBB486_23:
	flat_store_dwordx2 v[8:9], v[2:3]
.LBB486_24:
	s_or_b64 exec, exec, s[4:5]
	v_cmp_le_i32_e32 vcc, v6, v10
	s_and_b64 s[2:3], s[2:3], vcc
	s_and_saveexec_b64 s[4:5], s[2:3]
	s_cbranch_execz .LBB486_28
; %bb.25:
	v_mul_f64 v[0:1], s[10:11], v[0:1]
	s_and_b64 vcc, exec, s[0:1]
	v_lshl_add_u64 v[2:3], v[6:7], 3, v[4:5]
	s_cbranch_vccnz .LBB486_27
; %bb.26:
	flat_load_dwordx2 v[4:5], v[2:3]
	s_waitcnt vmcnt(0) lgkmcnt(0)
	v_fmac_f64_e32 v[0:1], s[24:25], v[4:5]
.LBB486_27:
	flat_store_dwordx2 v[2:3], v[0:1]
.LBB486_28:
	s_endpgm
	.section	.rodata,"a",@progbits
	.p2align	6, 0x0
	.amdhsa_kernel _ZL29rocblas_internal_gemmt_kernelIlLi16ELi32ELi8ELc78ELc78ELc85ELb0ELb0EddPKPKdPKPdEviT_T9_T10_S7_lS9_S7_lS8_T11_S7_li
		.amdhsa_group_segment_fixed_size 4096
		.amdhsa_private_segment_fixed_size 0
		.amdhsa_kernarg_size 108
		.amdhsa_user_sgpr_count 2
		.amdhsa_user_sgpr_dispatch_ptr 0
		.amdhsa_user_sgpr_queue_ptr 0
		.amdhsa_user_sgpr_kernarg_segment_ptr 1
		.amdhsa_user_sgpr_dispatch_id 0
		.amdhsa_user_sgpr_kernarg_preload_length 0
		.amdhsa_user_sgpr_kernarg_preload_offset 0
		.amdhsa_user_sgpr_private_segment_size 0
		.amdhsa_uses_dynamic_stack 0
		.amdhsa_enable_private_segment 0
		.amdhsa_system_sgpr_workgroup_id_x 1
		.amdhsa_system_sgpr_workgroup_id_y 1
		.amdhsa_system_sgpr_workgroup_id_z 1
		.amdhsa_system_sgpr_workgroup_info 0
		.amdhsa_system_vgpr_workitem_id 1
		.amdhsa_next_free_vgpr 54
		.amdhsa_next_free_sgpr 36
		.amdhsa_accum_offset 56
		.amdhsa_reserve_vcc 1
		.amdhsa_float_round_mode_32 0
		.amdhsa_float_round_mode_16_64 0
		.amdhsa_float_denorm_mode_32 3
		.amdhsa_float_denorm_mode_16_64 3
		.amdhsa_dx10_clamp 1
		.amdhsa_ieee_mode 1
		.amdhsa_fp16_overflow 0
		.amdhsa_tg_split 0
		.amdhsa_exception_fp_ieee_invalid_op 0
		.amdhsa_exception_fp_denorm_src 0
		.amdhsa_exception_fp_ieee_div_zero 0
		.amdhsa_exception_fp_ieee_overflow 0
		.amdhsa_exception_fp_ieee_underflow 0
		.amdhsa_exception_fp_ieee_inexact 0
		.amdhsa_exception_int_div_zero 0
	.end_amdhsa_kernel
	.section	.text._ZL29rocblas_internal_gemmt_kernelIlLi16ELi32ELi8ELc78ELc78ELc85ELb0ELb0EddPKPKdPKPdEviT_T9_T10_S7_lS9_S7_lS8_T11_S7_li,"axG",@progbits,_ZL29rocblas_internal_gemmt_kernelIlLi16ELi32ELi8ELc78ELc78ELc85ELb0ELb0EddPKPKdPKPdEviT_T9_T10_S7_lS9_S7_lS8_T11_S7_li,comdat
.Lfunc_end486:
	.size	_ZL29rocblas_internal_gemmt_kernelIlLi16ELi32ELi8ELc78ELc78ELc85ELb0ELb0EddPKPKdPKPdEviT_T9_T10_S7_lS9_S7_lS8_T11_S7_li, .Lfunc_end486-_ZL29rocblas_internal_gemmt_kernelIlLi16ELi32ELi8ELc78ELc78ELc85ELb0ELb0EddPKPKdPKPdEviT_T9_T10_S7_lS9_S7_lS8_T11_S7_li
                                        ; -- End function
	.set _ZL29rocblas_internal_gemmt_kernelIlLi16ELi32ELi8ELc78ELc78ELc85ELb0ELb0EddPKPKdPKPdEviT_T9_T10_S7_lS9_S7_lS8_T11_S7_li.num_vgpr, 54
	.set _ZL29rocblas_internal_gemmt_kernelIlLi16ELi32ELi8ELc78ELc78ELc85ELb0ELb0EddPKPKdPKPdEviT_T9_T10_S7_lS9_S7_lS8_T11_S7_li.num_agpr, 0
	.set _ZL29rocblas_internal_gemmt_kernelIlLi16ELi32ELi8ELc78ELc78ELc85ELb0ELb0EddPKPKdPKPdEviT_T9_T10_S7_lS9_S7_lS8_T11_S7_li.numbered_sgpr, 36
	.set _ZL29rocblas_internal_gemmt_kernelIlLi16ELi32ELi8ELc78ELc78ELc85ELb0ELb0EddPKPKdPKPdEviT_T9_T10_S7_lS9_S7_lS8_T11_S7_li.num_named_barrier, 0
	.set _ZL29rocblas_internal_gemmt_kernelIlLi16ELi32ELi8ELc78ELc78ELc85ELb0ELb0EddPKPKdPKPdEviT_T9_T10_S7_lS9_S7_lS8_T11_S7_li.private_seg_size, 0
	.set _ZL29rocblas_internal_gemmt_kernelIlLi16ELi32ELi8ELc78ELc78ELc85ELb0ELb0EddPKPKdPKPdEviT_T9_T10_S7_lS9_S7_lS8_T11_S7_li.uses_vcc, 1
	.set _ZL29rocblas_internal_gemmt_kernelIlLi16ELi32ELi8ELc78ELc78ELc85ELb0ELb0EddPKPKdPKPdEviT_T9_T10_S7_lS9_S7_lS8_T11_S7_li.uses_flat_scratch, 0
	.set _ZL29rocblas_internal_gemmt_kernelIlLi16ELi32ELi8ELc78ELc78ELc85ELb0ELb0EddPKPKdPKPdEviT_T9_T10_S7_lS9_S7_lS8_T11_S7_li.has_dyn_sized_stack, 0
	.set _ZL29rocblas_internal_gemmt_kernelIlLi16ELi32ELi8ELc78ELc78ELc85ELb0ELb0EddPKPKdPKPdEviT_T9_T10_S7_lS9_S7_lS8_T11_S7_li.has_recursion, 0
	.set _ZL29rocblas_internal_gemmt_kernelIlLi16ELi32ELi8ELc78ELc78ELc85ELb0ELb0EddPKPKdPKPdEviT_T9_T10_S7_lS9_S7_lS8_T11_S7_li.has_indirect_call, 0
	.section	.AMDGPU.csdata,"",@progbits
; Kernel info:
; codeLenInByte = 1332
; TotalNumSgprs: 42
; NumVgprs: 54
; NumAgprs: 0
; TotalNumVgprs: 54
; ScratchSize: 0
; MemoryBound: 0
; FloatMode: 240
; IeeeMode: 1
; LDSByteSize: 4096 bytes/workgroup (compile time only)
; SGPRBlocks: 5
; VGPRBlocks: 6
; NumSGPRsForWavesPerEU: 42
; NumVGPRsForWavesPerEU: 54
; AccumOffset: 56
; Occupancy: 8
; WaveLimiterHint : 1
; COMPUTE_PGM_RSRC2:SCRATCH_EN: 0
; COMPUTE_PGM_RSRC2:USER_SGPR: 2
; COMPUTE_PGM_RSRC2:TRAP_HANDLER: 0
; COMPUTE_PGM_RSRC2:TGID_X_EN: 1
; COMPUTE_PGM_RSRC2:TGID_Y_EN: 1
; COMPUTE_PGM_RSRC2:TGID_Z_EN: 1
; COMPUTE_PGM_RSRC2:TIDIG_COMP_CNT: 1
; COMPUTE_PGM_RSRC3_GFX90A:ACCUM_OFFSET: 13
; COMPUTE_PGM_RSRC3_GFX90A:TG_SPLIT: 0
	.section	.text._ZL29rocblas_internal_gemmt_kernelIlLi16ELi32ELi8ELc78ELc84ELc85ELb0ELb0EddPKPKdPKPdEviT_T9_T10_S7_lS9_S7_lS8_T11_S7_li,"axG",@progbits,_ZL29rocblas_internal_gemmt_kernelIlLi16ELi32ELi8ELc78ELc84ELc85ELb0ELb0EddPKPKdPKPdEviT_T9_T10_S7_lS9_S7_lS8_T11_S7_li,comdat
	.globl	_ZL29rocblas_internal_gemmt_kernelIlLi16ELi32ELi8ELc78ELc84ELc85ELb0ELb0EddPKPKdPKPdEviT_T9_T10_S7_lS9_S7_lS8_T11_S7_li ; -- Begin function _ZL29rocblas_internal_gemmt_kernelIlLi16ELi32ELi8ELc78ELc84ELc85ELb0ELb0EddPKPKdPKPdEviT_T9_T10_S7_lS9_S7_lS8_T11_S7_li
	.p2align	8
	.type	_ZL29rocblas_internal_gemmt_kernelIlLi16ELi32ELi8ELc78ELc84ELc85ELb0ELb0EddPKPKdPKPdEviT_T9_T10_S7_lS9_S7_lS8_T11_S7_li,@function
_ZL29rocblas_internal_gemmt_kernelIlLi16ELi32ELi8ELc78ELc84ELc85ELb0ELb0EddPKPKdPKPdEviT_T9_T10_S7_lS9_S7_lS8_T11_S7_li: ; @_ZL29rocblas_internal_gemmt_kernelIlLi16ELi32ELi8ELc78ELc84ELc85ELb0ELb0EddPKPKdPKPdEviT_T9_T10_S7_lS9_S7_lS8_T11_S7_li
; %bb.0:
	s_load_dwordx8 s[24:31], s[0:1], 0x48
	s_load_dwordx16 s[8:23], s[0:1], 0x8
	s_waitcnt lgkmcnt(0)
	v_cmp_neq_f64_e64 s[6:7], s[24:25], 1.0
	s_and_b64 vcc, exec, s[6:7]
	s_cbranch_vccnz .LBB487_2
; %bb.1:
	s_cmp_lg_u64 s[8:9], 0
	s_cselect_b64 s[6:7], -1, 0
	v_cmp_neq_f64_e64 s[34:35], s[10:11], 0
	s_and_b64 s[6:7], s[6:7], s[34:35]
.LBB487_2:
	s_andn2_b64 vcc, exec, s[6:7]
	s_cbranch_vccnz .LBB487_28
; %bb.3:
	s_mov_b32 s5, 0
	s_load_dword s33, s[0:1], 0x0
	s_lshl_b64 s[0:1], s[4:5], 3
	s_add_u32 s4, s26, s0
	s_addc_u32 s5, s27, s1
	s_load_dwordx2 s[4:5], s[4:5], 0x0
	s_lshl_b32 s26, s2, 5
	s_lshl_b32 s27, s3, 5
	v_cmp_eq_f64_e64 s[2:3], s[10:11], 0
	v_cmp_lt_i64_e64 s[6:7], s[8:9], 1
	s_or_b64 s[2:3], s[2:3], s[6:7]
	v_and_b32_e32 v9, 0x3ff, v0
	v_bfe_u32 v11, v0, 10, 10
	v_mov_b64_e32 v[6:7], 0
	s_and_b64 vcc, exec, s[2:3]
	v_mov_b64_e32 v[4:5], 0
	v_mov_b64_e32 v[2:3], 0
	;; [unrolled: 1-line block ×3, first 2 shown]
	s_cbranch_vccnz .LBB487_12
; %bb.4:
	s_add_u32 s2, s18, s0
	s_addc_u32 s3, s19, s1
	s_load_dwordx2 s[2:3], s[2:3], 0x0
	s_lshl_b64 s[6:7], s[22:23], 3
	v_lshl_add_u32 v1, v11, 4, v9
	v_lshrrev_b32_e32 v10, 5, v1
	v_lshrrev_b32_e32 v4, 3, v1
	s_waitcnt lgkmcnt(0)
	s_add_u32 s6, s2, s6
	s_addc_u32 s7, s3, s7
	s_add_u32 s0, s12, s0
	s_addc_u32 s1, s13, s1
	s_load_dwordx2 s[0:1], s[0:1], 0x0
	v_and_b32_e32 v1, 31, v1
	v_and_b32_e32 v8, 7, v9
	v_or_b32_e32 v2, s26, v1
	v_lshlrev_b32_e32 v1, 3, v1
	s_lshl_b64 s[2:3], s[16:17], 3
	v_lshl_or_b32 v18, v10, 8, v1
	v_lshlrev_b32_e32 v1, 3, v8
	v_add_u32_e32 v0, s27, v4
	s_waitcnt lgkmcnt(0)
	s_add_u32 s2, s0, s2
	v_lshl_or_b32 v1, v4, 6, v1
	s_addc_u32 s3, s1, s3
	v_ashrrev_i32_e32 v3, 31, v2
	v_add_u32_e32 v19, 0x800, v1
	v_ashrrev_i32_e32 v1, 31, v0
	v_lshl_add_u64 v[12:13], v[2:3], 3, s[2:3]
	v_cmp_gt_i32_e64 s[2:3], s33, v0
	v_lshl_add_u64 v[14:15], v[0:1], 3, s[6:7]
	v_mov_b32_e32 v0, 0x800
	v_cmp_gt_i32_e64 s[0:1], s33, v2
	v_lshlrev_b32_e32 v20, 3, v9
	v_lshl_add_u32 v21, v11, 6, v0
	v_mov_b32_e32 v17, 0
	v_mov_b64_e32 v[0:1], 0
	s_mov_b64 s[6:7], 0
	v_mov_b64_e32 v[2:3], 0
	v_mov_b64_e32 v[4:5], 0
	;; [unrolled: 1-line block ×3, first 2 shown]
	s_branch .LBB487_6
.LBB487_5:                              ;   in Loop: Header=BB487_6 Depth=1
	s_or_b64 exec, exec, s[12:13]
	s_waitcnt vmcnt(0) lgkmcnt(0)
	ds_write_b64 v19, v[22:23]
	s_waitcnt lgkmcnt(0)
	s_barrier
	ds_read2_b64 v[22:25], v20 offset1:16
	ds_read_b128 v[26:29], v21
	ds_read_b128 v[30:33], v21 offset:16
	ds_read_b128 v[34:37], v21 offset:32
	;; [unrolled: 1-line block ×4, first 2 shown]
	ds_read2_b64 v[46:49], v20 offset0:32 offset1:48
	s_waitcnt lgkmcnt(5)
	v_fmac_f64_e32 v[6:7], v[22:23], v[26:27]
	v_fmac_f64_e32 v[4:5], v[24:25], v[26:27]
	ds_read_b128 v[50:53], v21 offset:1040
	s_waitcnt lgkmcnt(2)
	v_fmac_f64_e32 v[2:3], v[22:23], v[42:43]
	v_fmac_f64_e32 v[0:1], v[24:25], v[42:43]
	ds_read2_b64 v[22:25], v20 offset0:64 offset1:80
	s_waitcnt lgkmcnt(2)
	v_fmac_f64_e32 v[6:7], v[46:47], v[28:29]
	v_fmac_f64_e32 v[4:5], v[48:49], v[28:29]
	ds_read2_b64 v[26:29], v20 offset0:96 offset1:112
	v_fmac_f64_e32 v[2:3], v[46:47], v[44:45]
	v_fmac_f64_e32 v[0:1], v[48:49], v[44:45]
	s_waitcnt lgkmcnt(1)
	v_fmac_f64_e32 v[6:7], v[22:23], v[30:31]
	v_fmac_f64_e32 v[4:5], v[24:25], v[30:31]
	ds_read_b128 v[42:45], v21 offset:1072
	v_fmac_f64_e32 v[2:3], v[22:23], v[50:51]
	v_fmac_f64_e32 v[0:1], v[24:25], v[50:51]
	s_waitcnt lgkmcnt(1)
	v_fmac_f64_e32 v[6:7], v[26:27], v[32:33]
	ds_read2_b64 v[22:25], v20 offset0:128 offset1:144
	v_fmac_f64_e32 v[4:5], v[28:29], v[32:33]
	v_fmac_f64_e32 v[2:3], v[26:27], v[52:53]
	;; [unrolled: 1-line block ×3, first 2 shown]
	ds_read_b128 v[26:29], v21 offset:1056
	ds_read2_b64 v[30:33], v20 offset0:160 offset1:176
	s_waitcnt lgkmcnt(2)
	v_fmac_f64_e32 v[6:7], v[22:23], v[34:35]
	v_fmac_f64_e32 v[4:5], v[24:25], v[34:35]
	s_add_u32 s6, s6, 8
	s_waitcnt lgkmcnt(1)
	v_fmac_f64_e32 v[2:3], v[22:23], v[26:27]
	v_fmac_f64_e32 v[0:1], v[24:25], v[26:27]
	ds_read2_b64 v[22:25], v20 offset0:192 offset1:208
	s_waitcnt lgkmcnt(1)
	v_fmac_f64_e32 v[2:3], v[30:31], v[28:29]
	v_fmac_f64_e32 v[0:1], v[32:33], v[28:29]
	ds_read2_b64 v[26:29], v20 offset0:224 offset1:240
	v_fmac_f64_e32 v[6:7], v[30:31], v[36:37]
	s_addc_u32 s7, s7, 0
	v_fmac_f64_e32 v[4:5], v[32:33], v[36:37]
	s_waitcnt lgkmcnt(1)
	v_fmac_f64_e32 v[6:7], v[22:23], v[38:39]
	v_fmac_f64_e32 v[2:3], v[22:23], v[42:43]
	v_mov_b64_e32 v[22:23], s[6:7]
	v_fmac_f64_e32 v[4:5], v[24:25], v[38:39]
	v_fmac_f64_e32 v[0:1], v[24:25], v[42:43]
	v_cmp_gt_i64_e32 vcc, s[8:9], v[22:23]
	s_waitcnt lgkmcnt(0)
	v_fmac_f64_e32 v[6:7], v[26:27], v[40:41]
	v_fmac_f64_e32 v[4:5], v[28:29], v[40:41]
	;; [unrolled: 1-line block ×4, first 2 shown]
	s_barrier
	s_cbranch_vccz .LBB487_12
.LBB487_6:                              ; =>This Inner Loop Header: Depth=1
	v_mov_b64_e32 v[22:23], 0
	s_and_saveexec_b64 s[12:13], s[0:1]
	s_cbranch_execz .LBB487_10
; %bb.7:                                ;   in Loop: Header=BB487_6 Depth=1
	v_add_u32_e32 v16, s6, v10
	v_cmp_gt_u64_e32 vcc, s[8:9], v[16:17]
	v_mov_b64_e32 v[22:23], 0
	s_and_saveexec_b64 s[16:17], vcc
	s_cbranch_execz .LBB487_9
; %bb.8:                                ;   in Loop: Header=BB487_6 Depth=1
	v_mad_u64_u32 v[22:23], s[18:19], s14, v16, 0
	v_mov_b32_e32 v24, v23
	v_mad_u64_u32 v[24:25], s[18:19], s15, v16, v[24:25]
	v_mov_b32_e32 v23, v24
	v_lshl_add_u64 v[22:23], v[22:23], 3, v[12:13]
	flat_load_dwordx2 v[22:23], v[22:23]
.LBB487_9:                              ;   in Loop: Header=BB487_6 Depth=1
	s_or_b64 exec, exec, s[16:17]
.LBB487_10:                             ;   in Loop: Header=BB487_6 Depth=1
	s_or_b64 exec, exec, s[12:13]
	v_add_u32_e32 v16, s6, v8
	v_cmp_gt_u64_e32 vcc, s[8:9], v[16:17]
	s_waitcnt vmcnt(0) lgkmcnt(0)
	ds_write_b64 v18, v[22:23]
	s_and_b64 s[16:17], vcc, s[2:3]
	v_mov_b64_e32 v[22:23], 0
	s_and_saveexec_b64 s[12:13], s[16:17]
	s_cbranch_execz .LBB487_5
; %bb.11:                               ;   in Loop: Header=BB487_6 Depth=1
	v_mad_u64_u32 v[22:23], s[16:17], s20, v16, 0
	v_mov_b32_e32 v24, v23
	v_mad_u64_u32 v[24:25], s[16:17], s21, v16, v[24:25]
	v_mov_b32_e32 v23, v24
	v_lshl_add_u64 v[22:23], v[22:23], 3, v[14:15]
	flat_load_dwordx2 v[22:23], v[22:23]
	s_branch .LBB487_5
.LBB487_12:
	s_lshl_b64 s[0:1], s[30:31], 3
	s_waitcnt lgkmcnt(0)
	s_add_u32 s4, s4, s0
	v_add_u32_e32 v14, s27, v11
	s_addc_u32 s5, s5, s1
	v_add_u32_e32 v8, s26, v9
	v_ashrrev_i32_e32 v9, 31, v14
	v_mad_u64_u32 v[10:11], s[0:1], s28, v14, 0
	v_mul_lo_u32 v9, s28, v9
	v_mul_lo_u32 v12, s29, v14
	v_cmp_neq_f64_e64 s[0:1], s[24:25], 0
	v_cmp_gt_i32_e64 s[2:3], s33, v14
	v_add3_u32 v11, v11, v9, v12
	v_cmp_le_i32_e32 vcc, v8, v14
	v_cndmask_b32_e64 v12, 0, 1, s[0:1]
	v_lshl_add_u64 v[10:11], v[10:11], 3, s[4:5]
	s_and_b64 s[8:9], s[2:3], vcc
	v_ashrrev_i32_e32 v9, 31, v8
	v_cmp_ne_u32_e64 s[0:1], 1, v12
	s_and_saveexec_b64 s[6:7], s[8:9]
	s_cbranch_execz .LBB487_16
; %bb.13:
	v_mul_f64 v[6:7], s[10:11], v[6:7]
	s_and_b64 vcc, exec, s[0:1]
	v_lshl_add_u64 v[12:13], v[8:9], 3, v[10:11]
	s_cbranch_vccnz .LBB487_15
; %bb.14:
	flat_load_dwordx2 v[16:17], v[12:13]
	s_waitcnt vmcnt(0) lgkmcnt(0)
	v_fmac_f64_e32 v[6:7], s[24:25], v[16:17]
.LBB487_15:
	flat_store_dwordx2 v[12:13], v[6:7]
.LBB487_16:
	s_or_b64 exec, exec, s[6:7]
	v_add_u32_e32 v6, 16, v8
	v_cmp_le_i32_e32 vcc, v6, v14
	s_and_b64 s[6:7], s[2:3], vcc
	v_ashrrev_i32_e32 v7, 31, v6
	s_and_saveexec_b64 s[2:3], s[6:7]
	s_cbranch_execz .LBB487_20
; %bb.17:
	v_mul_f64 v[4:5], s[10:11], v[4:5]
	s_and_b64 vcc, exec, s[0:1]
	v_lshl_add_u64 v[10:11], v[6:7], 3, v[10:11]
	s_cbranch_vccnz .LBB487_19
; %bb.18:
	flat_load_dwordx2 v[12:13], v[10:11]
	s_waitcnt vmcnt(0) lgkmcnt(0)
	v_fmac_f64_e32 v[4:5], s[24:25], v[12:13]
.LBB487_19:
	flat_store_dwordx2 v[10:11], v[4:5]
.LBB487_20:
	s_or_b64 exec, exec, s[2:3]
	v_add_u32_e32 v10, 16, v14
	v_ashrrev_i32_e32 v4, 31, v10
	v_mul_lo_u32 v11, s28, v4
	v_mul_lo_u32 v12, s29, v10
	v_mad_u64_u32 v[4:5], s[6:7], s28, v10, 0
	v_cmp_gt_i32_e64 s[2:3], s33, v10
	v_add3_u32 v5, v5, v11, v12
	v_cmp_le_i32_e32 vcc, v8, v10
	v_lshl_add_u64 v[4:5], v[4:5], 3, s[4:5]
	s_and_b64 s[6:7], s[2:3], vcc
	s_and_saveexec_b64 s[4:5], s[6:7]
	s_cbranch_execz .LBB487_24
; %bb.21:
	v_mul_f64 v[2:3], s[10:11], v[2:3]
	s_and_b64 vcc, exec, s[0:1]
	v_lshl_add_u64 v[8:9], v[8:9], 3, v[4:5]
	s_cbranch_vccnz .LBB487_23
; %bb.22:
	flat_load_dwordx2 v[12:13], v[8:9]
	s_waitcnt vmcnt(0) lgkmcnt(0)
	v_fmac_f64_e32 v[2:3], s[24:25], v[12:13]
.LBB487_23:
	flat_store_dwordx2 v[8:9], v[2:3]
.LBB487_24:
	s_or_b64 exec, exec, s[4:5]
	v_cmp_le_i32_e32 vcc, v6, v10
	s_and_b64 s[2:3], s[2:3], vcc
	s_and_saveexec_b64 s[4:5], s[2:3]
	s_cbranch_execz .LBB487_28
; %bb.25:
	v_mul_f64 v[0:1], s[10:11], v[0:1]
	s_and_b64 vcc, exec, s[0:1]
	v_lshl_add_u64 v[2:3], v[6:7], 3, v[4:5]
	s_cbranch_vccnz .LBB487_27
; %bb.26:
	flat_load_dwordx2 v[4:5], v[2:3]
	s_waitcnt vmcnt(0) lgkmcnt(0)
	v_fmac_f64_e32 v[0:1], s[24:25], v[4:5]
.LBB487_27:
	flat_store_dwordx2 v[2:3], v[0:1]
.LBB487_28:
	s_endpgm
	.section	.rodata,"a",@progbits
	.p2align	6, 0x0
	.amdhsa_kernel _ZL29rocblas_internal_gemmt_kernelIlLi16ELi32ELi8ELc78ELc84ELc85ELb0ELb0EddPKPKdPKPdEviT_T9_T10_S7_lS9_S7_lS8_T11_S7_li
		.amdhsa_group_segment_fixed_size 4096
		.amdhsa_private_segment_fixed_size 0
		.amdhsa_kernarg_size 108
		.amdhsa_user_sgpr_count 2
		.amdhsa_user_sgpr_dispatch_ptr 0
		.amdhsa_user_sgpr_queue_ptr 0
		.amdhsa_user_sgpr_kernarg_segment_ptr 1
		.amdhsa_user_sgpr_dispatch_id 0
		.amdhsa_user_sgpr_kernarg_preload_length 0
		.amdhsa_user_sgpr_kernarg_preload_offset 0
		.amdhsa_user_sgpr_private_segment_size 0
		.amdhsa_uses_dynamic_stack 0
		.amdhsa_enable_private_segment 0
		.amdhsa_system_sgpr_workgroup_id_x 1
		.amdhsa_system_sgpr_workgroup_id_y 1
		.amdhsa_system_sgpr_workgroup_id_z 1
		.amdhsa_system_sgpr_workgroup_info 0
		.amdhsa_system_vgpr_workitem_id 1
		.amdhsa_next_free_vgpr 54
		.amdhsa_next_free_sgpr 36
		.amdhsa_accum_offset 56
		.amdhsa_reserve_vcc 1
		.amdhsa_float_round_mode_32 0
		.amdhsa_float_round_mode_16_64 0
		.amdhsa_float_denorm_mode_32 3
		.amdhsa_float_denorm_mode_16_64 3
		.amdhsa_dx10_clamp 1
		.amdhsa_ieee_mode 1
		.amdhsa_fp16_overflow 0
		.amdhsa_tg_split 0
		.amdhsa_exception_fp_ieee_invalid_op 0
		.amdhsa_exception_fp_denorm_src 0
		.amdhsa_exception_fp_ieee_div_zero 0
		.amdhsa_exception_fp_ieee_overflow 0
		.amdhsa_exception_fp_ieee_underflow 0
		.amdhsa_exception_fp_ieee_inexact 0
		.amdhsa_exception_int_div_zero 0
	.end_amdhsa_kernel
	.section	.text._ZL29rocblas_internal_gemmt_kernelIlLi16ELi32ELi8ELc78ELc84ELc85ELb0ELb0EddPKPKdPKPdEviT_T9_T10_S7_lS9_S7_lS8_T11_S7_li,"axG",@progbits,_ZL29rocblas_internal_gemmt_kernelIlLi16ELi32ELi8ELc78ELc84ELc85ELb0ELb0EddPKPKdPKPdEviT_T9_T10_S7_lS9_S7_lS8_T11_S7_li,comdat
.Lfunc_end487:
	.size	_ZL29rocblas_internal_gemmt_kernelIlLi16ELi32ELi8ELc78ELc84ELc85ELb0ELb0EddPKPKdPKPdEviT_T9_T10_S7_lS9_S7_lS8_T11_S7_li, .Lfunc_end487-_ZL29rocblas_internal_gemmt_kernelIlLi16ELi32ELi8ELc78ELc84ELc85ELb0ELb0EddPKPKdPKPdEviT_T9_T10_S7_lS9_S7_lS8_T11_S7_li
                                        ; -- End function
	.set _ZL29rocblas_internal_gemmt_kernelIlLi16ELi32ELi8ELc78ELc84ELc85ELb0ELb0EddPKPKdPKPdEviT_T9_T10_S7_lS9_S7_lS8_T11_S7_li.num_vgpr, 54
	.set _ZL29rocblas_internal_gemmt_kernelIlLi16ELi32ELi8ELc78ELc84ELc85ELb0ELb0EddPKPKdPKPdEviT_T9_T10_S7_lS9_S7_lS8_T11_S7_li.num_agpr, 0
	.set _ZL29rocblas_internal_gemmt_kernelIlLi16ELi32ELi8ELc78ELc84ELc85ELb0ELb0EddPKPKdPKPdEviT_T9_T10_S7_lS9_S7_lS8_T11_S7_li.numbered_sgpr, 36
	.set _ZL29rocblas_internal_gemmt_kernelIlLi16ELi32ELi8ELc78ELc84ELc85ELb0ELb0EddPKPKdPKPdEviT_T9_T10_S7_lS9_S7_lS8_T11_S7_li.num_named_barrier, 0
	.set _ZL29rocblas_internal_gemmt_kernelIlLi16ELi32ELi8ELc78ELc84ELc85ELb0ELb0EddPKPKdPKPdEviT_T9_T10_S7_lS9_S7_lS8_T11_S7_li.private_seg_size, 0
	.set _ZL29rocblas_internal_gemmt_kernelIlLi16ELi32ELi8ELc78ELc84ELc85ELb0ELb0EddPKPKdPKPdEviT_T9_T10_S7_lS9_S7_lS8_T11_S7_li.uses_vcc, 1
	.set _ZL29rocblas_internal_gemmt_kernelIlLi16ELi32ELi8ELc78ELc84ELc85ELb0ELb0EddPKPKdPKPdEviT_T9_T10_S7_lS9_S7_lS8_T11_S7_li.uses_flat_scratch, 0
	.set _ZL29rocblas_internal_gemmt_kernelIlLi16ELi32ELi8ELc78ELc84ELc85ELb0ELb0EddPKPKdPKPdEviT_T9_T10_S7_lS9_S7_lS8_T11_S7_li.has_dyn_sized_stack, 0
	.set _ZL29rocblas_internal_gemmt_kernelIlLi16ELi32ELi8ELc78ELc84ELc85ELb0ELb0EddPKPKdPKPdEviT_T9_T10_S7_lS9_S7_lS8_T11_S7_li.has_recursion, 0
	.set _ZL29rocblas_internal_gemmt_kernelIlLi16ELi32ELi8ELc78ELc84ELc85ELb0ELb0EddPKPKdPKPdEviT_T9_T10_S7_lS9_S7_lS8_T11_S7_li.has_indirect_call, 0
	.section	.AMDGPU.csdata,"",@progbits
; Kernel info:
; codeLenInByte = 1324
; TotalNumSgprs: 42
; NumVgprs: 54
; NumAgprs: 0
; TotalNumVgprs: 54
; ScratchSize: 0
; MemoryBound: 0
; FloatMode: 240
; IeeeMode: 1
; LDSByteSize: 4096 bytes/workgroup (compile time only)
; SGPRBlocks: 5
; VGPRBlocks: 6
; NumSGPRsForWavesPerEU: 42
; NumVGPRsForWavesPerEU: 54
; AccumOffset: 56
; Occupancy: 8
; WaveLimiterHint : 1
; COMPUTE_PGM_RSRC2:SCRATCH_EN: 0
; COMPUTE_PGM_RSRC2:USER_SGPR: 2
; COMPUTE_PGM_RSRC2:TRAP_HANDLER: 0
; COMPUTE_PGM_RSRC2:TGID_X_EN: 1
; COMPUTE_PGM_RSRC2:TGID_Y_EN: 1
; COMPUTE_PGM_RSRC2:TGID_Z_EN: 1
; COMPUTE_PGM_RSRC2:TIDIG_COMP_CNT: 1
; COMPUTE_PGM_RSRC3_GFX90A:ACCUM_OFFSET: 13
; COMPUTE_PGM_RSRC3_GFX90A:TG_SPLIT: 0
	.section	.text._ZL29rocblas_internal_gemmt_kernelIlLi16ELi32ELi8ELc78ELc67ELc85ELb0ELb0EddPKPKdPKPdEviT_T9_T10_S7_lS9_S7_lS8_T11_S7_li,"axG",@progbits,_ZL29rocblas_internal_gemmt_kernelIlLi16ELi32ELi8ELc78ELc67ELc85ELb0ELb0EddPKPKdPKPdEviT_T9_T10_S7_lS9_S7_lS8_T11_S7_li,comdat
	.globl	_ZL29rocblas_internal_gemmt_kernelIlLi16ELi32ELi8ELc78ELc67ELc85ELb0ELb0EddPKPKdPKPdEviT_T9_T10_S7_lS9_S7_lS8_T11_S7_li ; -- Begin function _ZL29rocblas_internal_gemmt_kernelIlLi16ELi32ELi8ELc78ELc67ELc85ELb0ELb0EddPKPKdPKPdEviT_T9_T10_S7_lS9_S7_lS8_T11_S7_li
	.p2align	8
	.type	_ZL29rocblas_internal_gemmt_kernelIlLi16ELi32ELi8ELc78ELc67ELc85ELb0ELb0EddPKPKdPKPdEviT_T9_T10_S7_lS9_S7_lS8_T11_S7_li,@function
_ZL29rocblas_internal_gemmt_kernelIlLi16ELi32ELi8ELc78ELc67ELc85ELb0ELb0EddPKPKdPKPdEviT_T9_T10_S7_lS9_S7_lS8_T11_S7_li: ; @_ZL29rocblas_internal_gemmt_kernelIlLi16ELi32ELi8ELc78ELc67ELc85ELb0ELb0EddPKPKdPKPdEviT_T9_T10_S7_lS9_S7_lS8_T11_S7_li
; %bb.0:
	s_load_dwordx8 s[24:31], s[0:1], 0x48
	s_load_dwordx16 s[8:23], s[0:1], 0x8
	s_waitcnt lgkmcnt(0)
	v_cmp_neq_f64_e64 s[6:7], s[24:25], 1.0
	s_and_b64 vcc, exec, s[6:7]
	s_cbranch_vccnz .LBB488_2
; %bb.1:
	s_cmp_lg_u64 s[8:9], 0
	s_cselect_b64 s[6:7], -1, 0
	v_cmp_neq_f64_e64 s[34:35], s[10:11], 0
	s_and_b64 s[6:7], s[6:7], s[34:35]
.LBB488_2:
	s_andn2_b64 vcc, exec, s[6:7]
	s_cbranch_vccnz .LBB488_28
; %bb.3:
	s_mov_b32 s5, 0
	s_load_dword s33, s[0:1], 0x0
	s_lshl_b64 s[0:1], s[4:5], 3
	s_add_u32 s4, s26, s0
	s_addc_u32 s5, s27, s1
	s_load_dwordx2 s[4:5], s[4:5], 0x0
	s_lshl_b32 s26, s2, 5
	s_lshl_b32 s27, s3, 5
	v_cmp_eq_f64_e64 s[2:3], s[10:11], 0
	v_cmp_lt_i64_e64 s[6:7], s[8:9], 1
	s_or_b64 s[2:3], s[2:3], s[6:7]
	v_and_b32_e32 v9, 0x3ff, v0
	v_bfe_u32 v11, v0, 10, 10
	v_mov_b64_e32 v[6:7], 0
	s_and_b64 vcc, exec, s[2:3]
	v_mov_b64_e32 v[4:5], 0
	v_mov_b64_e32 v[2:3], 0
	;; [unrolled: 1-line block ×3, first 2 shown]
	s_cbranch_vccnz .LBB488_12
; %bb.4:
	s_add_u32 s2, s18, s0
	s_addc_u32 s3, s19, s1
	s_load_dwordx2 s[2:3], s[2:3], 0x0
	s_lshl_b64 s[6:7], s[22:23], 3
	v_lshl_add_u32 v1, v11, 4, v9
	v_lshrrev_b32_e32 v10, 5, v1
	v_lshrrev_b32_e32 v4, 3, v1
	s_waitcnt lgkmcnt(0)
	s_add_u32 s6, s2, s6
	s_addc_u32 s7, s3, s7
	s_add_u32 s0, s12, s0
	s_addc_u32 s1, s13, s1
	s_load_dwordx2 s[0:1], s[0:1], 0x0
	v_and_b32_e32 v1, 31, v1
	v_and_b32_e32 v8, 7, v9
	v_or_b32_e32 v2, s26, v1
	v_lshlrev_b32_e32 v1, 3, v1
	s_lshl_b64 s[2:3], s[16:17], 3
	v_lshl_or_b32 v18, v10, 8, v1
	v_lshlrev_b32_e32 v1, 3, v8
	v_add_u32_e32 v0, s27, v4
	s_waitcnt lgkmcnt(0)
	s_add_u32 s2, s0, s2
	v_lshl_or_b32 v1, v4, 6, v1
	s_addc_u32 s3, s1, s3
	v_ashrrev_i32_e32 v3, 31, v2
	v_add_u32_e32 v19, 0x800, v1
	v_ashrrev_i32_e32 v1, 31, v0
	v_lshl_add_u64 v[12:13], v[2:3], 3, s[2:3]
	v_cmp_gt_i32_e64 s[2:3], s33, v0
	v_lshl_add_u64 v[14:15], v[0:1], 3, s[6:7]
	v_mov_b32_e32 v0, 0x800
	v_cmp_gt_i32_e64 s[0:1], s33, v2
	v_lshlrev_b32_e32 v20, 3, v9
	v_lshl_add_u32 v21, v11, 6, v0
	v_mov_b32_e32 v17, 0
	v_mov_b64_e32 v[0:1], 0
	s_mov_b64 s[6:7], 0
	v_mov_b64_e32 v[2:3], 0
	v_mov_b64_e32 v[4:5], 0
	;; [unrolled: 1-line block ×3, first 2 shown]
	s_branch .LBB488_6
.LBB488_5:                              ;   in Loop: Header=BB488_6 Depth=1
	s_or_b64 exec, exec, s[12:13]
	s_waitcnt vmcnt(0) lgkmcnt(0)
	ds_write_b64 v19, v[22:23]
	s_waitcnt lgkmcnt(0)
	s_barrier
	ds_read2_b64 v[22:25], v20 offset1:16
	ds_read_b128 v[26:29], v21
	ds_read_b128 v[30:33], v21 offset:16
	ds_read_b128 v[34:37], v21 offset:32
	;; [unrolled: 1-line block ×4, first 2 shown]
	ds_read2_b64 v[46:49], v20 offset0:32 offset1:48
	s_waitcnt lgkmcnt(5)
	v_fmac_f64_e32 v[6:7], v[22:23], v[26:27]
	v_fmac_f64_e32 v[4:5], v[24:25], v[26:27]
	ds_read_b128 v[50:53], v21 offset:1040
	s_waitcnt lgkmcnt(2)
	v_fmac_f64_e32 v[2:3], v[22:23], v[42:43]
	v_fmac_f64_e32 v[0:1], v[24:25], v[42:43]
	ds_read2_b64 v[22:25], v20 offset0:64 offset1:80
	s_waitcnt lgkmcnt(2)
	v_fmac_f64_e32 v[6:7], v[46:47], v[28:29]
	v_fmac_f64_e32 v[4:5], v[48:49], v[28:29]
	ds_read2_b64 v[26:29], v20 offset0:96 offset1:112
	v_fmac_f64_e32 v[2:3], v[46:47], v[44:45]
	v_fmac_f64_e32 v[0:1], v[48:49], v[44:45]
	s_waitcnt lgkmcnt(1)
	v_fmac_f64_e32 v[6:7], v[22:23], v[30:31]
	v_fmac_f64_e32 v[4:5], v[24:25], v[30:31]
	ds_read_b128 v[42:45], v21 offset:1072
	v_fmac_f64_e32 v[2:3], v[22:23], v[50:51]
	v_fmac_f64_e32 v[0:1], v[24:25], v[50:51]
	s_waitcnt lgkmcnt(1)
	v_fmac_f64_e32 v[6:7], v[26:27], v[32:33]
	ds_read2_b64 v[22:25], v20 offset0:128 offset1:144
	v_fmac_f64_e32 v[4:5], v[28:29], v[32:33]
	v_fmac_f64_e32 v[2:3], v[26:27], v[52:53]
	;; [unrolled: 1-line block ×3, first 2 shown]
	ds_read_b128 v[26:29], v21 offset:1056
	ds_read2_b64 v[30:33], v20 offset0:160 offset1:176
	s_waitcnt lgkmcnt(2)
	v_fmac_f64_e32 v[6:7], v[22:23], v[34:35]
	v_fmac_f64_e32 v[4:5], v[24:25], v[34:35]
	s_add_u32 s6, s6, 8
	s_waitcnt lgkmcnt(1)
	v_fmac_f64_e32 v[2:3], v[22:23], v[26:27]
	v_fmac_f64_e32 v[0:1], v[24:25], v[26:27]
	ds_read2_b64 v[22:25], v20 offset0:192 offset1:208
	s_waitcnt lgkmcnt(1)
	v_fmac_f64_e32 v[2:3], v[30:31], v[28:29]
	v_fmac_f64_e32 v[0:1], v[32:33], v[28:29]
	ds_read2_b64 v[26:29], v20 offset0:224 offset1:240
	v_fmac_f64_e32 v[6:7], v[30:31], v[36:37]
	s_addc_u32 s7, s7, 0
	v_fmac_f64_e32 v[4:5], v[32:33], v[36:37]
	s_waitcnt lgkmcnt(1)
	v_fmac_f64_e32 v[6:7], v[22:23], v[38:39]
	v_fmac_f64_e32 v[2:3], v[22:23], v[42:43]
	v_mov_b64_e32 v[22:23], s[6:7]
	v_fmac_f64_e32 v[4:5], v[24:25], v[38:39]
	v_fmac_f64_e32 v[0:1], v[24:25], v[42:43]
	v_cmp_gt_i64_e32 vcc, s[8:9], v[22:23]
	s_waitcnt lgkmcnt(0)
	v_fmac_f64_e32 v[6:7], v[26:27], v[40:41]
	v_fmac_f64_e32 v[4:5], v[28:29], v[40:41]
	;; [unrolled: 1-line block ×4, first 2 shown]
	s_barrier
	s_cbranch_vccz .LBB488_12
.LBB488_6:                              ; =>This Inner Loop Header: Depth=1
	v_mov_b64_e32 v[22:23], 0
	s_and_saveexec_b64 s[12:13], s[0:1]
	s_cbranch_execz .LBB488_10
; %bb.7:                                ;   in Loop: Header=BB488_6 Depth=1
	v_add_u32_e32 v16, s6, v10
	v_cmp_gt_u64_e32 vcc, s[8:9], v[16:17]
	v_mov_b64_e32 v[22:23], 0
	s_and_saveexec_b64 s[16:17], vcc
	s_cbranch_execz .LBB488_9
; %bb.8:                                ;   in Loop: Header=BB488_6 Depth=1
	v_mad_u64_u32 v[22:23], s[18:19], s14, v16, 0
	v_mov_b32_e32 v24, v23
	v_mad_u64_u32 v[24:25], s[18:19], s15, v16, v[24:25]
	v_mov_b32_e32 v23, v24
	v_lshl_add_u64 v[22:23], v[22:23], 3, v[12:13]
	flat_load_dwordx2 v[22:23], v[22:23]
.LBB488_9:                              ;   in Loop: Header=BB488_6 Depth=1
	s_or_b64 exec, exec, s[16:17]
.LBB488_10:                             ;   in Loop: Header=BB488_6 Depth=1
	s_or_b64 exec, exec, s[12:13]
	v_add_u32_e32 v16, s6, v8
	v_cmp_gt_u64_e32 vcc, s[8:9], v[16:17]
	s_waitcnt vmcnt(0) lgkmcnt(0)
	ds_write_b64 v18, v[22:23]
	s_and_b64 s[16:17], vcc, s[2:3]
	v_mov_b64_e32 v[22:23], 0
	s_and_saveexec_b64 s[12:13], s[16:17]
	s_cbranch_execz .LBB488_5
; %bb.11:                               ;   in Loop: Header=BB488_6 Depth=1
	v_mad_u64_u32 v[22:23], s[16:17], s20, v16, 0
	v_mov_b32_e32 v24, v23
	v_mad_u64_u32 v[24:25], s[16:17], s21, v16, v[24:25]
	v_mov_b32_e32 v23, v24
	v_lshl_add_u64 v[22:23], v[22:23], 3, v[14:15]
	flat_load_dwordx2 v[22:23], v[22:23]
	s_branch .LBB488_5
.LBB488_12:
	s_lshl_b64 s[0:1], s[30:31], 3
	s_waitcnt lgkmcnt(0)
	s_add_u32 s4, s4, s0
	v_add_u32_e32 v14, s27, v11
	s_addc_u32 s5, s5, s1
	v_add_u32_e32 v8, s26, v9
	v_ashrrev_i32_e32 v9, 31, v14
	v_mad_u64_u32 v[10:11], s[0:1], s28, v14, 0
	v_mul_lo_u32 v9, s28, v9
	v_mul_lo_u32 v12, s29, v14
	v_cmp_neq_f64_e64 s[0:1], s[24:25], 0
	v_cmp_gt_i32_e64 s[2:3], s33, v14
	v_add3_u32 v11, v11, v9, v12
	v_cmp_le_i32_e32 vcc, v8, v14
	v_cndmask_b32_e64 v12, 0, 1, s[0:1]
	v_lshl_add_u64 v[10:11], v[10:11], 3, s[4:5]
	s_and_b64 s[8:9], s[2:3], vcc
	v_ashrrev_i32_e32 v9, 31, v8
	v_cmp_ne_u32_e64 s[0:1], 1, v12
	s_and_saveexec_b64 s[6:7], s[8:9]
	s_cbranch_execz .LBB488_16
; %bb.13:
	v_mul_f64 v[6:7], s[10:11], v[6:7]
	s_and_b64 vcc, exec, s[0:1]
	v_lshl_add_u64 v[12:13], v[8:9], 3, v[10:11]
	s_cbranch_vccnz .LBB488_15
; %bb.14:
	flat_load_dwordx2 v[16:17], v[12:13]
	s_waitcnt vmcnt(0) lgkmcnt(0)
	v_fmac_f64_e32 v[6:7], s[24:25], v[16:17]
.LBB488_15:
	flat_store_dwordx2 v[12:13], v[6:7]
.LBB488_16:
	s_or_b64 exec, exec, s[6:7]
	v_add_u32_e32 v6, 16, v8
	v_cmp_le_i32_e32 vcc, v6, v14
	s_and_b64 s[6:7], s[2:3], vcc
	v_ashrrev_i32_e32 v7, 31, v6
	s_and_saveexec_b64 s[2:3], s[6:7]
	s_cbranch_execz .LBB488_20
; %bb.17:
	v_mul_f64 v[4:5], s[10:11], v[4:5]
	s_and_b64 vcc, exec, s[0:1]
	v_lshl_add_u64 v[10:11], v[6:7], 3, v[10:11]
	s_cbranch_vccnz .LBB488_19
; %bb.18:
	flat_load_dwordx2 v[12:13], v[10:11]
	s_waitcnt vmcnt(0) lgkmcnt(0)
	v_fmac_f64_e32 v[4:5], s[24:25], v[12:13]
.LBB488_19:
	flat_store_dwordx2 v[10:11], v[4:5]
.LBB488_20:
	s_or_b64 exec, exec, s[2:3]
	v_add_u32_e32 v10, 16, v14
	v_ashrrev_i32_e32 v4, 31, v10
	v_mul_lo_u32 v11, s28, v4
	v_mul_lo_u32 v12, s29, v10
	v_mad_u64_u32 v[4:5], s[6:7], s28, v10, 0
	v_cmp_gt_i32_e64 s[2:3], s33, v10
	v_add3_u32 v5, v5, v11, v12
	v_cmp_le_i32_e32 vcc, v8, v10
	v_lshl_add_u64 v[4:5], v[4:5], 3, s[4:5]
	s_and_b64 s[6:7], s[2:3], vcc
	s_and_saveexec_b64 s[4:5], s[6:7]
	s_cbranch_execz .LBB488_24
; %bb.21:
	v_mul_f64 v[2:3], s[10:11], v[2:3]
	s_and_b64 vcc, exec, s[0:1]
	v_lshl_add_u64 v[8:9], v[8:9], 3, v[4:5]
	s_cbranch_vccnz .LBB488_23
; %bb.22:
	flat_load_dwordx2 v[12:13], v[8:9]
	s_waitcnt vmcnt(0) lgkmcnt(0)
	v_fmac_f64_e32 v[2:3], s[24:25], v[12:13]
.LBB488_23:
	flat_store_dwordx2 v[8:9], v[2:3]
.LBB488_24:
	s_or_b64 exec, exec, s[4:5]
	v_cmp_le_i32_e32 vcc, v6, v10
	s_and_b64 s[2:3], s[2:3], vcc
	s_and_saveexec_b64 s[4:5], s[2:3]
	s_cbranch_execz .LBB488_28
; %bb.25:
	v_mul_f64 v[0:1], s[10:11], v[0:1]
	s_and_b64 vcc, exec, s[0:1]
	v_lshl_add_u64 v[2:3], v[6:7], 3, v[4:5]
	s_cbranch_vccnz .LBB488_27
; %bb.26:
	flat_load_dwordx2 v[4:5], v[2:3]
	s_waitcnt vmcnt(0) lgkmcnt(0)
	v_fmac_f64_e32 v[0:1], s[24:25], v[4:5]
.LBB488_27:
	flat_store_dwordx2 v[2:3], v[0:1]
.LBB488_28:
	s_endpgm
	.section	.rodata,"a",@progbits
	.p2align	6, 0x0
	.amdhsa_kernel _ZL29rocblas_internal_gemmt_kernelIlLi16ELi32ELi8ELc78ELc67ELc85ELb0ELb0EddPKPKdPKPdEviT_T9_T10_S7_lS9_S7_lS8_T11_S7_li
		.amdhsa_group_segment_fixed_size 4096
		.amdhsa_private_segment_fixed_size 0
		.amdhsa_kernarg_size 108
		.amdhsa_user_sgpr_count 2
		.amdhsa_user_sgpr_dispatch_ptr 0
		.amdhsa_user_sgpr_queue_ptr 0
		.amdhsa_user_sgpr_kernarg_segment_ptr 1
		.amdhsa_user_sgpr_dispatch_id 0
		.amdhsa_user_sgpr_kernarg_preload_length 0
		.amdhsa_user_sgpr_kernarg_preload_offset 0
		.amdhsa_user_sgpr_private_segment_size 0
		.amdhsa_uses_dynamic_stack 0
		.amdhsa_enable_private_segment 0
		.amdhsa_system_sgpr_workgroup_id_x 1
		.amdhsa_system_sgpr_workgroup_id_y 1
		.amdhsa_system_sgpr_workgroup_id_z 1
		.amdhsa_system_sgpr_workgroup_info 0
		.amdhsa_system_vgpr_workitem_id 1
		.amdhsa_next_free_vgpr 54
		.amdhsa_next_free_sgpr 36
		.amdhsa_accum_offset 56
		.amdhsa_reserve_vcc 1
		.amdhsa_float_round_mode_32 0
		.amdhsa_float_round_mode_16_64 0
		.amdhsa_float_denorm_mode_32 3
		.amdhsa_float_denorm_mode_16_64 3
		.amdhsa_dx10_clamp 1
		.amdhsa_ieee_mode 1
		.amdhsa_fp16_overflow 0
		.amdhsa_tg_split 0
		.amdhsa_exception_fp_ieee_invalid_op 0
		.amdhsa_exception_fp_denorm_src 0
		.amdhsa_exception_fp_ieee_div_zero 0
		.amdhsa_exception_fp_ieee_overflow 0
		.amdhsa_exception_fp_ieee_underflow 0
		.amdhsa_exception_fp_ieee_inexact 0
		.amdhsa_exception_int_div_zero 0
	.end_amdhsa_kernel
	.section	.text._ZL29rocblas_internal_gemmt_kernelIlLi16ELi32ELi8ELc78ELc67ELc85ELb0ELb0EddPKPKdPKPdEviT_T9_T10_S7_lS9_S7_lS8_T11_S7_li,"axG",@progbits,_ZL29rocblas_internal_gemmt_kernelIlLi16ELi32ELi8ELc78ELc67ELc85ELb0ELb0EddPKPKdPKPdEviT_T9_T10_S7_lS9_S7_lS8_T11_S7_li,comdat
.Lfunc_end488:
	.size	_ZL29rocblas_internal_gemmt_kernelIlLi16ELi32ELi8ELc78ELc67ELc85ELb0ELb0EddPKPKdPKPdEviT_T9_T10_S7_lS9_S7_lS8_T11_S7_li, .Lfunc_end488-_ZL29rocblas_internal_gemmt_kernelIlLi16ELi32ELi8ELc78ELc67ELc85ELb0ELb0EddPKPKdPKPdEviT_T9_T10_S7_lS9_S7_lS8_T11_S7_li
                                        ; -- End function
	.set _ZL29rocblas_internal_gemmt_kernelIlLi16ELi32ELi8ELc78ELc67ELc85ELb0ELb0EddPKPKdPKPdEviT_T9_T10_S7_lS9_S7_lS8_T11_S7_li.num_vgpr, 54
	.set _ZL29rocblas_internal_gemmt_kernelIlLi16ELi32ELi8ELc78ELc67ELc85ELb0ELb0EddPKPKdPKPdEviT_T9_T10_S7_lS9_S7_lS8_T11_S7_li.num_agpr, 0
	.set _ZL29rocblas_internal_gemmt_kernelIlLi16ELi32ELi8ELc78ELc67ELc85ELb0ELb0EddPKPKdPKPdEviT_T9_T10_S7_lS9_S7_lS8_T11_S7_li.numbered_sgpr, 36
	.set _ZL29rocblas_internal_gemmt_kernelIlLi16ELi32ELi8ELc78ELc67ELc85ELb0ELb0EddPKPKdPKPdEviT_T9_T10_S7_lS9_S7_lS8_T11_S7_li.num_named_barrier, 0
	.set _ZL29rocblas_internal_gemmt_kernelIlLi16ELi32ELi8ELc78ELc67ELc85ELb0ELb0EddPKPKdPKPdEviT_T9_T10_S7_lS9_S7_lS8_T11_S7_li.private_seg_size, 0
	.set _ZL29rocblas_internal_gemmt_kernelIlLi16ELi32ELi8ELc78ELc67ELc85ELb0ELb0EddPKPKdPKPdEviT_T9_T10_S7_lS9_S7_lS8_T11_S7_li.uses_vcc, 1
	.set _ZL29rocblas_internal_gemmt_kernelIlLi16ELi32ELi8ELc78ELc67ELc85ELb0ELb0EddPKPKdPKPdEviT_T9_T10_S7_lS9_S7_lS8_T11_S7_li.uses_flat_scratch, 0
	.set _ZL29rocblas_internal_gemmt_kernelIlLi16ELi32ELi8ELc78ELc67ELc85ELb0ELb0EddPKPKdPKPdEviT_T9_T10_S7_lS9_S7_lS8_T11_S7_li.has_dyn_sized_stack, 0
	.set _ZL29rocblas_internal_gemmt_kernelIlLi16ELi32ELi8ELc78ELc67ELc85ELb0ELb0EddPKPKdPKPdEviT_T9_T10_S7_lS9_S7_lS8_T11_S7_li.has_recursion, 0
	.set _ZL29rocblas_internal_gemmt_kernelIlLi16ELi32ELi8ELc78ELc67ELc85ELb0ELb0EddPKPKdPKPdEviT_T9_T10_S7_lS9_S7_lS8_T11_S7_li.has_indirect_call, 0
	.section	.AMDGPU.csdata,"",@progbits
; Kernel info:
; codeLenInByte = 1324
; TotalNumSgprs: 42
; NumVgprs: 54
; NumAgprs: 0
; TotalNumVgprs: 54
; ScratchSize: 0
; MemoryBound: 0
; FloatMode: 240
; IeeeMode: 1
; LDSByteSize: 4096 bytes/workgroup (compile time only)
; SGPRBlocks: 5
; VGPRBlocks: 6
; NumSGPRsForWavesPerEU: 42
; NumVGPRsForWavesPerEU: 54
; AccumOffset: 56
; Occupancy: 8
; WaveLimiterHint : 1
; COMPUTE_PGM_RSRC2:SCRATCH_EN: 0
; COMPUTE_PGM_RSRC2:USER_SGPR: 2
; COMPUTE_PGM_RSRC2:TRAP_HANDLER: 0
; COMPUTE_PGM_RSRC2:TGID_X_EN: 1
; COMPUTE_PGM_RSRC2:TGID_Y_EN: 1
; COMPUTE_PGM_RSRC2:TGID_Z_EN: 1
; COMPUTE_PGM_RSRC2:TIDIG_COMP_CNT: 1
; COMPUTE_PGM_RSRC3_GFX90A:ACCUM_OFFSET: 13
; COMPUTE_PGM_RSRC3_GFX90A:TG_SPLIT: 0
	.section	.text._ZL29rocblas_internal_gemmt_kernelIlLi16ELi32ELi8ELc84ELc78ELc85ELb0ELb0EddPKPKdPKPdEviT_T9_T10_S7_lS9_S7_lS8_T11_S7_li,"axG",@progbits,_ZL29rocblas_internal_gemmt_kernelIlLi16ELi32ELi8ELc84ELc78ELc85ELb0ELb0EddPKPKdPKPdEviT_T9_T10_S7_lS9_S7_lS8_T11_S7_li,comdat
	.globl	_ZL29rocblas_internal_gemmt_kernelIlLi16ELi32ELi8ELc84ELc78ELc85ELb0ELb0EddPKPKdPKPdEviT_T9_T10_S7_lS9_S7_lS8_T11_S7_li ; -- Begin function _ZL29rocblas_internal_gemmt_kernelIlLi16ELi32ELi8ELc84ELc78ELc85ELb0ELb0EddPKPKdPKPdEviT_T9_T10_S7_lS9_S7_lS8_T11_S7_li
	.p2align	8
	.type	_ZL29rocblas_internal_gemmt_kernelIlLi16ELi32ELi8ELc84ELc78ELc85ELb0ELb0EddPKPKdPKPdEviT_T9_T10_S7_lS9_S7_lS8_T11_S7_li,@function
_ZL29rocblas_internal_gemmt_kernelIlLi16ELi32ELi8ELc84ELc78ELc85ELb0ELb0EddPKPKdPKPdEviT_T9_T10_S7_lS9_S7_lS8_T11_S7_li: ; @_ZL29rocblas_internal_gemmt_kernelIlLi16ELi32ELi8ELc84ELc78ELc85ELb0ELb0EddPKPKdPKPdEviT_T9_T10_S7_lS9_S7_lS8_T11_S7_li
; %bb.0:
	s_load_dwordx8 s[24:31], s[0:1], 0x48
	s_load_dwordx16 s[8:23], s[0:1], 0x8
	s_waitcnt lgkmcnt(0)
	v_cmp_neq_f64_e64 s[6:7], s[24:25], 1.0
	s_and_b64 vcc, exec, s[6:7]
	s_cbranch_vccnz .LBB489_2
; %bb.1:
	s_cmp_lg_u64 s[8:9], 0
	s_cselect_b64 s[6:7], -1, 0
	v_cmp_neq_f64_e64 s[34:35], s[10:11], 0
	s_and_b64 s[6:7], s[6:7], s[34:35]
.LBB489_2:
	s_andn2_b64 vcc, exec, s[6:7]
	s_cbranch_vccnz .LBB489_28
; %bb.3:
	s_mov_b32 s5, 0
	s_load_dword s33, s[0:1], 0x0
	s_lshl_b64 s[0:1], s[4:5], 3
	s_add_u32 s4, s26, s0
	s_addc_u32 s5, s27, s1
	s_load_dwordx2 s[4:5], s[4:5], 0x0
	s_lshl_b32 s26, s2, 5
	s_lshl_b32 s27, s3, 5
	v_cmp_eq_f64_e64 s[2:3], s[10:11], 0
	v_cmp_lt_i64_e64 s[6:7], s[8:9], 1
	s_or_b64 s[2:3], s[2:3], s[6:7]
	v_and_b32_e32 v9, 0x3ff, v0
	v_bfe_u32 v11, v0, 10, 10
	v_mov_b64_e32 v[6:7], 0
	s_and_b64 vcc, exec, s[2:3]
	v_mov_b64_e32 v[4:5], 0
	v_mov_b64_e32 v[2:3], 0
	v_mov_b64_e32 v[0:1], 0
	s_cbranch_vccnz .LBB489_12
; %bb.4:
	s_add_u32 s2, s18, s0
	s_addc_u32 s3, s19, s1
	s_load_dwordx2 s[2:3], s[2:3], 0x0
	s_lshl_b64 s[6:7], s[22:23], 3
	v_lshl_add_u32 v0, v11, 4, v9
	v_lshrrev_b32_e32 v10, 5, v0
	v_lshrrev_b32_e32 v2, 3, v0
	s_waitcnt lgkmcnt(0)
	s_add_u32 s6, s2, s6
	s_addc_u32 s7, s3, s7
	s_add_u32 s0, s12, s0
	s_addc_u32 s1, s13, s1
	s_load_dwordx2 s[0:1], s[0:1], 0x0
	v_and_b32_e32 v0, 31, v0
	s_lshl_b64 s[2:3], s[16:17], 3
	v_or_b32_e32 v1, s26, v0
	v_lshlrev_b32_e32 v0, 3, v0
	s_waitcnt lgkmcnt(0)
	s_add_u32 s2, s0, s2
	s_addc_u32 s3, s1, s3
	v_cmp_gt_i32_e64 s[0:1], s33, v1
	v_lshl_or_b32 v18, v10, 8, v0
	s_ashr_i32 s16, s26, 31
	v_mul_lo_u32 v4, s15, v1
	v_mad_u64_u32 v[0:1], s[12:13], s14, v1, 0
	s_mul_i32 s12, s14, s16
	v_and_b32_e32 v8, 7, v9
	v_add3_u32 v1, v1, s12, v4
	v_lshl_add_u64 v[12:13], v[0:1], 3, s[2:3]
	v_lshlrev_b32_e32 v0, 3, v8
	v_add_u32_e32 v3, s27, v2
	v_lshl_or_b32 v0, v2, 6, v0
	v_add_u32_e32 v19, 0x800, v0
	v_ashrrev_i32_e32 v0, 31, v3
	v_mul_lo_u32 v2, s20, v0
	v_mul_lo_u32 v4, s21, v3
	v_mad_u64_u32 v[0:1], s[12:13], s20, v3, 0
	v_add3_u32 v1, v1, v2, v4
	v_lshl_add_u64 v[14:15], v[0:1], 3, s[6:7]
	v_mov_b32_e32 v0, 0x800
	v_cmp_gt_i32_e64 s[2:3], s33, v3
	v_lshlrev_b32_e32 v20, 3, v9
	v_lshl_add_u32 v21, v11, 6, v0
	v_mov_b32_e32 v17, 0
	v_mov_b64_e32 v[0:1], 0
	s_mov_b64 s[6:7], 0
	v_mov_b64_e32 v[2:3], 0
	v_mov_b64_e32 v[4:5], 0
	;; [unrolled: 1-line block ×3, first 2 shown]
	s_branch .LBB489_6
.LBB489_5:                              ;   in Loop: Header=BB489_6 Depth=1
	s_or_b64 exec, exec, s[12:13]
	s_waitcnt vmcnt(0) lgkmcnt(0)
	ds_write_b64 v19, v[22:23]
	s_waitcnt lgkmcnt(0)
	s_barrier
	ds_read2_b64 v[22:25], v20 offset1:16
	ds_read_b128 v[26:29], v21
	ds_read_b128 v[30:33], v21 offset:16
	ds_read_b128 v[34:37], v21 offset:32
	;; [unrolled: 1-line block ×4, first 2 shown]
	ds_read2_b64 v[46:49], v20 offset0:32 offset1:48
	s_waitcnt lgkmcnt(5)
	v_fmac_f64_e32 v[6:7], v[22:23], v[26:27]
	v_fmac_f64_e32 v[4:5], v[24:25], v[26:27]
	ds_read_b128 v[50:53], v21 offset:1040
	s_waitcnt lgkmcnt(2)
	v_fmac_f64_e32 v[2:3], v[22:23], v[42:43]
	v_fmac_f64_e32 v[0:1], v[24:25], v[42:43]
	ds_read2_b64 v[22:25], v20 offset0:64 offset1:80
	s_waitcnt lgkmcnt(2)
	v_fmac_f64_e32 v[6:7], v[46:47], v[28:29]
	v_fmac_f64_e32 v[4:5], v[48:49], v[28:29]
	ds_read2_b64 v[26:29], v20 offset0:96 offset1:112
	v_fmac_f64_e32 v[2:3], v[46:47], v[44:45]
	v_fmac_f64_e32 v[0:1], v[48:49], v[44:45]
	s_waitcnt lgkmcnt(1)
	v_fmac_f64_e32 v[6:7], v[22:23], v[30:31]
	v_fmac_f64_e32 v[4:5], v[24:25], v[30:31]
	ds_read_b128 v[42:45], v21 offset:1072
	v_fmac_f64_e32 v[2:3], v[22:23], v[50:51]
	v_fmac_f64_e32 v[0:1], v[24:25], v[50:51]
	s_waitcnt lgkmcnt(1)
	v_fmac_f64_e32 v[6:7], v[26:27], v[32:33]
	ds_read2_b64 v[22:25], v20 offset0:128 offset1:144
	v_fmac_f64_e32 v[4:5], v[28:29], v[32:33]
	v_fmac_f64_e32 v[2:3], v[26:27], v[52:53]
	;; [unrolled: 1-line block ×3, first 2 shown]
	ds_read_b128 v[26:29], v21 offset:1056
	ds_read2_b64 v[30:33], v20 offset0:160 offset1:176
	s_waitcnt lgkmcnt(2)
	v_fmac_f64_e32 v[6:7], v[22:23], v[34:35]
	v_fmac_f64_e32 v[4:5], v[24:25], v[34:35]
	s_add_u32 s6, s6, 8
	s_waitcnt lgkmcnt(1)
	v_fmac_f64_e32 v[2:3], v[22:23], v[26:27]
	v_fmac_f64_e32 v[0:1], v[24:25], v[26:27]
	ds_read2_b64 v[22:25], v20 offset0:192 offset1:208
	s_waitcnt lgkmcnt(1)
	v_fmac_f64_e32 v[2:3], v[30:31], v[28:29]
	v_fmac_f64_e32 v[0:1], v[32:33], v[28:29]
	ds_read2_b64 v[26:29], v20 offset0:224 offset1:240
	v_fmac_f64_e32 v[6:7], v[30:31], v[36:37]
	s_addc_u32 s7, s7, 0
	v_fmac_f64_e32 v[4:5], v[32:33], v[36:37]
	s_waitcnt lgkmcnt(1)
	v_fmac_f64_e32 v[6:7], v[22:23], v[38:39]
	v_fmac_f64_e32 v[2:3], v[22:23], v[42:43]
	v_mov_b64_e32 v[22:23], s[6:7]
	v_fmac_f64_e32 v[4:5], v[24:25], v[38:39]
	v_fmac_f64_e32 v[0:1], v[24:25], v[42:43]
	v_cmp_gt_i64_e32 vcc, s[8:9], v[22:23]
	s_waitcnt lgkmcnt(0)
	v_fmac_f64_e32 v[6:7], v[26:27], v[40:41]
	v_fmac_f64_e32 v[4:5], v[28:29], v[40:41]
	;; [unrolled: 1-line block ×4, first 2 shown]
	s_barrier
	s_cbranch_vccz .LBB489_12
.LBB489_6:                              ; =>This Inner Loop Header: Depth=1
	v_mov_b64_e32 v[22:23], 0
	s_and_saveexec_b64 s[12:13], s[0:1]
	s_cbranch_execz .LBB489_10
; %bb.7:                                ;   in Loop: Header=BB489_6 Depth=1
	v_add_u32_e32 v16, s6, v10
	v_cmp_gt_u64_e32 vcc, s[8:9], v[16:17]
	v_mov_b64_e32 v[22:23], 0
	s_and_saveexec_b64 s[14:15], vcc
	s_cbranch_execz .LBB489_9
; %bb.8:                                ;   in Loop: Header=BB489_6 Depth=1
	v_lshl_add_u64 v[22:23], v[16:17], 3, v[12:13]
	flat_load_dwordx2 v[22:23], v[22:23]
.LBB489_9:                              ;   in Loop: Header=BB489_6 Depth=1
	s_or_b64 exec, exec, s[14:15]
.LBB489_10:                             ;   in Loop: Header=BB489_6 Depth=1
	s_or_b64 exec, exec, s[12:13]
	v_add_u32_e32 v16, s6, v8
	v_cmp_gt_u64_e32 vcc, s[8:9], v[16:17]
	s_waitcnt vmcnt(0) lgkmcnt(0)
	ds_write_b64 v18, v[22:23]
	s_and_b64 s[14:15], vcc, s[2:3]
	v_mov_b64_e32 v[22:23], 0
	s_and_saveexec_b64 s[12:13], s[14:15]
	s_cbranch_execz .LBB489_5
; %bb.11:                               ;   in Loop: Header=BB489_6 Depth=1
	v_lshl_add_u64 v[22:23], v[16:17], 3, v[14:15]
	flat_load_dwordx2 v[22:23], v[22:23]
	s_branch .LBB489_5
.LBB489_12:
	s_lshl_b64 s[0:1], s[30:31], 3
	s_waitcnt lgkmcnt(0)
	s_add_u32 s4, s4, s0
	v_add_u32_e32 v14, s27, v11
	s_addc_u32 s5, s5, s1
	v_add_u32_e32 v8, s26, v9
	v_ashrrev_i32_e32 v9, 31, v14
	v_mad_u64_u32 v[10:11], s[0:1], s28, v14, 0
	v_mul_lo_u32 v9, s28, v9
	v_mul_lo_u32 v12, s29, v14
	v_cmp_neq_f64_e64 s[0:1], s[24:25], 0
	v_cmp_gt_i32_e64 s[2:3], s33, v14
	v_add3_u32 v11, v11, v9, v12
	v_cmp_le_i32_e32 vcc, v8, v14
	v_cndmask_b32_e64 v12, 0, 1, s[0:1]
	v_lshl_add_u64 v[10:11], v[10:11], 3, s[4:5]
	s_and_b64 s[8:9], s[2:3], vcc
	v_ashrrev_i32_e32 v9, 31, v8
	v_cmp_ne_u32_e64 s[0:1], 1, v12
	s_and_saveexec_b64 s[6:7], s[8:9]
	s_cbranch_execz .LBB489_16
; %bb.13:
	v_mul_f64 v[6:7], s[10:11], v[6:7]
	s_and_b64 vcc, exec, s[0:1]
	v_lshl_add_u64 v[12:13], v[8:9], 3, v[10:11]
	s_cbranch_vccnz .LBB489_15
; %bb.14:
	flat_load_dwordx2 v[16:17], v[12:13]
	s_waitcnt vmcnt(0) lgkmcnt(0)
	v_fmac_f64_e32 v[6:7], s[24:25], v[16:17]
.LBB489_15:
	flat_store_dwordx2 v[12:13], v[6:7]
.LBB489_16:
	s_or_b64 exec, exec, s[6:7]
	v_add_u32_e32 v6, 16, v8
	v_cmp_le_i32_e32 vcc, v6, v14
	s_and_b64 s[6:7], s[2:3], vcc
	v_ashrrev_i32_e32 v7, 31, v6
	s_and_saveexec_b64 s[2:3], s[6:7]
	s_cbranch_execz .LBB489_20
; %bb.17:
	v_mul_f64 v[4:5], s[10:11], v[4:5]
	s_and_b64 vcc, exec, s[0:1]
	v_lshl_add_u64 v[10:11], v[6:7], 3, v[10:11]
	s_cbranch_vccnz .LBB489_19
; %bb.18:
	flat_load_dwordx2 v[12:13], v[10:11]
	s_waitcnt vmcnt(0) lgkmcnt(0)
	v_fmac_f64_e32 v[4:5], s[24:25], v[12:13]
.LBB489_19:
	flat_store_dwordx2 v[10:11], v[4:5]
.LBB489_20:
	s_or_b64 exec, exec, s[2:3]
	v_add_u32_e32 v10, 16, v14
	v_ashrrev_i32_e32 v4, 31, v10
	v_mul_lo_u32 v11, s28, v4
	v_mul_lo_u32 v12, s29, v10
	v_mad_u64_u32 v[4:5], s[6:7], s28, v10, 0
	v_cmp_gt_i32_e64 s[2:3], s33, v10
	v_add3_u32 v5, v5, v11, v12
	v_cmp_le_i32_e32 vcc, v8, v10
	v_lshl_add_u64 v[4:5], v[4:5], 3, s[4:5]
	s_and_b64 s[6:7], s[2:3], vcc
	s_and_saveexec_b64 s[4:5], s[6:7]
	s_cbranch_execz .LBB489_24
; %bb.21:
	v_mul_f64 v[2:3], s[10:11], v[2:3]
	s_and_b64 vcc, exec, s[0:1]
	v_lshl_add_u64 v[8:9], v[8:9], 3, v[4:5]
	s_cbranch_vccnz .LBB489_23
; %bb.22:
	flat_load_dwordx2 v[12:13], v[8:9]
	s_waitcnt vmcnt(0) lgkmcnt(0)
	v_fmac_f64_e32 v[2:3], s[24:25], v[12:13]
.LBB489_23:
	flat_store_dwordx2 v[8:9], v[2:3]
.LBB489_24:
	s_or_b64 exec, exec, s[4:5]
	v_cmp_le_i32_e32 vcc, v6, v10
	s_and_b64 s[2:3], s[2:3], vcc
	s_and_saveexec_b64 s[4:5], s[2:3]
	s_cbranch_execz .LBB489_28
; %bb.25:
	v_mul_f64 v[0:1], s[10:11], v[0:1]
	s_and_b64 vcc, exec, s[0:1]
	v_lshl_add_u64 v[2:3], v[6:7], 3, v[4:5]
	s_cbranch_vccnz .LBB489_27
; %bb.26:
	flat_load_dwordx2 v[4:5], v[2:3]
	s_waitcnt vmcnt(0) lgkmcnt(0)
	v_fmac_f64_e32 v[0:1], s[24:25], v[4:5]
.LBB489_27:
	flat_store_dwordx2 v[2:3], v[0:1]
.LBB489_28:
	s_endpgm
	.section	.rodata,"a",@progbits
	.p2align	6, 0x0
	.amdhsa_kernel _ZL29rocblas_internal_gemmt_kernelIlLi16ELi32ELi8ELc84ELc78ELc85ELb0ELb0EddPKPKdPKPdEviT_T9_T10_S7_lS9_S7_lS8_T11_S7_li
		.amdhsa_group_segment_fixed_size 4096
		.amdhsa_private_segment_fixed_size 0
		.amdhsa_kernarg_size 108
		.amdhsa_user_sgpr_count 2
		.amdhsa_user_sgpr_dispatch_ptr 0
		.amdhsa_user_sgpr_queue_ptr 0
		.amdhsa_user_sgpr_kernarg_segment_ptr 1
		.amdhsa_user_sgpr_dispatch_id 0
		.amdhsa_user_sgpr_kernarg_preload_length 0
		.amdhsa_user_sgpr_kernarg_preload_offset 0
		.amdhsa_user_sgpr_private_segment_size 0
		.amdhsa_uses_dynamic_stack 0
		.amdhsa_enable_private_segment 0
		.amdhsa_system_sgpr_workgroup_id_x 1
		.amdhsa_system_sgpr_workgroup_id_y 1
		.amdhsa_system_sgpr_workgroup_id_z 1
		.amdhsa_system_sgpr_workgroup_info 0
		.amdhsa_system_vgpr_workitem_id 1
		.amdhsa_next_free_vgpr 54
		.amdhsa_next_free_sgpr 36
		.amdhsa_accum_offset 56
		.amdhsa_reserve_vcc 1
		.amdhsa_float_round_mode_32 0
		.amdhsa_float_round_mode_16_64 0
		.amdhsa_float_denorm_mode_32 3
		.amdhsa_float_denorm_mode_16_64 3
		.amdhsa_dx10_clamp 1
		.amdhsa_ieee_mode 1
		.amdhsa_fp16_overflow 0
		.amdhsa_tg_split 0
		.amdhsa_exception_fp_ieee_invalid_op 0
		.amdhsa_exception_fp_denorm_src 0
		.amdhsa_exception_fp_ieee_div_zero 0
		.amdhsa_exception_fp_ieee_overflow 0
		.amdhsa_exception_fp_ieee_underflow 0
		.amdhsa_exception_fp_ieee_inexact 0
		.amdhsa_exception_int_div_zero 0
	.end_amdhsa_kernel
	.section	.text._ZL29rocblas_internal_gemmt_kernelIlLi16ELi32ELi8ELc84ELc78ELc85ELb0ELb0EddPKPKdPKPdEviT_T9_T10_S7_lS9_S7_lS8_T11_S7_li,"axG",@progbits,_ZL29rocblas_internal_gemmt_kernelIlLi16ELi32ELi8ELc84ELc78ELc85ELb0ELb0EddPKPKdPKPdEviT_T9_T10_S7_lS9_S7_lS8_T11_S7_li,comdat
.Lfunc_end489:
	.size	_ZL29rocblas_internal_gemmt_kernelIlLi16ELi32ELi8ELc84ELc78ELc85ELb0ELb0EddPKPKdPKPdEviT_T9_T10_S7_lS9_S7_lS8_T11_S7_li, .Lfunc_end489-_ZL29rocblas_internal_gemmt_kernelIlLi16ELi32ELi8ELc84ELc78ELc85ELb0ELb0EddPKPKdPKPdEviT_T9_T10_S7_lS9_S7_lS8_T11_S7_li
                                        ; -- End function
	.set _ZL29rocblas_internal_gemmt_kernelIlLi16ELi32ELi8ELc84ELc78ELc85ELb0ELb0EddPKPKdPKPdEviT_T9_T10_S7_lS9_S7_lS8_T11_S7_li.num_vgpr, 54
	.set _ZL29rocblas_internal_gemmt_kernelIlLi16ELi32ELi8ELc84ELc78ELc85ELb0ELb0EddPKPKdPKPdEviT_T9_T10_S7_lS9_S7_lS8_T11_S7_li.num_agpr, 0
	.set _ZL29rocblas_internal_gemmt_kernelIlLi16ELi32ELi8ELc84ELc78ELc85ELb0ELb0EddPKPKdPKPdEviT_T9_T10_S7_lS9_S7_lS8_T11_S7_li.numbered_sgpr, 36
	.set _ZL29rocblas_internal_gemmt_kernelIlLi16ELi32ELi8ELc84ELc78ELc85ELb0ELb0EddPKPKdPKPdEviT_T9_T10_S7_lS9_S7_lS8_T11_S7_li.num_named_barrier, 0
	.set _ZL29rocblas_internal_gemmt_kernelIlLi16ELi32ELi8ELc84ELc78ELc85ELb0ELb0EddPKPKdPKPdEviT_T9_T10_S7_lS9_S7_lS8_T11_S7_li.private_seg_size, 0
	.set _ZL29rocblas_internal_gemmt_kernelIlLi16ELi32ELi8ELc84ELc78ELc85ELb0ELb0EddPKPKdPKPdEviT_T9_T10_S7_lS9_S7_lS8_T11_S7_li.uses_vcc, 1
	.set _ZL29rocblas_internal_gemmt_kernelIlLi16ELi32ELi8ELc84ELc78ELc85ELb0ELb0EddPKPKdPKPdEviT_T9_T10_S7_lS9_S7_lS8_T11_S7_li.uses_flat_scratch, 0
	.set _ZL29rocblas_internal_gemmt_kernelIlLi16ELi32ELi8ELc84ELc78ELc85ELb0ELb0EddPKPKdPKPdEviT_T9_T10_S7_lS9_S7_lS8_T11_S7_li.has_dyn_sized_stack, 0
	.set _ZL29rocblas_internal_gemmt_kernelIlLi16ELi32ELi8ELc84ELc78ELc85ELb0ELb0EddPKPKdPKPdEviT_T9_T10_S7_lS9_S7_lS8_T11_S7_li.has_recursion, 0
	.set _ZL29rocblas_internal_gemmt_kernelIlLi16ELi32ELi8ELc84ELc78ELc85ELb0ELb0EddPKPKdPKPdEviT_T9_T10_S7_lS9_S7_lS8_T11_S7_li.has_indirect_call, 0
	.section	.AMDGPU.csdata,"",@progbits
; Kernel info:
; codeLenInByte = 1336
; TotalNumSgprs: 42
; NumVgprs: 54
; NumAgprs: 0
; TotalNumVgprs: 54
; ScratchSize: 0
; MemoryBound: 0
; FloatMode: 240
; IeeeMode: 1
; LDSByteSize: 4096 bytes/workgroup (compile time only)
; SGPRBlocks: 5
; VGPRBlocks: 6
; NumSGPRsForWavesPerEU: 42
; NumVGPRsForWavesPerEU: 54
; AccumOffset: 56
; Occupancy: 8
; WaveLimiterHint : 1
; COMPUTE_PGM_RSRC2:SCRATCH_EN: 0
; COMPUTE_PGM_RSRC2:USER_SGPR: 2
; COMPUTE_PGM_RSRC2:TRAP_HANDLER: 0
; COMPUTE_PGM_RSRC2:TGID_X_EN: 1
; COMPUTE_PGM_RSRC2:TGID_Y_EN: 1
; COMPUTE_PGM_RSRC2:TGID_Z_EN: 1
; COMPUTE_PGM_RSRC2:TIDIG_COMP_CNT: 1
; COMPUTE_PGM_RSRC3_GFX90A:ACCUM_OFFSET: 13
; COMPUTE_PGM_RSRC3_GFX90A:TG_SPLIT: 0
	.section	.text._ZL29rocblas_internal_gemmt_kernelIlLi16ELi32ELi8ELc84ELc84ELc85ELb0ELb0EddPKPKdPKPdEviT_T9_T10_S7_lS9_S7_lS8_T11_S7_li,"axG",@progbits,_ZL29rocblas_internal_gemmt_kernelIlLi16ELi32ELi8ELc84ELc84ELc85ELb0ELb0EddPKPKdPKPdEviT_T9_T10_S7_lS9_S7_lS8_T11_S7_li,comdat
	.globl	_ZL29rocblas_internal_gemmt_kernelIlLi16ELi32ELi8ELc84ELc84ELc85ELb0ELb0EddPKPKdPKPdEviT_T9_T10_S7_lS9_S7_lS8_T11_S7_li ; -- Begin function _ZL29rocblas_internal_gemmt_kernelIlLi16ELi32ELi8ELc84ELc84ELc85ELb0ELb0EddPKPKdPKPdEviT_T9_T10_S7_lS9_S7_lS8_T11_S7_li
	.p2align	8
	.type	_ZL29rocblas_internal_gemmt_kernelIlLi16ELi32ELi8ELc84ELc84ELc85ELb0ELb0EddPKPKdPKPdEviT_T9_T10_S7_lS9_S7_lS8_T11_S7_li,@function
_ZL29rocblas_internal_gemmt_kernelIlLi16ELi32ELi8ELc84ELc84ELc85ELb0ELb0EddPKPKdPKPdEviT_T9_T10_S7_lS9_S7_lS8_T11_S7_li: ; @_ZL29rocblas_internal_gemmt_kernelIlLi16ELi32ELi8ELc84ELc84ELc85ELb0ELb0EddPKPKdPKPdEviT_T9_T10_S7_lS9_S7_lS8_T11_S7_li
; %bb.0:
	s_load_dwordx8 s[24:31], s[0:1], 0x48
	s_load_dwordx16 s[8:23], s[0:1], 0x8
	s_waitcnt lgkmcnt(0)
	v_cmp_neq_f64_e64 s[6:7], s[24:25], 1.0
	s_and_b64 vcc, exec, s[6:7]
	s_cbranch_vccnz .LBB490_2
; %bb.1:
	s_cmp_lg_u64 s[8:9], 0
	s_cselect_b64 s[6:7], -1, 0
	v_cmp_neq_f64_e64 s[34:35], s[10:11], 0
	s_and_b64 s[6:7], s[6:7], s[34:35]
.LBB490_2:
	s_andn2_b64 vcc, exec, s[6:7]
	s_cbranch_vccnz .LBB490_28
; %bb.3:
	s_mov_b32 s5, 0
	s_load_dword s33, s[0:1], 0x0
	s_lshl_b64 s[0:1], s[4:5], 3
	s_add_u32 s4, s26, s0
	s_addc_u32 s5, s27, s1
	s_load_dwordx2 s[4:5], s[4:5], 0x0
	s_lshl_b32 s26, s2, 5
	s_lshl_b32 s27, s3, 5
	v_cmp_eq_f64_e64 s[2:3], s[10:11], 0
	v_cmp_lt_i64_e64 s[6:7], s[8:9], 1
	s_or_b64 s[2:3], s[2:3], s[6:7]
	v_and_b32_e32 v9, 0x3ff, v0
	v_bfe_u32 v11, v0, 10, 10
	v_mov_b64_e32 v[6:7], 0
	s_and_b64 vcc, exec, s[2:3]
	v_mov_b64_e32 v[4:5], 0
	v_mov_b64_e32 v[2:3], 0
	;; [unrolled: 1-line block ×3, first 2 shown]
	s_cbranch_vccnz .LBB490_12
; %bb.4:
	s_add_u32 s2, s18, s0
	s_addc_u32 s3, s19, s1
	s_load_dwordx2 s[2:3], s[2:3], 0x0
	s_lshl_b64 s[6:7], s[22:23], 3
	v_lshl_add_u32 v1, v11, 4, v9
	v_lshrrev_b32_e32 v10, 5, v1
	v_lshrrev_b32_e32 v4, 3, v1
	s_waitcnt lgkmcnt(0)
	s_add_u32 s6, s2, s6
	s_addc_u32 s7, s3, s7
	s_add_u32 s0, s12, s0
	s_addc_u32 s1, s13, s1
	s_load_dwordx2 s[0:1], s[0:1], 0x0
	v_and_b32_e32 v1, 31, v1
	s_lshl_b64 s[2:3], s[16:17], 3
	v_or_b32_e32 v2, s26, v1
	v_lshlrev_b32_e32 v1, 3, v1
	s_waitcnt lgkmcnt(0)
	s_add_u32 s2, s0, s2
	s_addc_u32 s3, s1, s3
	v_cmp_gt_i32_e64 s[0:1], s33, v2
	v_lshl_or_b32 v18, v10, 8, v1
	s_ashr_i32 s16, s26, 31
	v_mul_lo_u32 v1, s15, v2
	v_mad_u64_u32 v[2:3], s[12:13], s14, v2, 0
	v_and_b32_e32 v8, 7, v9
	s_mul_i32 s12, s14, s16
	v_add3_u32 v3, v3, s12, v1
	v_lshlrev_b32_e32 v1, 3, v8
	v_add_u32_e32 v0, s27, v4
	v_lshl_or_b32 v1, v4, 6, v1
	v_add_u32_e32 v19, 0x800, v1
	v_ashrrev_i32_e32 v1, 31, v0
	v_lshl_add_u64 v[12:13], v[2:3], 3, s[2:3]
	v_cmp_gt_i32_e64 s[2:3], s33, v0
	v_lshl_add_u64 v[14:15], v[0:1], 3, s[6:7]
	v_mov_b32_e32 v0, 0x800
	v_lshlrev_b32_e32 v20, 3, v9
	v_lshl_add_u32 v21, v11, 6, v0
	v_mov_b32_e32 v17, 0
	v_mov_b64_e32 v[0:1], 0
	s_mov_b64 s[6:7], 0
	v_mov_b64_e32 v[2:3], 0
	v_mov_b64_e32 v[4:5], 0
	;; [unrolled: 1-line block ×3, first 2 shown]
	s_branch .LBB490_6
.LBB490_5:                              ;   in Loop: Header=BB490_6 Depth=1
	s_or_b64 exec, exec, s[12:13]
	s_waitcnt vmcnt(0) lgkmcnt(0)
	ds_write_b64 v19, v[22:23]
	s_waitcnt lgkmcnt(0)
	s_barrier
	ds_read2_b64 v[22:25], v20 offset1:16
	ds_read_b128 v[26:29], v21
	ds_read_b128 v[30:33], v21 offset:16
	ds_read_b128 v[34:37], v21 offset:32
	;; [unrolled: 1-line block ×4, first 2 shown]
	ds_read2_b64 v[46:49], v20 offset0:32 offset1:48
	s_waitcnt lgkmcnt(5)
	v_fmac_f64_e32 v[6:7], v[22:23], v[26:27]
	v_fmac_f64_e32 v[4:5], v[24:25], v[26:27]
	ds_read_b128 v[50:53], v21 offset:1040
	s_waitcnt lgkmcnt(2)
	v_fmac_f64_e32 v[2:3], v[22:23], v[42:43]
	v_fmac_f64_e32 v[0:1], v[24:25], v[42:43]
	ds_read2_b64 v[22:25], v20 offset0:64 offset1:80
	s_waitcnt lgkmcnt(2)
	v_fmac_f64_e32 v[6:7], v[46:47], v[28:29]
	v_fmac_f64_e32 v[4:5], v[48:49], v[28:29]
	ds_read2_b64 v[26:29], v20 offset0:96 offset1:112
	v_fmac_f64_e32 v[2:3], v[46:47], v[44:45]
	v_fmac_f64_e32 v[0:1], v[48:49], v[44:45]
	s_waitcnt lgkmcnt(1)
	v_fmac_f64_e32 v[6:7], v[22:23], v[30:31]
	v_fmac_f64_e32 v[4:5], v[24:25], v[30:31]
	ds_read_b128 v[42:45], v21 offset:1072
	v_fmac_f64_e32 v[2:3], v[22:23], v[50:51]
	v_fmac_f64_e32 v[0:1], v[24:25], v[50:51]
	s_waitcnt lgkmcnt(1)
	v_fmac_f64_e32 v[6:7], v[26:27], v[32:33]
	ds_read2_b64 v[22:25], v20 offset0:128 offset1:144
	v_fmac_f64_e32 v[4:5], v[28:29], v[32:33]
	v_fmac_f64_e32 v[2:3], v[26:27], v[52:53]
	;; [unrolled: 1-line block ×3, first 2 shown]
	ds_read_b128 v[26:29], v21 offset:1056
	ds_read2_b64 v[30:33], v20 offset0:160 offset1:176
	s_waitcnt lgkmcnt(2)
	v_fmac_f64_e32 v[6:7], v[22:23], v[34:35]
	v_fmac_f64_e32 v[4:5], v[24:25], v[34:35]
	s_add_u32 s6, s6, 8
	s_waitcnt lgkmcnt(1)
	v_fmac_f64_e32 v[2:3], v[22:23], v[26:27]
	v_fmac_f64_e32 v[0:1], v[24:25], v[26:27]
	ds_read2_b64 v[22:25], v20 offset0:192 offset1:208
	s_waitcnt lgkmcnt(1)
	v_fmac_f64_e32 v[2:3], v[30:31], v[28:29]
	v_fmac_f64_e32 v[0:1], v[32:33], v[28:29]
	ds_read2_b64 v[26:29], v20 offset0:224 offset1:240
	v_fmac_f64_e32 v[6:7], v[30:31], v[36:37]
	s_addc_u32 s7, s7, 0
	v_fmac_f64_e32 v[4:5], v[32:33], v[36:37]
	s_waitcnt lgkmcnt(1)
	v_fmac_f64_e32 v[6:7], v[22:23], v[38:39]
	v_fmac_f64_e32 v[2:3], v[22:23], v[42:43]
	v_mov_b64_e32 v[22:23], s[6:7]
	v_fmac_f64_e32 v[4:5], v[24:25], v[38:39]
	v_fmac_f64_e32 v[0:1], v[24:25], v[42:43]
	v_cmp_gt_i64_e32 vcc, s[8:9], v[22:23]
	s_waitcnt lgkmcnt(0)
	v_fmac_f64_e32 v[6:7], v[26:27], v[40:41]
	v_fmac_f64_e32 v[4:5], v[28:29], v[40:41]
	;; [unrolled: 1-line block ×4, first 2 shown]
	s_barrier
	s_cbranch_vccz .LBB490_12
.LBB490_6:                              ; =>This Inner Loop Header: Depth=1
	v_mov_b64_e32 v[22:23], 0
	s_and_saveexec_b64 s[12:13], s[0:1]
	s_cbranch_execz .LBB490_10
; %bb.7:                                ;   in Loop: Header=BB490_6 Depth=1
	v_add_u32_e32 v16, s6, v10
	v_cmp_gt_u64_e32 vcc, s[8:9], v[16:17]
	v_mov_b64_e32 v[22:23], 0
	s_and_saveexec_b64 s[14:15], vcc
	s_cbranch_execz .LBB490_9
; %bb.8:                                ;   in Loop: Header=BB490_6 Depth=1
	v_lshl_add_u64 v[22:23], v[16:17], 3, v[12:13]
	flat_load_dwordx2 v[22:23], v[22:23]
.LBB490_9:                              ;   in Loop: Header=BB490_6 Depth=1
	s_or_b64 exec, exec, s[14:15]
.LBB490_10:                             ;   in Loop: Header=BB490_6 Depth=1
	s_or_b64 exec, exec, s[12:13]
	v_add_u32_e32 v16, s6, v8
	v_cmp_gt_u64_e32 vcc, s[8:9], v[16:17]
	s_waitcnt vmcnt(0) lgkmcnt(0)
	ds_write_b64 v18, v[22:23]
	s_and_b64 s[14:15], vcc, s[2:3]
	v_mov_b64_e32 v[22:23], 0
	s_and_saveexec_b64 s[12:13], s[14:15]
	s_cbranch_execz .LBB490_5
; %bb.11:                               ;   in Loop: Header=BB490_6 Depth=1
	v_mad_u64_u32 v[22:23], s[14:15], s20, v16, 0
	v_mov_b32_e32 v24, v23
	v_mad_u64_u32 v[24:25], s[14:15], s21, v16, v[24:25]
	v_mov_b32_e32 v23, v24
	v_lshl_add_u64 v[22:23], v[22:23], 3, v[14:15]
	flat_load_dwordx2 v[22:23], v[22:23]
	s_branch .LBB490_5
.LBB490_12:
	s_lshl_b64 s[0:1], s[30:31], 3
	s_waitcnt lgkmcnt(0)
	s_add_u32 s4, s4, s0
	v_add_u32_e32 v14, s27, v11
	s_addc_u32 s5, s5, s1
	v_add_u32_e32 v8, s26, v9
	v_ashrrev_i32_e32 v9, 31, v14
	v_mad_u64_u32 v[10:11], s[0:1], s28, v14, 0
	v_mul_lo_u32 v9, s28, v9
	v_mul_lo_u32 v12, s29, v14
	v_cmp_neq_f64_e64 s[0:1], s[24:25], 0
	v_cmp_gt_i32_e64 s[2:3], s33, v14
	v_add3_u32 v11, v11, v9, v12
	v_cmp_le_i32_e32 vcc, v8, v14
	v_cndmask_b32_e64 v12, 0, 1, s[0:1]
	v_lshl_add_u64 v[10:11], v[10:11], 3, s[4:5]
	s_and_b64 s[8:9], s[2:3], vcc
	v_ashrrev_i32_e32 v9, 31, v8
	v_cmp_ne_u32_e64 s[0:1], 1, v12
	s_and_saveexec_b64 s[6:7], s[8:9]
	s_cbranch_execz .LBB490_16
; %bb.13:
	v_mul_f64 v[6:7], s[10:11], v[6:7]
	s_and_b64 vcc, exec, s[0:1]
	v_lshl_add_u64 v[12:13], v[8:9], 3, v[10:11]
	s_cbranch_vccnz .LBB490_15
; %bb.14:
	flat_load_dwordx2 v[16:17], v[12:13]
	s_waitcnt vmcnt(0) lgkmcnt(0)
	v_fmac_f64_e32 v[6:7], s[24:25], v[16:17]
.LBB490_15:
	flat_store_dwordx2 v[12:13], v[6:7]
.LBB490_16:
	s_or_b64 exec, exec, s[6:7]
	v_add_u32_e32 v6, 16, v8
	v_cmp_le_i32_e32 vcc, v6, v14
	s_and_b64 s[6:7], s[2:3], vcc
	v_ashrrev_i32_e32 v7, 31, v6
	s_and_saveexec_b64 s[2:3], s[6:7]
	s_cbranch_execz .LBB490_20
; %bb.17:
	v_mul_f64 v[4:5], s[10:11], v[4:5]
	s_and_b64 vcc, exec, s[0:1]
	v_lshl_add_u64 v[10:11], v[6:7], 3, v[10:11]
	s_cbranch_vccnz .LBB490_19
; %bb.18:
	flat_load_dwordx2 v[12:13], v[10:11]
	s_waitcnt vmcnt(0) lgkmcnt(0)
	v_fmac_f64_e32 v[4:5], s[24:25], v[12:13]
.LBB490_19:
	flat_store_dwordx2 v[10:11], v[4:5]
.LBB490_20:
	s_or_b64 exec, exec, s[2:3]
	v_add_u32_e32 v10, 16, v14
	v_ashrrev_i32_e32 v4, 31, v10
	v_mul_lo_u32 v11, s28, v4
	v_mul_lo_u32 v12, s29, v10
	v_mad_u64_u32 v[4:5], s[6:7], s28, v10, 0
	v_cmp_gt_i32_e64 s[2:3], s33, v10
	v_add3_u32 v5, v5, v11, v12
	v_cmp_le_i32_e32 vcc, v8, v10
	v_lshl_add_u64 v[4:5], v[4:5], 3, s[4:5]
	s_and_b64 s[6:7], s[2:3], vcc
	s_and_saveexec_b64 s[4:5], s[6:7]
	s_cbranch_execz .LBB490_24
; %bb.21:
	v_mul_f64 v[2:3], s[10:11], v[2:3]
	s_and_b64 vcc, exec, s[0:1]
	v_lshl_add_u64 v[8:9], v[8:9], 3, v[4:5]
	s_cbranch_vccnz .LBB490_23
; %bb.22:
	flat_load_dwordx2 v[12:13], v[8:9]
	s_waitcnt vmcnt(0) lgkmcnt(0)
	v_fmac_f64_e32 v[2:3], s[24:25], v[12:13]
.LBB490_23:
	flat_store_dwordx2 v[8:9], v[2:3]
.LBB490_24:
	s_or_b64 exec, exec, s[4:5]
	v_cmp_le_i32_e32 vcc, v6, v10
	s_and_b64 s[2:3], s[2:3], vcc
	s_and_saveexec_b64 s[4:5], s[2:3]
	s_cbranch_execz .LBB490_28
; %bb.25:
	v_mul_f64 v[0:1], s[10:11], v[0:1]
	s_and_b64 vcc, exec, s[0:1]
	v_lshl_add_u64 v[2:3], v[6:7], 3, v[4:5]
	s_cbranch_vccnz .LBB490_27
; %bb.26:
	flat_load_dwordx2 v[4:5], v[2:3]
	s_waitcnt vmcnt(0) lgkmcnt(0)
	v_fmac_f64_e32 v[0:1], s[24:25], v[4:5]
.LBB490_27:
	flat_store_dwordx2 v[2:3], v[0:1]
.LBB490_28:
	s_endpgm
	.section	.rodata,"a",@progbits
	.p2align	6, 0x0
	.amdhsa_kernel _ZL29rocblas_internal_gemmt_kernelIlLi16ELi32ELi8ELc84ELc84ELc85ELb0ELb0EddPKPKdPKPdEviT_T9_T10_S7_lS9_S7_lS8_T11_S7_li
		.amdhsa_group_segment_fixed_size 4096
		.amdhsa_private_segment_fixed_size 0
		.amdhsa_kernarg_size 108
		.amdhsa_user_sgpr_count 2
		.amdhsa_user_sgpr_dispatch_ptr 0
		.amdhsa_user_sgpr_queue_ptr 0
		.amdhsa_user_sgpr_kernarg_segment_ptr 1
		.amdhsa_user_sgpr_dispatch_id 0
		.amdhsa_user_sgpr_kernarg_preload_length 0
		.amdhsa_user_sgpr_kernarg_preload_offset 0
		.amdhsa_user_sgpr_private_segment_size 0
		.amdhsa_uses_dynamic_stack 0
		.amdhsa_enable_private_segment 0
		.amdhsa_system_sgpr_workgroup_id_x 1
		.amdhsa_system_sgpr_workgroup_id_y 1
		.amdhsa_system_sgpr_workgroup_id_z 1
		.amdhsa_system_sgpr_workgroup_info 0
		.amdhsa_system_vgpr_workitem_id 1
		.amdhsa_next_free_vgpr 54
		.amdhsa_next_free_sgpr 36
		.amdhsa_accum_offset 56
		.amdhsa_reserve_vcc 1
		.amdhsa_float_round_mode_32 0
		.amdhsa_float_round_mode_16_64 0
		.amdhsa_float_denorm_mode_32 3
		.amdhsa_float_denorm_mode_16_64 3
		.amdhsa_dx10_clamp 1
		.amdhsa_ieee_mode 1
		.amdhsa_fp16_overflow 0
		.amdhsa_tg_split 0
		.amdhsa_exception_fp_ieee_invalid_op 0
		.amdhsa_exception_fp_denorm_src 0
		.amdhsa_exception_fp_ieee_div_zero 0
		.amdhsa_exception_fp_ieee_overflow 0
		.amdhsa_exception_fp_ieee_underflow 0
		.amdhsa_exception_fp_ieee_inexact 0
		.amdhsa_exception_int_div_zero 0
	.end_amdhsa_kernel
	.section	.text._ZL29rocblas_internal_gemmt_kernelIlLi16ELi32ELi8ELc84ELc84ELc85ELb0ELb0EddPKPKdPKPdEviT_T9_T10_S7_lS9_S7_lS8_T11_S7_li,"axG",@progbits,_ZL29rocblas_internal_gemmt_kernelIlLi16ELi32ELi8ELc84ELc84ELc85ELb0ELb0EddPKPKdPKPdEviT_T9_T10_S7_lS9_S7_lS8_T11_S7_li,comdat
.Lfunc_end490:
	.size	_ZL29rocblas_internal_gemmt_kernelIlLi16ELi32ELi8ELc84ELc84ELc85ELb0ELb0EddPKPKdPKPdEviT_T9_T10_S7_lS9_S7_lS8_T11_S7_li, .Lfunc_end490-_ZL29rocblas_internal_gemmt_kernelIlLi16ELi32ELi8ELc84ELc84ELc85ELb0ELb0EddPKPKdPKPdEviT_T9_T10_S7_lS9_S7_lS8_T11_S7_li
                                        ; -- End function
	.set _ZL29rocblas_internal_gemmt_kernelIlLi16ELi32ELi8ELc84ELc84ELc85ELb0ELb0EddPKPKdPKPdEviT_T9_T10_S7_lS9_S7_lS8_T11_S7_li.num_vgpr, 54
	.set _ZL29rocblas_internal_gemmt_kernelIlLi16ELi32ELi8ELc84ELc84ELc85ELb0ELb0EddPKPKdPKPdEviT_T9_T10_S7_lS9_S7_lS8_T11_S7_li.num_agpr, 0
	.set _ZL29rocblas_internal_gemmt_kernelIlLi16ELi32ELi8ELc84ELc84ELc85ELb0ELb0EddPKPKdPKPdEviT_T9_T10_S7_lS9_S7_lS8_T11_S7_li.numbered_sgpr, 36
	.set _ZL29rocblas_internal_gemmt_kernelIlLi16ELi32ELi8ELc84ELc84ELc85ELb0ELb0EddPKPKdPKPdEviT_T9_T10_S7_lS9_S7_lS8_T11_S7_li.num_named_barrier, 0
	.set _ZL29rocblas_internal_gemmt_kernelIlLi16ELi32ELi8ELc84ELc84ELc85ELb0ELb0EddPKPKdPKPdEviT_T9_T10_S7_lS9_S7_lS8_T11_S7_li.private_seg_size, 0
	.set _ZL29rocblas_internal_gemmt_kernelIlLi16ELi32ELi8ELc84ELc84ELc85ELb0ELb0EddPKPKdPKPdEviT_T9_T10_S7_lS9_S7_lS8_T11_S7_li.uses_vcc, 1
	.set _ZL29rocblas_internal_gemmt_kernelIlLi16ELi32ELi8ELc84ELc84ELc85ELb0ELb0EddPKPKdPKPdEviT_T9_T10_S7_lS9_S7_lS8_T11_S7_li.uses_flat_scratch, 0
	.set _ZL29rocblas_internal_gemmt_kernelIlLi16ELi32ELi8ELc84ELc84ELc85ELb0ELb0EddPKPKdPKPdEviT_T9_T10_S7_lS9_S7_lS8_T11_S7_li.has_dyn_sized_stack, 0
	.set _ZL29rocblas_internal_gemmt_kernelIlLi16ELi32ELi8ELc84ELc84ELc85ELb0ELb0EddPKPKdPKPdEviT_T9_T10_S7_lS9_S7_lS8_T11_S7_li.has_recursion, 0
	.set _ZL29rocblas_internal_gemmt_kernelIlLi16ELi32ELi8ELc84ELc84ELc85ELb0ELb0EddPKPKdPKPdEviT_T9_T10_S7_lS9_S7_lS8_T11_S7_li.has_indirect_call, 0
	.section	.AMDGPU.csdata,"",@progbits
; Kernel info:
; codeLenInByte = 1328
; TotalNumSgprs: 42
; NumVgprs: 54
; NumAgprs: 0
; TotalNumVgprs: 54
; ScratchSize: 0
; MemoryBound: 0
; FloatMode: 240
; IeeeMode: 1
; LDSByteSize: 4096 bytes/workgroup (compile time only)
; SGPRBlocks: 5
; VGPRBlocks: 6
; NumSGPRsForWavesPerEU: 42
; NumVGPRsForWavesPerEU: 54
; AccumOffset: 56
; Occupancy: 8
; WaveLimiterHint : 1
; COMPUTE_PGM_RSRC2:SCRATCH_EN: 0
; COMPUTE_PGM_RSRC2:USER_SGPR: 2
; COMPUTE_PGM_RSRC2:TRAP_HANDLER: 0
; COMPUTE_PGM_RSRC2:TGID_X_EN: 1
; COMPUTE_PGM_RSRC2:TGID_Y_EN: 1
; COMPUTE_PGM_RSRC2:TGID_Z_EN: 1
; COMPUTE_PGM_RSRC2:TIDIG_COMP_CNT: 1
; COMPUTE_PGM_RSRC3_GFX90A:ACCUM_OFFSET: 13
; COMPUTE_PGM_RSRC3_GFX90A:TG_SPLIT: 0
	.section	.text._ZL29rocblas_internal_gemmt_kernelIlLi16ELi32ELi8ELc84ELc67ELc85ELb0ELb0EddPKPKdPKPdEviT_T9_T10_S7_lS9_S7_lS8_T11_S7_li,"axG",@progbits,_ZL29rocblas_internal_gemmt_kernelIlLi16ELi32ELi8ELc84ELc67ELc85ELb0ELb0EddPKPKdPKPdEviT_T9_T10_S7_lS9_S7_lS8_T11_S7_li,comdat
	.globl	_ZL29rocblas_internal_gemmt_kernelIlLi16ELi32ELi8ELc84ELc67ELc85ELb0ELb0EddPKPKdPKPdEviT_T9_T10_S7_lS9_S7_lS8_T11_S7_li ; -- Begin function _ZL29rocblas_internal_gemmt_kernelIlLi16ELi32ELi8ELc84ELc67ELc85ELb0ELb0EddPKPKdPKPdEviT_T9_T10_S7_lS9_S7_lS8_T11_S7_li
	.p2align	8
	.type	_ZL29rocblas_internal_gemmt_kernelIlLi16ELi32ELi8ELc84ELc67ELc85ELb0ELb0EddPKPKdPKPdEviT_T9_T10_S7_lS9_S7_lS8_T11_S7_li,@function
_ZL29rocblas_internal_gemmt_kernelIlLi16ELi32ELi8ELc84ELc67ELc85ELb0ELb0EddPKPKdPKPdEviT_T9_T10_S7_lS9_S7_lS8_T11_S7_li: ; @_ZL29rocblas_internal_gemmt_kernelIlLi16ELi32ELi8ELc84ELc67ELc85ELb0ELb0EddPKPKdPKPdEviT_T9_T10_S7_lS9_S7_lS8_T11_S7_li
; %bb.0:
	s_load_dwordx8 s[24:31], s[0:1], 0x48
	s_load_dwordx16 s[8:23], s[0:1], 0x8
	s_waitcnt lgkmcnt(0)
	v_cmp_neq_f64_e64 s[6:7], s[24:25], 1.0
	s_and_b64 vcc, exec, s[6:7]
	s_cbranch_vccnz .LBB491_2
; %bb.1:
	s_cmp_lg_u64 s[8:9], 0
	s_cselect_b64 s[6:7], -1, 0
	v_cmp_neq_f64_e64 s[34:35], s[10:11], 0
	s_and_b64 s[6:7], s[6:7], s[34:35]
.LBB491_2:
	s_andn2_b64 vcc, exec, s[6:7]
	s_cbranch_vccnz .LBB491_28
; %bb.3:
	s_mov_b32 s5, 0
	s_load_dword s33, s[0:1], 0x0
	s_lshl_b64 s[0:1], s[4:5], 3
	s_add_u32 s4, s26, s0
	s_addc_u32 s5, s27, s1
	s_load_dwordx2 s[4:5], s[4:5], 0x0
	s_lshl_b32 s26, s2, 5
	s_lshl_b32 s27, s3, 5
	v_cmp_eq_f64_e64 s[2:3], s[10:11], 0
	v_cmp_lt_i64_e64 s[6:7], s[8:9], 1
	s_or_b64 s[2:3], s[2:3], s[6:7]
	v_and_b32_e32 v9, 0x3ff, v0
	v_bfe_u32 v11, v0, 10, 10
	v_mov_b64_e32 v[6:7], 0
	s_and_b64 vcc, exec, s[2:3]
	v_mov_b64_e32 v[4:5], 0
	v_mov_b64_e32 v[2:3], 0
	;; [unrolled: 1-line block ×3, first 2 shown]
	s_cbranch_vccnz .LBB491_12
; %bb.4:
	s_add_u32 s2, s18, s0
	s_addc_u32 s3, s19, s1
	s_load_dwordx2 s[2:3], s[2:3], 0x0
	s_lshl_b64 s[6:7], s[22:23], 3
	v_lshl_add_u32 v1, v11, 4, v9
	v_lshrrev_b32_e32 v10, 5, v1
	v_lshrrev_b32_e32 v4, 3, v1
	s_waitcnt lgkmcnt(0)
	s_add_u32 s6, s2, s6
	s_addc_u32 s7, s3, s7
	s_add_u32 s0, s12, s0
	s_addc_u32 s1, s13, s1
	s_load_dwordx2 s[0:1], s[0:1], 0x0
	v_and_b32_e32 v1, 31, v1
	s_lshl_b64 s[2:3], s[16:17], 3
	v_or_b32_e32 v2, s26, v1
	v_lshlrev_b32_e32 v1, 3, v1
	s_waitcnt lgkmcnt(0)
	s_add_u32 s2, s0, s2
	s_addc_u32 s3, s1, s3
	v_cmp_gt_i32_e64 s[0:1], s33, v2
	v_lshl_or_b32 v18, v10, 8, v1
	s_ashr_i32 s16, s26, 31
	v_mul_lo_u32 v1, s15, v2
	v_mad_u64_u32 v[2:3], s[12:13], s14, v2, 0
	v_and_b32_e32 v8, 7, v9
	s_mul_i32 s12, s14, s16
	v_add3_u32 v3, v3, s12, v1
	v_lshlrev_b32_e32 v1, 3, v8
	v_add_u32_e32 v0, s27, v4
	v_lshl_or_b32 v1, v4, 6, v1
	v_add_u32_e32 v19, 0x800, v1
	v_ashrrev_i32_e32 v1, 31, v0
	v_lshl_add_u64 v[12:13], v[2:3], 3, s[2:3]
	v_cmp_gt_i32_e64 s[2:3], s33, v0
	v_lshl_add_u64 v[14:15], v[0:1], 3, s[6:7]
	v_mov_b32_e32 v0, 0x800
	v_lshlrev_b32_e32 v20, 3, v9
	v_lshl_add_u32 v21, v11, 6, v0
	v_mov_b32_e32 v17, 0
	v_mov_b64_e32 v[0:1], 0
	s_mov_b64 s[6:7], 0
	v_mov_b64_e32 v[2:3], 0
	v_mov_b64_e32 v[4:5], 0
	;; [unrolled: 1-line block ×3, first 2 shown]
	s_branch .LBB491_6
.LBB491_5:                              ;   in Loop: Header=BB491_6 Depth=1
	s_or_b64 exec, exec, s[12:13]
	s_waitcnt vmcnt(0) lgkmcnt(0)
	ds_write_b64 v19, v[22:23]
	s_waitcnt lgkmcnt(0)
	s_barrier
	ds_read2_b64 v[22:25], v20 offset1:16
	ds_read_b128 v[26:29], v21
	ds_read_b128 v[30:33], v21 offset:16
	ds_read_b128 v[34:37], v21 offset:32
	;; [unrolled: 1-line block ×4, first 2 shown]
	ds_read2_b64 v[46:49], v20 offset0:32 offset1:48
	s_waitcnt lgkmcnt(5)
	v_fmac_f64_e32 v[6:7], v[22:23], v[26:27]
	v_fmac_f64_e32 v[4:5], v[24:25], v[26:27]
	ds_read_b128 v[50:53], v21 offset:1040
	s_waitcnt lgkmcnt(2)
	v_fmac_f64_e32 v[2:3], v[22:23], v[42:43]
	v_fmac_f64_e32 v[0:1], v[24:25], v[42:43]
	ds_read2_b64 v[22:25], v20 offset0:64 offset1:80
	s_waitcnt lgkmcnt(2)
	v_fmac_f64_e32 v[6:7], v[46:47], v[28:29]
	v_fmac_f64_e32 v[4:5], v[48:49], v[28:29]
	ds_read2_b64 v[26:29], v20 offset0:96 offset1:112
	v_fmac_f64_e32 v[2:3], v[46:47], v[44:45]
	v_fmac_f64_e32 v[0:1], v[48:49], v[44:45]
	s_waitcnt lgkmcnt(1)
	v_fmac_f64_e32 v[6:7], v[22:23], v[30:31]
	v_fmac_f64_e32 v[4:5], v[24:25], v[30:31]
	ds_read_b128 v[42:45], v21 offset:1072
	v_fmac_f64_e32 v[2:3], v[22:23], v[50:51]
	v_fmac_f64_e32 v[0:1], v[24:25], v[50:51]
	s_waitcnt lgkmcnt(1)
	v_fmac_f64_e32 v[6:7], v[26:27], v[32:33]
	ds_read2_b64 v[22:25], v20 offset0:128 offset1:144
	v_fmac_f64_e32 v[4:5], v[28:29], v[32:33]
	v_fmac_f64_e32 v[2:3], v[26:27], v[52:53]
	;; [unrolled: 1-line block ×3, first 2 shown]
	ds_read_b128 v[26:29], v21 offset:1056
	ds_read2_b64 v[30:33], v20 offset0:160 offset1:176
	s_waitcnt lgkmcnt(2)
	v_fmac_f64_e32 v[6:7], v[22:23], v[34:35]
	v_fmac_f64_e32 v[4:5], v[24:25], v[34:35]
	s_add_u32 s6, s6, 8
	s_waitcnt lgkmcnt(1)
	v_fmac_f64_e32 v[2:3], v[22:23], v[26:27]
	v_fmac_f64_e32 v[0:1], v[24:25], v[26:27]
	ds_read2_b64 v[22:25], v20 offset0:192 offset1:208
	s_waitcnt lgkmcnt(1)
	v_fmac_f64_e32 v[2:3], v[30:31], v[28:29]
	v_fmac_f64_e32 v[0:1], v[32:33], v[28:29]
	ds_read2_b64 v[26:29], v20 offset0:224 offset1:240
	v_fmac_f64_e32 v[6:7], v[30:31], v[36:37]
	s_addc_u32 s7, s7, 0
	v_fmac_f64_e32 v[4:5], v[32:33], v[36:37]
	s_waitcnt lgkmcnt(1)
	v_fmac_f64_e32 v[6:7], v[22:23], v[38:39]
	v_fmac_f64_e32 v[2:3], v[22:23], v[42:43]
	v_mov_b64_e32 v[22:23], s[6:7]
	v_fmac_f64_e32 v[4:5], v[24:25], v[38:39]
	v_fmac_f64_e32 v[0:1], v[24:25], v[42:43]
	v_cmp_gt_i64_e32 vcc, s[8:9], v[22:23]
	s_waitcnt lgkmcnt(0)
	v_fmac_f64_e32 v[6:7], v[26:27], v[40:41]
	v_fmac_f64_e32 v[4:5], v[28:29], v[40:41]
	;; [unrolled: 1-line block ×4, first 2 shown]
	s_barrier
	s_cbranch_vccz .LBB491_12
.LBB491_6:                              ; =>This Inner Loop Header: Depth=1
	v_mov_b64_e32 v[22:23], 0
	s_and_saveexec_b64 s[12:13], s[0:1]
	s_cbranch_execz .LBB491_10
; %bb.7:                                ;   in Loop: Header=BB491_6 Depth=1
	v_add_u32_e32 v16, s6, v10
	v_cmp_gt_u64_e32 vcc, s[8:9], v[16:17]
	v_mov_b64_e32 v[22:23], 0
	s_and_saveexec_b64 s[14:15], vcc
	s_cbranch_execz .LBB491_9
; %bb.8:                                ;   in Loop: Header=BB491_6 Depth=1
	v_lshl_add_u64 v[22:23], v[16:17], 3, v[12:13]
	flat_load_dwordx2 v[22:23], v[22:23]
.LBB491_9:                              ;   in Loop: Header=BB491_6 Depth=1
	s_or_b64 exec, exec, s[14:15]
.LBB491_10:                             ;   in Loop: Header=BB491_6 Depth=1
	s_or_b64 exec, exec, s[12:13]
	v_add_u32_e32 v16, s6, v8
	v_cmp_gt_u64_e32 vcc, s[8:9], v[16:17]
	s_waitcnt vmcnt(0) lgkmcnt(0)
	ds_write_b64 v18, v[22:23]
	s_and_b64 s[14:15], vcc, s[2:3]
	v_mov_b64_e32 v[22:23], 0
	s_and_saveexec_b64 s[12:13], s[14:15]
	s_cbranch_execz .LBB491_5
; %bb.11:                               ;   in Loop: Header=BB491_6 Depth=1
	v_mad_u64_u32 v[22:23], s[14:15], s20, v16, 0
	v_mov_b32_e32 v24, v23
	v_mad_u64_u32 v[24:25], s[14:15], s21, v16, v[24:25]
	v_mov_b32_e32 v23, v24
	v_lshl_add_u64 v[22:23], v[22:23], 3, v[14:15]
	flat_load_dwordx2 v[22:23], v[22:23]
	s_branch .LBB491_5
.LBB491_12:
	s_lshl_b64 s[0:1], s[30:31], 3
	s_waitcnt lgkmcnt(0)
	s_add_u32 s4, s4, s0
	v_add_u32_e32 v14, s27, v11
	s_addc_u32 s5, s5, s1
	v_add_u32_e32 v8, s26, v9
	v_ashrrev_i32_e32 v9, 31, v14
	v_mad_u64_u32 v[10:11], s[0:1], s28, v14, 0
	v_mul_lo_u32 v9, s28, v9
	v_mul_lo_u32 v12, s29, v14
	v_cmp_neq_f64_e64 s[0:1], s[24:25], 0
	v_cmp_gt_i32_e64 s[2:3], s33, v14
	v_add3_u32 v11, v11, v9, v12
	v_cmp_le_i32_e32 vcc, v8, v14
	v_cndmask_b32_e64 v12, 0, 1, s[0:1]
	v_lshl_add_u64 v[10:11], v[10:11], 3, s[4:5]
	s_and_b64 s[8:9], s[2:3], vcc
	v_ashrrev_i32_e32 v9, 31, v8
	v_cmp_ne_u32_e64 s[0:1], 1, v12
	s_and_saveexec_b64 s[6:7], s[8:9]
	s_cbranch_execz .LBB491_16
; %bb.13:
	v_mul_f64 v[6:7], s[10:11], v[6:7]
	s_and_b64 vcc, exec, s[0:1]
	v_lshl_add_u64 v[12:13], v[8:9], 3, v[10:11]
	s_cbranch_vccnz .LBB491_15
; %bb.14:
	flat_load_dwordx2 v[16:17], v[12:13]
	s_waitcnt vmcnt(0) lgkmcnt(0)
	v_fmac_f64_e32 v[6:7], s[24:25], v[16:17]
.LBB491_15:
	flat_store_dwordx2 v[12:13], v[6:7]
.LBB491_16:
	s_or_b64 exec, exec, s[6:7]
	v_add_u32_e32 v6, 16, v8
	v_cmp_le_i32_e32 vcc, v6, v14
	s_and_b64 s[6:7], s[2:3], vcc
	v_ashrrev_i32_e32 v7, 31, v6
	s_and_saveexec_b64 s[2:3], s[6:7]
	s_cbranch_execz .LBB491_20
; %bb.17:
	v_mul_f64 v[4:5], s[10:11], v[4:5]
	s_and_b64 vcc, exec, s[0:1]
	v_lshl_add_u64 v[10:11], v[6:7], 3, v[10:11]
	s_cbranch_vccnz .LBB491_19
; %bb.18:
	flat_load_dwordx2 v[12:13], v[10:11]
	s_waitcnt vmcnt(0) lgkmcnt(0)
	v_fmac_f64_e32 v[4:5], s[24:25], v[12:13]
.LBB491_19:
	flat_store_dwordx2 v[10:11], v[4:5]
.LBB491_20:
	s_or_b64 exec, exec, s[2:3]
	v_add_u32_e32 v10, 16, v14
	v_ashrrev_i32_e32 v4, 31, v10
	v_mul_lo_u32 v11, s28, v4
	v_mul_lo_u32 v12, s29, v10
	v_mad_u64_u32 v[4:5], s[6:7], s28, v10, 0
	v_cmp_gt_i32_e64 s[2:3], s33, v10
	v_add3_u32 v5, v5, v11, v12
	v_cmp_le_i32_e32 vcc, v8, v10
	v_lshl_add_u64 v[4:5], v[4:5], 3, s[4:5]
	s_and_b64 s[6:7], s[2:3], vcc
	s_and_saveexec_b64 s[4:5], s[6:7]
	s_cbranch_execz .LBB491_24
; %bb.21:
	v_mul_f64 v[2:3], s[10:11], v[2:3]
	s_and_b64 vcc, exec, s[0:1]
	v_lshl_add_u64 v[8:9], v[8:9], 3, v[4:5]
	s_cbranch_vccnz .LBB491_23
; %bb.22:
	flat_load_dwordx2 v[12:13], v[8:9]
	s_waitcnt vmcnt(0) lgkmcnt(0)
	v_fmac_f64_e32 v[2:3], s[24:25], v[12:13]
.LBB491_23:
	flat_store_dwordx2 v[8:9], v[2:3]
.LBB491_24:
	s_or_b64 exec, exec, s[4:5]
	v_cmp_le_i32_e32 vcc, v6, v10
	s_and_b64 s[2:3], s[2:3], vcc
	s_and_saveexec_b64 s[4:5], s[2:3]
	s_cbranch_execz .LBB491_28
; %bb.25:
	v_mul_f64 v[0:1], s[10:11], v[0:1]
	s_and_b64 vcc, exec, s[0:1]
	v_lshl_add_u64 v[2:3], v[6:7], 3, v[4:5]
	s_cbranch_vccnz .LBB491_27
; %bb.26:
	flat_load_dwordx2 v[4:5], v[2:3]
	s_waitcnt vmcnt(0) lgkmcnt(0)
	v_fmac_f64_e32 v[0:1], s[24:25], v[4:5]
.LBB491_27:
	flat_store_dwordx2 v[2:3], v[0:1]
.LBB491_28:
	s_endpgm
	.section	.rodata,"a",@progbits
	.p2align	6, 0x0
	.amdhsa_kernel _ZL29rocblas_internal_gemmt_kernelIlLi16ELi32ELi8ELc84ELc67ELc85ELb0ELb0EddPKPKdPKPdEviT_T9_T10_S7_lS9_S7_lS8_T11_S7_li
		.amdhsa_group_segment_fixed_size 4096
		.amdhsa_private_segment_fixed_size 0
		.amdhsa_kernarg_size 108
		.amdhsa_user_sgpr_count 2
		.amdhsa_user_sgpr_dispatch_ptr 0
		.amdhsa_user_sgpr_queue_ptr 0
		.amdhsa_user_sgpr_kernarg_segment_ptr 1
		.amdhsa_user_sgpr_dispatch_id 0
		.amdhsa_user_sgpr_kernarg_preload_length 0
		.amdhsa_user_sgpr_kernarg_preload_offset 0
		.amdhsa_user_sgpr_private_segment_size 0
		.amdhsa_uses_dynamic_stack 0
		.amdhsa_enable_private_segment 0
		.amdhsa_system_sgpr_workgroup_id_x 1
		.amdhsa_system_sgpr_workgroup_id_y 1
		.amdhsa_system_sgpr_workgroup_id_z 1
		.amdhsa_system_sgpr_workgroup_info 0
		.amdhsa_system_vgpr_workitem_id 1
		.amdhsa_next_free_vgpr 54
		.amdhsa_next_free_sgpr 36
		.amdhsa_accum_offset 56
		.amdhsa_reserve_vcc 1
		.amdhsa_float_round_mode_32 0
		.amdhsa_float_round_mode_16_64 0
		.amdhsa_float_denorm_mode_32 3
		.amdhsa_float_denorm_mode_16_64 3
		.amdhsa_dx10_clamp 1
		.amdhsa_ieee_mode 1
		.amdhsa_fp16_overflow 0
		.amdhsa_tg_split 0
		.amdhsa_exception_fp_ieee_invalid_op 0
		.amdhsa_exception_fp_denorm_src 0
		.amdhsa_exception_fp_ieee_div_zero 0
		.amdhsa_exception_fp_ieee_overflow 0
		.amdhsa_exception_fp_ieee_underflow 0
		.amdhsa_exception_fp_ieee_inexact 0
		.amdhsa_exception_int_div_zero 0
	.end_amdhsa_kernel
	.section	.text._ZL29rocblas_internal_gemmt_kernelIlLi16ELi32ELi8ELc84ELc67ELc85ELb0ELb0EddPKPKdPKPdEviT_T9_T10_S7_lS9_S7_lS8_T11_S7_li,"axG",@progbits,_ZL29rocblas_internal_gemmt_kernelIlLi16ELi32ELi8ELc84ELc67ELc85ELb0ELb0EddPKPKdPKPdEviT_T9_T10_S7_lS9_S7_lS8_T11_S7_li,comdat
.Lfunc_end491:
	.size	_ZL29rocblas_internal_gemmt_kernelIlLi16ELi32ELi8ELc84ELc67ELc85ELb0ELb0EddPKPKdPKPdEviT_T9_T10_S7_lS9_S7_lS8_T11_S7_li, .Lfunc_end491-_ZL29rocblas_internal_gemmt_kernelIlLi16ELi32ELi8ELc84ELc67ELc85ELb0ELb0EddPKPKdPKPdEviT_T9_T10_S7_lS9_S7_lS8_T11_S7_li
                                        ; -- End function
	.set _ZL29rocblas_internal_gemmt_kernelIlLi16ELi32ELi8ELc84ELc67ELc85ELb0ELb0EddPKPKdPKPdEviT_T9_T10_S7_lS9_S7_lS8_T11_S7_li.num_vgpr, 54
	.set _ZL29rocblas_internal_gemmt_kernelIlLi16ELi32ELi8ELc84ELc67ELc85ELb0ELb0EddPKPKdPKPdEviT_T9_T10_S7_lS9_S7_lS8_T11_S7_li.num_agpr, 0
	.set _ZL29rocblas_internal_gemmt_kernelIlLi16ELi32ELi8ELc84ELc67ELc85ELb0ELb0EddPKPKdPKPdEviT_T9_T10_S7_lS9_S7_lS8_T11_S7_li.numbered_sgpr, 36
	.set _ZL29rocblas_internal_gemmt_kernelIlLi16ELi32ELi8ELc84ELc67ELc85ELb0ELb0EddPKPKdPKPdEviT_T9_T10_S7_lS9_S7_lS8_T11_S7_li.num_named_barrier, 0
	.set _ZL29rocblas_internal_gemmt_kernelIlLi16ELi32ELi8ELc84ELc67ELc85ELb0ELb0EddPKPKdPKPdEviT_T9_T10_S7_lS9_S7_lS8_T11_S7_li.private_seg_size, 0
	.set _ZL29rocblas_internal_gemmt_kernelIlLi16ELi32ELi8ELc84ELc67ELc85ELb0ELb0EddPKPKdPKPdEviT_T9_T10_S7_lS9_S7_lS8_T11_S7_li.uses_vcc, 1
	.set _ZL29rocblas_internal_gemmt_kernelIlLi16ELi32ELi8ELc84ELc67ELc85ELb0ELb0EddPKPKdPKPdEviT_T9_T10_S7_lS9_S7_lS8_T11_S7_li.uses_flat_scratch, 0
	.set _ZL29rocblas_internal_gemmt_kernelIlLi16ELi32ELi8ELc84ELc67ELc85ELb0ELb0EddPKPKdPKPdEviT_T9_T10_S7_lS9_S7_lS8_T11_S7_li.has_dyn_sized_stack, 0
	.set _ZL29rocblas_internal_gemmt_kernelIlLi16ELi32ELi8ELc84ELc67ELc85ELb0ELb0EddPKPKdPKPdEviT_T9_T10_S7_lS9_S7_lS8_T11_S7_li.has_recursion, 0
	.set _ZL29rocblas_internal_gemmt_kernelIlLi16ELi32ELi8ELc84ELc67ELc85ELb0ELb0EddPKPKdPKPdEviT_T9_T10_S7_lS9_S7_lS8_T11_S7_li.has_indirect_call, 0
	.section	.AMDGPU.csdata,"",@progbits
; Kernel info:
; codeLenInByte = 1328
; TotalNumSgprs: 42
; NumVgprs: 54
; NumAgprs: 0
; TotalNumVgprs: 54
; ScratchSize: 0
; MemoryBound: 0
; FloatMode: 240
; IeeeMode: 1
; LDSByteSize: 4096 bytes/workgroup (compile time only)
; SGPRBlocks: 5
; VGPRBlocks: 6
; NumSGPRsForWavesPerEU: 42
; NumVGPRsForWavesPerEU: 54
; AccumOffset: 56
; Occupancy: 8
; WaveLimiterHint : 1
; COMPUTE_PGM_RSRC2:SCRATCH_EN: 0
; COMPUTE_PGM_RSRC2:USER_SGPR: 2
; COMPUTE_PGM_RSRC2:TRAP_HANDLER: 0
; COMPUTE_PGM_RSRC2:TGID_X_EN: 1
; COMPUTE_PGM_RSRC2:TGID_Y_EN: 1
; COMPUTE_PGM_RSRC2:TGID_Z_EN: 1
; COMPUTE_PGM_RSRC2:TIDIG_COMP_CNT: 1
; COMPUTE_PGM_RSRC3_GFX90A:ACCUM_OFFSET: 13
; COMPUTE_PGM_RSRC3_GFX90A:TG_SPLIT: 0
	.section	.text._ZL29rocblas_internal_gemmt_kernelIlLi16ELi32ELi8ELc67ELc78ELc85ELb0ELb0EddPKPKdPKPdEviT_T9_T10_S7_lS9_S7_lS8_T11_S7_li,"axG",@progbits,_ZL29rocblas_internal_gemmt_kernelIlLi16ELi32ELi8ELc67ELc78ELc85ELb0ELb0EddPKPKdPKPdEviT_T9_T10_S7_lS9_S7_lS8_T11_S7_li,comdat
	.globl	_ZL29rocblas_internal_gemmt_kernelIlLi16ELi32ELi8ELc67ELc78ELc85ELb0ELb0EddPKPKdPKPdEviT_T9_T10_S7_lS9_S7_lS8_T11_S7_li ; -- Begin function _ZL29rocblas_internal_gemmt_kernelIlLi16ELi32ELi8ELc67ELc78ELc85ELb0ELb0EddPKPKdPKPdEviT_T9_T10_S7_lS9_S7_lS8_T11_S7_li
	.p2align	8
	.type	_ZL29rocblas_internal_gemmt_kernelIlLi16ELi32ELi8ELc67ELc78ELc85ELb0ELb0EddPKPKdPKPdEviT_T9_T10_S7_lS9_S7_lS8_T11_S7_li,@function
_ZL29rocblas_internal_gemmt_kernelIlLi16ELi32ELi8ELc67ELc78ELc85ELb0ELb0EddPKPKdPKPdEviT_T9_T10_S7_lS9_S7_lS8_T11_S7_li: ; @_ZL29rocblas_internal_gemmt_kernelIlLi16ELi32ELi8ELc67ELc78ELc85ELb0ELb0EddPKPKdPKPdEviT_T9_T10_S7_lS9_S7_lS8_T11_S7_li
; %bb.0:
	s_load_dwordx8 s[24:31], s[0:1], 0x48
	s_load_dwordx16 s[8:23], s[0:1], 0x8
	s_waitcnt lgkmcnt(0)
	v_cmp_neq_f64_e64 s[6:7], s[24:25], 1.0
	s_and_b64 vcc, exec, s[6:7]
	s_cbranch_vccnz .LBB492_2
; %bb.1:
	s_cmp_lg_u64 s[8:9], 0
	s_cselect_b64 s[6:7], -1, 0
	v_cmp_neq_f64_e64 s[34:35], s[10:11], 0
	s_and_b64 s[6:7], s[6:7], s[34:35]
.LBB492_2:
	s_andn2_b64 vcc, exec, s[6:7]
	s_cbranch_vccnz .LBB492_28
; %bb.3:
	s_mov_b32 s5, 0
	s_load_dword s33, s[0:1], 0x0
	s_lshl_b64 s[0:1], s[4:5], 3
	s_add_u32 s4, s26, s0
	s_addc_u32 s5, s27, s1
	s_load_dwordx2 s[4:5], s[4:5], 0x0
	s_lshl_b32 s26, s2, 5
	s_lshl_b32 s27, s3, 5
	v_cmp_eq_f64_e64 s[2:3], s[10:11], 0
	v_cmp_lt_i64_e64 s[6:7], s[8:9], 1
	s_or_b64 s[2:3], s[2:3], s[6:7]
	v_and_b32_e32 v9, 0x3ff, v0
	v_bfe_u32 v11, v0, 10, 10
	v_mov_b64_e32 v[6:7], 0
	s_and_b64 vcc, exec, s[2:3]
	v_mov_b64_e32 v[4:5], 0
	v_mov_b64_e32 v[2:3], 0
	;; [unrolled: 1-line block ×3, first 2 shown]
	s_cbranch_vccnz .LBB492_12
; %bb.4:
	s_add_u32 s2, s18, s0
	s_addc_u32 s3, s19, s1
	s_load_dwordx2 s[2:3], s[2:3], 0x0
	s_lshl_b64 s[6:7], s[22:23], 3
	v_lshl_add_u32 v0, v11, 4, v9
	v_lshrrev_b32_e32 v10, 5, v0
	v_lshrrev_b32_e32 v2, 3, v0
	s_waitcnt lgkmcnt(0)
	s_add_u32 s6, s2, s6
	s_addc_u32 s7, s3, s7
	s_add_u32 s0, s12, s0
	s_addc_u32 s1, s13, s1
	s_load_dwordx2 s[0:1], s[0:1], 0x0
	v_and_b32_e32 v0, 31, v0
	s_lshl_b64 s[2:3], s[16:17], 3
	v_or_b32_e32 v1, s26, v0
	v_lshlrev_b32_e32 v0, 3, v0
	s_waitcnt lgkmcnt(0)
	s_add_u32 s2, s0, s2
	s_addc_u32 s3, s1, s3
	v_cmp_gt_i32_e64 s[0:1], s33, v1
	v_lshl_or_b32 v18, v10, 8, v0
	s_ashr_i32 s16, s26, 31
	v_mul_lo_u32 v4, s15, v1
	v_mad_u64_u32 v[0:1], s[12:13], s14, v1, 0
	s_mul_i32 s12, s14, s16
	v_and_b32_e32 v8, 7, v9
	v_add3_u32 v1, v1, s12, v4
	v_lshl_add_u64 v[12:13], v[0:1], 3, s[2:3]
	v_lshlrev_b32_e32 v0, 3, v8
	v_add_u32_e32 v3, s27, v2
	v_lshl_or_b32 v0, v2, 6, v0
	v_add_u32_e32 v19, 0x800, v0
	v_ashrrev_i32_e32 v0, 31, v3
	v_mul_lo_u32 v2, s20, v0
	v_mul_lo_u32 v4, s21, v3
	v_mad_u64_u32 v[0:1], s[12:13], s20, v3, 0
	v_add3_u32 v1, v1, v2, v4
	v_lshl_add_u64 v[14:15], v[0:1], 3, s[6:7]
	v_mov_b32_e32 v0, 0x800
	v_cmp_gt_i32_e64 s[2:3], s33, v3
	v_lshlrev_b32_e32 v20, 3, v9
	v_lshl_add_u32 v21, v11, 6, v0
	v_mov_b32_e32 v17, 0
	v_mov_b64_e32 v[0:1], 0
	s_mov_b64 s[6:7], 0
	v_mov_b64_e32 v[2:3], 0
	v_mov_b64_e32 v[4:5], 0
	v_mov_b64_e32 v[6:7], 0
	s_branch .LBB492_6
.LBB492_5:                              ;   in Loop: Header=BB492_6 Depth=1
	s_or_b64 exec, exec, s[12:13]
	s_waitcnt vmcnt(0) lgkmcnt(0)
	ds_write_b64 v19, v[22:23]
	s_waitcnt lgkmcnt(0)
	s_barrier
	ds_read2_b64 v[22:25], v20 offset1:16
	ds_read_b128 v[26:29], v21
	ds_read_b128 v[30:33], v21 offset:16
	ds_read_b128 v[34:37], v21 offset:32
	;; [unrolled: 1-line block ×4, first 2 shown]
	ds_read2_b64 v[46:49], v20 offset0:32 offset1:48
	s_waitcnt lgkmcnt(5)
	v_fmac_f64_e32 v[6:7], v[22:23], v[26:27]
	v_fmac_f64_e32 v[4:5], v[24:25], v[26:27]
	ds_read_b128 v[50:53], v21 offset:1040
	s_waitcnt lgkmcnt(2)
	v_fmac_f64_e32 v[2:3], v[22:23], v[42:43]
	v_fmac_f64_e32 v[0:1], v[24:25], v[42:43]
	ds_read2_b64 v[22:25], v20 offset0:64 offset1:80
	s_waitcnt lgkmcnt(2)
	v_fmac_f64_e32 v[6:7], v[46:47], v[28:29]
	v_fmac_f64_e32 v[4:5], v[48:49], v[28:29]
	ds_read2_b64 v[26:29], v20 offset0:96 offset1:112
	v_fmac_f64_e32 v[2:3], v[46:47], v[44:45]
	v_fmac_f64_e32 v[0:1], v[48:49], v[44:45]
	s_waitcnt lgkmcnt(1)
	v_fmac_f64_e32 v[6:7], v[22:23], v[30:31]
	v_fmac_f64_e32 v[4:5], v[24:25], v[30:31]
	ds_read_b128 v[42:45], v21 offset:1072
	v_fmac_f64_e32 v[2:3], v[22:23], v[50:51]
	v_fmac_f64_e32 v[0:1], v[24:25], v[50:51]
	s_waitcnt lgkmcnt(1)
	v_fmac_f64_e32 v[6:7], v[26:27], v[32:33]
	ds_read2_b64 v[22:25], v20 offset0:128 offset1:144
	v_fmac_f64_e32 v[4:5], v[28:29], v[32:33]
	v_fmac_f64_e32 v[2:3], v[26:27], v[52:53]
	;; [unrolled: 1-line block ×3, first 2 shown]
	ds_read_b128 v[26:29], v21 offset:1056
	ds_read2_b64 v[30:33], v20 offset0:160 offset1:176
	s_waitcnt lgkmcnt(2)
	v_fmac_f64_e32 v[6:7], v[22:23], v[34:35]
	v_fmac_f64_e32 v[4:5], v[24:25], v[34:35]
	s_add_u32 s6, s6, 8
	s_waitcnt lgkmcnt(1)
	v_fmac_f64_e32 v[2:3], v[22:23], v[26:27]
	v_fmac_f64_e32 v[0:1], v[24:25], v[26:27]
	ds_read2_b64 v[22:25], v20 offset0:192 offset1:208
	s_waitcnt lgkmcnt(1)
	v_fmac_f64_e32 v[2:3], v[30:31], v[28:29]
	v_fmac_f64_e32 v[0:1], v[32:33], v[28:29]
	ds_read2_b64 v[26:29], v20 offset0:224 offset1:240
	v_fmac_f64_e32 v[6:7], v[30:31], v[36:37]
	s_addc_u32 s7, s7, 0
	v_fmac_f64_e32 v[4:5], v[32:33], v[36:37]
	s_waitcnt lgkmcnt(1)
	v_fmac_f64_e32 v[6:7], v[22:23], v[38:39]
	v_fmac_f64_e32 v[2:3], v[22:23], v[42:43]
	v_mov_b64_e32 v[22:23], s[6:7]
	v_fmac_f64_e32 v[4:5], v[24:25], v[38:39]
	v_fmac_f64_e32 v[0:1], v[24:25], v[42:43]
	v_cmp_gt_i64_e32 vcc, s[8:9], v[22:23]
	s_waitcnt lgkmcnt(0)
	v_fmac_f64_e32 v[6:7], v[26:27], v[40:41]
	v_fmac_f64_e32 v[4:5], v[28:29], v[40:41]
	;; [unrolled: 1-line block ×4, first 2 shown]
	s_barrier
	s_cbranch_vccz .LBB492_12
.LBB492_6:                              ; =>This Inner Loop Header: Depth=1
	v_mov_b64_e32 v[22:23], 0
	s_and_saveexec_b64 s[12:13], s[0:1]
	s_cbranch_execz .LBB492_10
; %bb.7:                                ;   in Loop: Header=BB492_6 Depth=1
	v_add_u32_e32 v16, s6, v10
	v_cmp_gt_u64_e32 vcc, s[8:9], v[16:17]
	v_mov_b64_e32 v[22:23], 0
	s_and_saveexec_b64 s[14:15], vcc
	s_cbranch_execz .LBB492_9
; %bb.8:                                ;   in Loop: Header=BB492_6 Depth=1
	v_lshl_add_u64 v[22:23], v[16:17], 3, v[12:13]
	flat_load_dwordx2 v[22:23], v[22:23]
.LBB492_9:                              ;   in Loop: Header=BB492_6 Depth=1
	s_or_b64 exec, exec, s[14:15]
.LBB492_10:                             ;   in Loop: Header=BB492_6 Depth=1
	s_or_b64 exec, exec, s[12:13]
	v_add_u32_e32 v16, s6, v8
	v_cmp_gt_u64_e32 vcc, s[8:9], v[16:17]
	s_waitcnt vmcnt(0) lgkmcnt(0)
	ds_write_b64 v18, v[22:23]
	s_and_b64 s[14:15], vcc, s[2:3]
	v_mov_b64_e32 v[22:23], 0
	s_and_saveexec_b64 s[12:13], s[14:15]
	s_cbranch_execz .LBB492_5
; %bb.11:                               ;   in Loop: Header=BB492_6 Depth=1
	v_lshl_add_u64 v[22:23], v[16:17], 3, v[14:15]
	flat_load_dwordx2 v[22:23], v[22:23]
	s_branch .LBB492_5
.LBB492_12:
	s_lshl_b64 s[0:1], s[30:31], 3
	s_waitcnt lgkmcnt(0)
	s_add_u32 s4, s4, s0
	v_add_u32_e32 v14, s27, v11
	s_addc_u32 s5, s5, s1
	v_add_u32_e32 v8, s26, v9
	v_ashrrev_i32_e32 v9, 31, v14
	v_mad_u64_u32 v[10:11], s[0:1], s28, v14, 0
	v_mul_lo_u32 v9, s28, v9
	v_mul_lo_u32 v12, s29, v14
	v_cmp_neq_f64_e64 s[0:1], s[24:25], 0
	v_cmp_gt_i32_e64 s[2:3], s33, v14
	v_add3_u32 v11, v11, v9, v12
	v_cmp_le_i32_e32 vcc, v8, v14
	v_cndmask_b32_e64 v12, 0, 1, s[0:1]
	v_lshl_add_u64 v[10:11], v[10:11], 3, s[4:5]
	s_and_b64 s[8:9], s[2:3], vcc
	v_ashrrev_i32_e32 v9, 31, v8
	v_cmp_ne_u32_e64 s[0:1], 1, v12
	s_and_saveexec_b64 s[6:7], s[8:9]
	s_cbranch_execz .LBB492_16
; %bb.13:
	v_mul_f64 v[6:7], s[10:11], v[6:7]
	s_and_b64 vcc, exec, s[0:1]
	v_lshl_add_u64 v[12:13], v[8:9], 3, v[10:11]
	s_cbranch_vccnz .LBB492_15
; %bb.14:
	flat_load_dwordx2 v[16:17], v[12:13]
	s_waitcnt vmcnt(0) lgkmcnt(0)
	v_fmac_f64_e32 v[6:7], s[24:25], v[16:17]
.LBB492_15:
	flat_store_dwordx2 v[12:13], v[6:7]
.LBB492_16:
	s_or_b64 exec, exec, s[6:7]
	v_add_u32_e32 v6, 16, v8
	v_cmp_le_i32_e32 vcc, v6, v14
	s_and_b64 s[6:7], s[2:3], vcc
	v_ashrrev_i32_e32 v7, 31, v6
	s_and_saveexec_b64 s[2:3], s[6:7]
	s_cbranch_execz .LBB492_20
; %bb.17:
	v_mul_f64 v[4:5], s[10:11], v[4:5]
	s_and_b64 vcc, exec, s[0:1]
	v_lshl_add_u64 v[10:11], v[6:7], 3, v[10:11]
	s_cbranch_vccnz .LBB492_19
; %bb.18:
	flat_load_dwordx2 v[12:13], v[10:11]
	s_waitcnt vmcnt(0) lgkmcnt(0)
	v_fmac_f64_e32 v[4:5], s[24:25], v[12:13]
.LBB492_19:
	flat_store_dwordx2 v[10:11], v[4:5]
.LBB492_20:
	s_or_b64 exec, exec, s[2:3]
	v_add_u32_e32 v10, 16, v14
	v_ashrrev_i32_e32 v4, 31, v10
	v_mul_lo_u32 v11, s28, v4
	v_mul_lo_u32 v12, s29, v10
	v_mad_u64_u32 v[4:5], s[6:7], s28, v10, 0
	v_cmp_gt_i32_e64 s[2:3], s33, v10
	v_add3_u32 v5, v5, v11, v12
	v_cmp_le_i32_e32 vcc, v8, v10
	v_lshl_add_u64 v[4:5], v[4:5], 3, s[4:5]
	s_and_b64 s[6:7], s[2:3], vcc
	s_and_saveexec_b64 s[4:5], s[6:7]
	s_cbranch_execz .LBB492_24
; %bb.21:
	v_mul_f64 v[2:3], s[10:11], v[2:3]
	s_and_b64 vcc, exec, s[0:1]
	v_lshl_add_u64 v[8:9], v[8:9], 3, v[4:5]
	s_cbranch_vccnz .LBB492_23
; %bb.22:
	flat_load_dwordx2 v[12:13], v[8:9]
	s_waitcnt vmcnt(0) lgkmcnt(0)
	v_fmac_f64_e32 v[2:3], s[24:25], v[12:13]
.LBB492_23:
	flat_store_dwordx2 v[8:9], v[2:3]
.LBB492_24:
	s_or_b64 exec, exec, s[4:5]
	v_cmp_le_i32_e32 vcc, v6, v10
	s_and_b64 s[2:3], s[2:3], vcc
	s_and_saveexec_b64 s[4:5], s[2:3]
	s_cbranch_execz .LBB492_28
; %bb.25:
	v_mul_f64 v[0:1], s[10:11], v[0:1]
	s_and_b64 vcc, exec, s[0:1]
	v_lshl_add_u64 v[2:3], v[6:7], 3, v[4:5]
	s_cbranch_vccnz .LBB492_27
; %bb.26:
	flat_load_dwordx2 v[4:5], v[2:3]
	s_waitcnt vmcnt(0) lgkmcnt(0)
	v_fmac_f64_e32 v[0:1], s[24:25], v[4:5]
.LBB492_27:
	flat_store_dwordx2 v[2:3], v[0:1]
.LBB492_28:
	s_endpgm
	.section	.rodata,"a",@progbits
	.p2align	6, 0x0
	.amdhsa_kernel _ZL29rocblas_internal_gemmt_kernelIlLi16ELi32ELi8ELc67ELc78ELc85ELb0ELb0EddPKPKdPKPdEviT_T9_T10_S7_lS9_S7_lS8_T11_S7_li
		.amdhsa_group_segment_fixed_size 4096
		.amdhsa_private_segment_fixed_size 0
		.amdhsa_kernarg_size 108
		.amdhsa_user_sgpr_count 2
		.amdhsa_user_sgpr_dispatch_ptr 0
		.amdhsa_user_sgpr_queue_ptr 0
		.amdhsa_user_sgpr_kernarg_segment_ptr 1
		.amdhsa_user_sgpr_dispatch_id 0
		.amdhsa_user_sgpr_kernarg_preload_length 0
		.amdhsa_user_sgpr_kernarg_preload_offset 0
		.amdhsa_user_sgpr_private_segment_size 0
		.amdhsa_uses_dynamic_stack 0
		.amdhsa_enable_private_segment 0
		.amdhsa_system_sgpr_workgroup_id_x 1
		.amdhsa_system_sgpr_workgroup_id_y 1
		.amdhsa_system_sgpr_workgroup_id_z 1
		.amdhsa_system_sgpr_workgroup_info 0
		.amdhsa_system_vgpr_workitem_id 1
		.amdhsa_next_free_vgpr 54
		.amdhsa_next_free_sgpr 36
		.amdhsa_accum_offset 56
		.amdhsa_reserve_vcc 1
		.amdhsa_float_round_mode_32 0
		.amdhsa_float_round_mode_16_64 0
		.amdhsa_float_denorm_mode_32 3
		.amdhsa_float_denorm_mode_16_64 3
		.amdhsa_dx10_clamp 1
		.amdhsa_ieee_mode 1
		.amdhsa_fp16_overflow 0
		.amdhsa_tg_split 0
		.amdhsa_exception_fp_ieee_invalid_op 0
		.amdhsa_exception_fp_denorm_src 0
		.amdhsa_exception_fp_ieee_div_zero 0
		.amdhsa_exception_fp_ieee_overflow 0
		.amdhsa_exception_fp_ieee_underflow 0
		.amdhsa_exception_fp_ieee_inexact 0
		.amdhsa_exception_int_div_zero 0
	.end_amdhsa_kernel
	.section	.text._ZL29rocblas_internal_gemmt_kernelIlLi16ELi32ELi8ELc67ELc78ELc85ELb0ELb0EddPKPKdPKPdEviT_T9_T10_S7_lS9_S7_lS8_T11_S7_li,"axG",@progbits,_ZL29rocblas_internal_gemmt_kernelIlLi16ELi32ELi8ELc67ELc78ELc85ELb0ELb0EddPKPKdPKPdEviT_T9_T10_S7_lS9_S7_lS8_T11_S7_li,comdat
.Lfunc_end492:
	.size	_ZL29rocblas_internal_gemmt_kernelIlLi16ELi32ELi8ELc67ELc78ELc85ELb0ELb0EddPKPKdPKPdEviT_T9_T10_S7_lS9_S7_lS8_T11_S7_li, .Lfunc_end492-_ZL29rocblas_internal_gemmt_kernelIlLi16ELi32ELi8ELc67ELc78ELc85ELb0ELb0EddPKPKdPKPdEviT_T9_T10_S7_lS9_S7_lS8_T11_S7_li
                                        ; -- End function
	.set _ZL29rocblas_internal_gemmt_kernelIlLi16ELi32ELi8ELc67ELc78ELc85ELb0ELb0EddPKPKdPKPdEviT_T9_T10_S7_lS9_S7_lS8_T11_S7_li.num_vgpr, 54
	.set _ZL29rocblas_internal_gemmt_kernelIlLi16ELi32ELi8ELc67ELc78ELc85ELb0ELb0EddPKPKdPKPdEviT_T9_T10_S7_lS9_S7_lS8_T11_S7_li.num_agpr, 0
	.set _ZL29rocblas_internal_gemmt_kernelIlLi16ELi32ELi8ELc67ELc78ELc85ELb0ELb0EddPKPKdPKPdEviT_T9_T10_S7_lS9_S7_lS8_T11_S7_li.numbered_sgpr, 36
	.set _ZL29rocblas_internal_gemmt_kernelIlLi16ELi32ELi8ELc67ELc78ELc85ELb0ELb0EddPKPKdPKPdEviT_T9_T10_S7_lS9_S7_lS8_T11_S7_li.num_named_barrier, 0
	.set _ZL29rocblas_internal_gemmt_kernelIlLi16ELi32ELi8ELc67ELc78ELc85ELb0ELb0EddPKPKdPKPdEviT_T9_T10_S7_lS9_S7_lS8_T11_S7_li.private_seg_size, 0
	.set _ZL29rocblas_internal_gemmt_kernelIlLi16ELi32ELi8ELc67ELc78ELc85ELb0ELb0EddPKPKdPKPdEviT_T9_T10_S7_lS9_S7_lS8_T11_S7_li.uses_vcc, 1
	.set _ZL29rocblas_internal_gemmt_kernelIlLi16ELi32ELi8ELc67ELc78ELc85ELb0ELb0EddPKPKdPKPdEviT_T9_T10_S7_lS9_S7_lS8_T11_S7_li.uses_flat_scratch, 0
	.set _ZL29rocblas_internal_gemmt_kernelIlLi16ELi32ELi8ELc67ELc78ELc85ELb0ELb0EddPKPKdPKPdEviT_T9_T10_S7_lS9_S7_lS8_T11_S7_li.has_dyn_sized_stack, 0
	.set _ZL29rocblas_internal_gemmt_kernelIlLi16ELi32ELi8ELc67ELc78ELc85ELb0ELb0EddPKPKdPKPdEviT_T9_T10_S7_lS9_S7_lS8_T11_S7_li.has_recursion, 0
	.set _ZL29rocblas_internal_gemmt_kernelIlLi16ELi32ELi8ELc67ELc78ELc85ELb0ELb0EddPKPKdPKPdEviT_T9_T10_S7_lS9_S7_lS8_T11_S7_li.has_indirect_call, 0
	.section	.AMDGPU.csdata,"",@progbits
; Kernel info:
; codeLenInByte = 1336
; TotalNumSgprs: 42
; NumVgprs: 54
; NumAgprs: 0
; TotalNumVgprs: 54
; ScratchSize: 0
; MemoryBound: 0
; FloatMode: 240
; IeeeMode: 1
; LDSByteSize: 4096 bytes/workgroup (compile time only)
; SGPRBlocks: 5
; VGPRBlocks: 6
; NumSGPRsForWavesPerEU: 42
; NumVGPRsForWavesPerEU: 54
; AccumOffset: 56
; Occupancy: 8
; WaveLimiterHint : 1
; COMPUTE_PGM_RSRC2:SCRATCH_EN: 0
; COMPUTE_PGM_RSRC2:USER_SGPR: 2
; COMPUTE_PGM_RSRC2:TRAP_HANDLER: 0
; COMPUTE_PGM_RSRC2:TGID_X_EN: 1
; COMPUTE_PGM_RSRC2:TGID_Y_EN: 1
; COMPUTE_PGM_RSRC2:TGID_Z_EN: 1
; COMPUTE_PGM_RSRC2:TIDIG_COMP_CNT: 1
; COMPUTE_PGM_RSRC3_GFX90A:ACCUM_OFFSET: 13
; COMPUTE_PGM_RSRC3_GFX90A:TG_SPLIT: 0
	.section	.text._ZL29rocblas_internal_gemmt_kernelIlLi16ELi32ELi8ELc67ELc84ELc85ELb0ELb0EddPKPKdPKPdEviT_T9_T10_S7_lS9_S7_lS8_T11_S7_li,"axG",@progbits,_ZL29rocblas_internal_gemmt_kernelIlLi16ELi32ELi8ELc67ELc84ELc85ELb0ELb0EddPKPKdPKPdEviT_T9_T10_S7_lS9_S7_lS8_T11_S7_li,comdat
	.globl	_ZL29rocblas_internal_gemmt_kernelIlLi16ELi32ELi8ELc67ELc84ELc85ELb0ELb0EddPKPKdPKPdEviT_T9_T10_S7_lS9_S7_lS8_T11_S7_li ; -- Begin function _ZL29rocblas_internal_gemmt_kernelIlLi16ELi32ELi8ELc67ELc84ELc85ELb0ELb0EddPKPKdPKPdEviT_T9_T10_S7_lS9_S7_lS8_T11_S7_li
	.p2align	8
	.type	_ZL29rocblas_internal_gemmt_kernelIlLi16ELi32ELi8ELc67ELc84ELc85ELb0ELb0EddPKPKdPKPdEviT_T9_T10_S7_lS9_S7_lS8_T11_S7_li,@function
_ZL29rocblas_internal_gemmt_kernelIlLi16ELi32ELi8ELc67ELc84ELc85ELb0ELb0EddPKPKdPKPdEviT_T9_T10_S7_lS9_S7_lS8_T11_S7_li: ; @_ZL29rocblas_internal_gemmt_kernelIlLi16ELi32ELi8ELc67ELc84ELc85ELb0ELb0EddPKPKdPKPdEviT_T9_T10_S7_lS9_S7_lS8_T11_S7_li
; %bb.0:
	s_load_dwordx8 s[24:31], s[0:1], 0x48
	s_load_dwordx16 s[8:23], s[0:1], 0x8
	s_waitcnt lgkmcnt(0)
	v_cmp_neq_f64_e64 s[6:7], s[24:25], 1.0
	s_and_b64 vcc, exec, s[6:7]
	s_cbranch_vccnz .LBB493_2
; %bb.1:
	s_cmp_lg_u64 s[8:9], 0
	s_cselect_b64 s[6:7], -1, 0
	v_cmp_neq_f64_e64 s[34:35], s[10:11], 0
	s_and_b64 s[6:7], s[6:7], s[34:35]
.LBB493_2:
	s_andn2_b64 vcc, exec, s[6:7]
	s_cbranch_vccnz .LBB493_28
; %bb.3:
	s_mov_b32 s5, 0
	s_load_dword s33, s[0:1], 0x0
	s_lshl_b64 s[0:1], s[4:5], 3
	s_add_u32 s4, s26, s0
	s_addc_u32 s5, s27, s1
	s_load_dwordx2 s[4:5], s[4:5], 0x0
	s_lshl_b32 s26, s2, 5
	s_lshl_b32 s27, s3, 5
	v_cmp_eq_f64_e64 s[2:3], s[10:11], 0
	v_cmp_lt_i64_e64 s[6:7], s[8:9], 1
	s_or_b64 s[2:3], s[2:3], s[6:7]
	v_and_b32_e32 v9, 0x3ff, v0
	v_bfe_u32 v11, v0, 10, 10
	v_mov_b64_e32 v[6:7], 0
	s_and_b64 vcc, exec, s[2:3]
	v_mov_b64_e32 v[4:5], 0
	v_mov_b64_e32 v[2:3], 0
	;; [unrolled: 1-line block ×3, first 2 shown]
	s_cbranch_vccnz .LBB493_12
; %bb.4:
	s_add_u32 s2, s18, s0
	s_addc_u32 s3, s19, s1
	s_load_dwordx2 s[2:3], s[2:3], 0x0
	s_lshl_b64 s[6:7], s[22:23], 3
	v_lshl_add_u32 v1, v11, 4, v9
	v_lshrrev_b32_e32 v10, 5, v1
	v_lshrrev_b32_e32 v4, 3, v1
	s_waitcnt lgkmcnt(0)
	s_add_u32 s6, s2, s6
	s_addc_u32 s7, s3, s7
	s_add_u32 s0, s12, s0
	s_addc_u32 s1, s13, s1
	s_load_dwordx2 s[0:1], s[0:1], 0x0
	v_and_b32_e32 v1, 31, v1
	s_lshl_b64 s[2:3], s[16:17], 3
	v_or_b32_e32 v2, s26, v1
	v_lshlrev_b32_e32 v1, 3, v1
	s_waitcnt lgkmcnt(0)
	s_add_u32 s2, s0, s2
	s_addc_u32 s3, s1, s3
	v_cmp_gt_i32_e64 s[0:1], s33, v2
	v_lshl_or_b32 v18, v10, 8, v1
	s_ashr_i32 s16, s26, 31
	v_mul_lo_u32 v1, s15, v2
	v_mad_u64_u32 v[2:3], s[12:13], s14, v2, 0
	v_and_b32_e32 v8, 7, v9
	s_mul_i32 s12, s14, s16
	v_add3_u32 v3, v3, s12, v1
	v_lshlrev_b32_e32 v1, 3, v8
	v_add_u32_e32 v0, s27, v4
	v_lshl_or_b32 v1, v4, 6, v1
	v_add_u32_e32 v19, 0x800, v1
	v_ashrrev_i32_e32 v1, 31, v0
	v_lshl_add_u64 v[12:13], v[2:3], 3, s[2:3]
	v_cmp_gt_i32_e64 s[2:3], s33, v0
	v_lshl_add_u64 v[14:15], v[0:1], 3, s[6:7]
	v_mov_b32_e32 v0, 0x800
	v_lshlrev_b32_e32 v20, 3, v9
	v_lshl_add_u32 v21, v11, 6, v0
	v_mov_b32_e32 v17, 0
	v_mov_b64_e32 v[0:1], 0
	s_mov_b64 s[6:7], 0
	v_mov_b64_e32 v[2:3], 0
	v_mov_b64_e32 v[4:5], 0
	v_mov_b64_e32 v[6:7], 0
	s_branch .LBB493_6
.LBB493_5:                              ;   in Loop: Header=BB493_6 Depth=1
	s_or_b64 exec, exec, s[12:13]
	s_waitcnt vmcnt(0) lgkmcnt(0)
	ds_write_b64 v19, v[22:23]
	s_waitcnt lgkmcnt(0)
	s_barrier
	ds_read2_b64 v[22:25], v20 offset1:16
	ds_read_b128 v[26:29], v21
	ds_read_b128 v[30:33], v21 offset:16
	ds_read_b128 v[34:37], v21 offset:32
	;; [unrolled: 1-line block ×4, first 2 shown]
	ds_read2_b64 v[46:49], v20 offset0:32 offset1:48
	s_waitcnt lgkmcnt(5)
	v_fmac_f64_e32 v[6:7], v[22:23], v[26:27]
	v_fmac_f64_e32 v[4:5], v[24:25], v[26:27]
	ds_read_b128 v[50:53], v21 offset:1040
	s_waitcnt lgkmcnt(2)
	v_fmac_f64_e32 v[2:3], v[22:23], v[42:43]
	v_fmac_f64_e32 v[0:1], v[24:25], v[42:43]
	ds_read2_b64 v[22:25], v20 offset0:64 offset1:80
	s_waitcnt lgkmcnt(2)
	v_fmac_f64_e32 v[6:7], v[46:47], v[28:29]
	v_fmac_f64_e32 v[4:5], v[48:49], v[28:29]
	ds_read2_b64 v[26:29], v20 offset0:96 offset1:112
	v_fmac_f64_e32 v[2:3], v[46:47], v[44:45]
	v_fmac_f64_e32 v[0:1], v[48:49], v[44:45]
	s_waitcnt lgkmcnt(1)
	v_fmac_f64_e32 v[6:7], v[22:23], v[30:31]
	v_fmac_f64_e32 v[4:5], v[24:25], v[30:31]
	ds_read_b128 v[42:45], v21 offset:1072
	v_fmac_f64_e32 v[2:3], v[22:23], v[50:51]
	v_fmac_f64_e32 v[0:1], v[24:25], v[50:51]
	s_waitcnt lgkmcnt(1)
	v_fmac_f64_e32 v[6:7], v[26:27], v[32:33]
	ds_read2_b64 v[22:25], v20 offset0:128 offset1:144
	v_fmac_f64_e32 v[4:5], v[28:29], v[32:33]
	v_fmac_f64_e32 v[2:3], v[26:27], v[52:53]
	;; [unrolled: 1-line block ×3, first 2 shown]
	ds_read_b128 v[26:29], v21 offset:1056
	ds_read2_b64 v[30:33], v20 offset0:160 offset1:176
	s_waitcnt lgkmcnt(2)
	v_fmac_f64_e32 v[6:7], v[22:23], v[34:35]
	v_fmac_f64_e32 v[4:5], v[24:25], v[34:35]
	s_add_u32 s6, s6, 8
	s_waitcnt lgkmcnt(1)
	v_fmac_f64_e32 v[2:3], v[22:23], v[26:27]
	v_fmac_f64_e32 v[0:1], v[24:25], v[26:27]
	ds_read2_b64 v[22:25], v20 offset0:192 offset1:208
	s_waitcnt lgkmcnt(1)
	v_fmac_f64_e32 v[2:3], v[30:31], v[28:29]
	v_fmac_f64_e32 v[0:1], v[32:33], v[28:29]
	ds_read2_b64 v[26:29], v20 offset0:224 offset1:240
	v_fmac_f64_e32 v[6:7], v[30:31], v[36:37]
	s_addc_u32 s7, s7, 0
	v_fmac_f64_e32 v[4:5], v[32:33], v[36:37]
	s_waitcnt lgkmcnt(1)
	v_fmac_f64_e32 v[6:7], v[22:23], v[38:39]
	v_fmac_f64_e32 v[2:3], v[22:23], v[42:43]
	v_mov_b64_e32 v[22:23], s[6:7]
	v_fmac_f64_e32 v[4:5], v[24:25], v[38:39]
	v_fmac_f64_e32 v[0:1], v[24:25], v[42:43]
	v_cmp_gt_i64_e32 vcc, s[8:9], v[22:23]
	s_waitcnt lgkmcnt(0)
	v_fmac_f64_e32 v[6:7], v[26:27], v[40:41]
	v_fmac_f64_e32 v[4:5], v[28:29], v[40:41]
	;; [unrolled: 1-line block ×4, first 2 shown]
	s_barrier
	s_cbranch_vccz .LBB493_12
.LBB493_6:                              ; =>This Inner Loop Header: Depth=1
	v_mov_b64_e32 v[22:23], 0
	s_and_saveexec_b64 s[12:13], s[0:1]
	s_cbranch_execz .LBB493_10
; %bb.7:                                ;   in Loop: Header=BB493_6 Depth=1
	v_add_u32_e32 v16, s6, v10
	v_cmp_gt_u64_e32 vcc, s[8:9], v[16:17]
	v_mov_b64_e32 v[22:23], 0
	s_and_saveexec_b64 s[14:15], vcc
	s_cbranch_execz .LBB493_9
; %bb.8:                                ;   in Loop: Header=BB493_6 Depth=1
	v_lshl_add_u64 v[22:23], v[16:17], 3, v[12:13]
	flat_load_dwordx2 v[22:23], v[22:23]
.LBB493_9:                              ;   in Loop: Header=BB493_6 Depth=1
	s_or_b64 exec, exec, s[14:15]
.LBB493_10:                             ;   in Loop: Header=BB493_6 Depth=1
	s_or_b64 exec, exec, s[12:13]
	v_add_u32_e32 v16, s6, v8
	v_cmp_gt_u64_e32 vcc, s[8:9], v[16:17]
	s_waitcnt vmcnt(0) lgkmcnt(0)
	ds_write_b64 v18, v[22:23]
	s_and_b64 s[14:15], vcc, s[2:3]
	v_mov_b64_e32 v[22:23], 0
	s_and_saveexec_b64 s[12:13], s[14:15]
	s_cbranch_execz .LBB493_5
; %bb.11:                               ;   in Loop: Header=BB493_6 Depth=1
	v_mad_u64_u32 v[22:23], s[14:15], s20, v16, 0
	v_mov_b32_e32 v24, v23
	v_mad_u64_u32 v[24:25], s[14:15], s21, v16, v[24:25]
	v_mov_b32_e32 v23, v24
	v_lshl_add_u64 v[22:23], v[22:23], 3, v[14:15]
	flat_load_dwordx2 v[22:23], v[22:23]
	s_branch .LBB493_5
.LBB493_12:
	s_lshl_b64 s[0:1], s[30:31], 3
	s_waitcnt lgkmcnt(0)
	s_add_u32 s4, s4, s0
	v_add_u32_e32 v14, s27, v11
	s_addc_u32 s5, s5, s1
	v_add_u32_e32 v8, s26, v9
	v_ashrrev_i32_e32 v9, 31, v14
	v_mad_u64_u32 v[10:11], s[0:1], s28, v14, 0
	v_mul_lo_u32 v9, s28, v9
	v_mul_lo_u32 v12, s29, v14
	v_cmp_neq_f64_e64 s[0:1], s[24:25], 0
	v_cmp_gt_i32_e64 s[2:3], s33, v14
	v_add3_u32 v11, v11, v9, v12
	v_cmp_le_i32_e32 vcc, v8, v14
	v_cndmask_b32_e64 v12, 0, 1, s[0:1]
	v_lshl_add_u64 v[10:11], v[10:11], 3, s[4:5]
	s_and_b64 s[8:9], s[2:3], vcc
	v_ashrrev_i32_e32 v9, 31, v8
	v_cmp_ne_u32_e64 s[0:1], 1, v12
	s_and_saveexec_b64 s[6:7], s[8:9]
	s_cbranch_execz .LBB493_16
; %bb.13:
	v_mul_f64 v[6:7], s[10:11], v[6:7]
	s_and_b64 vcc, exec, s[0:1]
	v_lshl_add_u64 v[12:13], v[8:9], 3, v[10:11]
	s_cbranch_vccnz .LBB493_15
; %bb.14:
	flat_load_dwordx2 v[16:17], v[12:13]
	s_waitcnt vmcnt(0) lgkmcnt(0)
	v_fmac_f64_e32 v[6:7], s[24:25], v[16:17]
.LBB493_15:
	flat_store_dwordx2 v[12:13], v[6:7]
.LBB493_16:
	s_or_b64 exec, exec, s[6:7]
	v_add_u32_e32 v6, 16, v8
	v_cmp_le_i32_e32 vcc, v6, v14
	s_and_b64 s[6:7], s[2:3], vcc
	v_ashrrev_i32_e32 v7, 31, v6
	s_and_saveexec_b64 s[2:3], s[6:7]
	s_cbranch_execz .LBB493_20
; %bb.17:
	v_mul_f64 v[4:5], s[10:11], v[4:5]
	s_and_b64 vcc, exec, s[0:1]
	v_lshl_add_u64 v[10:11], v[6:7], 3, v[10:11]
	s_cbranch_vccnz .LBB493_19
; %bb.18:
	flat_load_dwordx2 v[12:13], v[10:11]
	s_waitcnt vmcnt(0) lgkmcnt(0)
	v_fmac_f64_e32 v[4:5], s[24:25], v[12:13]
.LBB493_19:
	flat_store_dwordx2 v[10:11], v[4:5]
.LBB493_20:
	s_or_b64 exec, exec, s[2:3]
	v_add_u32_e32 v10, 16, v14
	v_ashrrev_i32_e32 v4, 31, v10
	v_mul_lo_u32 v11, s28, v4
	v_mul_lo_u32 v12, s29, v10
	v_mad_u64_u32 v[4:5], s[6:7], s28, v10, 0
	v_cmp_gt_i32_e64 s[2:3], s33, v10
	v_add3_u32 v5, v5, v11, v12
	v_cmp_le_i32_e32 vcc, v8, v10
	v_lshl_add_u64 v[4:5], v[4:5], 3, s[4:5]
	s_and_b64 s[6:7], s[2:3], vcc
	s_and_saveexec_b64 s[4:5], s[6:7]
	s_cbranch_execz .LBB493_24
; %bb.21:
	v_mul_f64 v[2:3], s[10:11], v[2:3]
	s_and_b64 vcc, exec, s[0:1]
	v_lshl_add_u64 v[8:9], v[8:9], 3, v[4:5]
	s_cbranch_vccnz .LBB493_23
; %bb.22:
	flat_load_dwordx2 v[12:13], v[8:9]
	s_waitcnt vmcnt(0) lgkmcnt(0)
	v_fmac_f64_e32 v[2:3], s[24:25], v[12:13]
.LBB493_23:
	flat_store_dwordx2 v[8:9], v[2:3]
.LBB493_24:
	s_or_b64 exec, exec, s[4:5]
	v_cmp_le_i32_e32 vcc, v6, v10
	s_and_b64 s[2:3], s[2:3], vcc
	s_and_saveexec_b64 s[4:5], s[2:3]
	s_cbranch_execz .LBB493_28
; %bb.25:
	v_mul_f64 v[0:1], s[10:11], v[0:1]
	s_and_b64 vcc, exec, s[0:1]
	v_lshl_add_u64 v[2:3], v[6:7], 3, v[4:5]
	s_cbranch_vccnz .LBB493_27
; %bb.26:
	flat_load_dwordx2 v[4:5], v[2:3]
	s_waitcnt vmcnt(0) lgkmcnt(0)
	v_fmac_f64_e32 v[0:1], s[24:25], v[4:5]
.LBB493_27:
	flat_store_dwordx2 v[2:3], v[0:1]
.LBB493_28:
	s_endpgm
	.section	.rodata,"a",@progbits
	.p2align	6, 0x0
	.amdhsa_kernel _ZL29rocblas_internal_gemmt_kernelIlLi16ELi32ELi8ELc67ELc84ELc85ELb0ELb0EddPKPKdPKPdEviT_T9_T10_S7_lS9_S7_lS8_T11_S7_li
		.amdhsa_group_segment_fixed_size 4096
		.amdhsa_private_segment_fixed_size 0
		.amdhsa_kernarg_size 108
		.amdhsa_user_sgpr_count 2
		.amdhsa_user_sgpr_dispatch_ptr 0
		.amdhsa_user_sgpr_queue_ptr 0
		.amdhsa_user_sgpr_kernarg_segment_ptr 1
		.amdhsa_user_sgpr_dispatch_id 0
		.amdhsa_user_sgpr_kernarg_preload_length 0
		.amdhsa_user_sgpr_kernarg_preload_offset 0
		.amdhsa_user_sgpr_private_segment_size 0
		.amdhsa_uses_dynamic_stack 0
		.amdhsa_enable_private_segment 0
		.amdhsa_system_sgpr_workgroup_id_x 1
		.amdhsa_system_sgpr_workgroup_id_y 1
		.amdhsa_system_sgpr_workgroup_id_z 1
		.amdhsa_system_sgpr_workgroup_info 0
		.amdhsa_system_vgpr_workitem_id 1
		.amdhsa_next_free_vgpr 54
		.amdhsa_next_free_sgpr 36
		.amdhsa_accum_offset 56
		.amdhsa_reserve_vcc 1
		.amdhsa_float_round_mode_32 0
		.amdhsa_float_round_mode_16_64 0
		.amdhsa_float_denorm_mode_32 3
		.amdhsa_float_denorm_mode_16_64 3
		.amdhsa_dx10_clamp 1
		.amdhsa_ieee_mode 1
		.amdhsa_fp16_overflow 0
		.amdhsa_tg_split 0
		.amdhsa_exception_fp_ieee_invalid_op 0
		.amdhsa_exception_fp_denorm_src 0
		.amdhsa_exception_fp_ieee_div_zero 0
		.amdhsa_exception_fp_ieee_overflow 0
		.amdhsa_exception_fp_ieee_underflow 0
		.amdhsa_exception_fp_ieee_inexact 0
		.amdhsa_exception_int_div_zero 0
	.end_amdhsa_kernel
	.section	.text._ZL29rocblas_internal_gemmt_kernelIlLi16ELi32ELi8ELc67ELc84ELc85ELb0ELb0EddPKPKdPKPdEviT_T9_T10_S7_lS9_S7_lS8_T11_S7_li,"axG",@progbits,_ZL29rocblas_internal_gemmt_kernelIlLi16ELi32ELi8ELc67ELc84ELc85ELb0ELb0EddPKPKdPKPdEviT_T9_T10_S7_lS9_S7_lS8_T11_S7_li,comdat
.Lfunc_end493:
	.size	_ZL29rocblas_internal_gemmt_kernelIlLi16ELi32ELi8ELc67ELc84ELc85ELb0ELb0EddPKPKdPKPdEviT_T9_T10_S7_lS9_S7_lS8_T11_S7_li, .Lfunc_end493-_ZL29rocblas_internal_gemmt_kernelIlLi16ELi32ELi8ELc67ELc84ELc85ELb0ELb0EddPKPKdPKPdEviT_T9_T10_S7_lS9_S7_lS8_T11_S7_li
                                        ; -- End function
	.set _ZL29rocblas_internal_gemmt_kernelIlLi16ELi32ELi8ELc67ELc84ELc85ELb0ELb0EddPKPKdPKPdEviT_T9_T10_S7_lS9_S7_lS8_T11_S7_li.num_vgpr, 54
	.set _ZL29rocblas_internal_gemmt_kernelIlLi16ELi32ELi8ELc67ELc84ELc85ELb0ELb0EddPKPKdPKPdEviT_T9_T10_S7_lS9_S7_lS8_T11_S7_li.num_agpr, 0
	.set _ZL29rocblas_internal_gemmt_kernelIlLi16ELi32ELi8ELc67ELc84ELc85ELb0ELb0EddPKPKdPKPdEviT_T9_T10_S7_lS9_S7_lS8_T11_S7_li.numbered_sgpr, 36
	.set _ZL29rocblas_internal_gemmt_kernelIlLi16ELi32ELi8ELc67ELc84ELc85ELb0ELb0EddPKPKdPKPdEviT_T9_T10_S7_lS9_S7_lS8_T11_S7_li.num_named_barrier, 0
	.set _ZL29rocblas_internal_gemmt_kernelIlLi16ELi32ELi8ELc67ELc84ELc85ELb0ELb0EddPKPKdPKPdEviT_T9_T10_S7_lS9_S7_lS8_T11_S7_li.private_seg_size, 0
	.set _ZL29rocblas_internal_gemmt_kernelIlLi16ELi32ELi8ELc67ELc84ELc85ELb0ELb0EddPKPKdPKPdEviT_T9_T10_S7_lS9_S7_lS8_T11_S7_li.uses_vcc, 1
	.set _ZL29rocblas_internal_gemmt_kernelIlLi16ELi32ELi8ELc67ELc84ELc85ELb0ELb0EddPKPKdPKPdEviT_T9_T10_S7_lS9_S7_lS8_T11_S7_li.uses_flat_scratch, 0
	.set _ZL29rocblas_internal_gemmt_kernelIlLi16ELi32ELi8ELc67ELc84ELc85ELb0ELb0EddPKPKdPKPdEviT_T9_T10_S7_lS9_S7_lS8_T11_S7_li.has_dyn_sized_stack, 0
	.set _ZL29rocblas_internal_gemmt_kernelIlLi16ELi32ELi8ELc67ELc84ELc85ELb0ELb0EddPKPKdPKPdEviT_T9_T10_S7_lS9_S7_lS8_T11_S7_li.has_recursion, 0
	.set _ZL29rocblas_internal_gemmt_kernelIlLi16ELi32ELi8ELc67ELc84ELc85ELb0ELb0EddPKPKdPKPdEviT_T9_T10_S7_lS9_S7_lS8_T11_S7_li.has_indirect_call, 0
	.section	.AMDGPU.csdata,"",@progbits
; Kernel info:
; codeLenInByte = 1328
; TotalNumSgprs: 42
; NumVgprs: 54
; NumAgprs: 0
; TotalNumVgprs: 54
; ScratchSize: 0
; MemoryBound: 0
; FloatMode: 240
; IeeeMode: 1
; LDSByteSize: 4096 bytes/workgroup (compile time only)
; SGPRBlocks: 5
; VGPRBlocks: 6
; NumSGPRsForWavesPerEU: 42
; NumVGPRsForWavesPerEU: 54
; AccumOffset: 56
; Occupancy: 8
; WaveLimiterHint : 1
; COMPUTE_PGM_RSRC2:SCRATCH_EN: 0
; COMPUTE_PGM_RSRC2:USER_SGPR: 2
; COMPUTE_PGM_RSRC2:TRAP_HANDLER: 0
; COMPUTE_PGM_RSRC2:TGID_X_EN: 1
; COMPUTE_PGM_RSRC2:TGID_Y_EN: 1
; COMPUTE_PGM_RSRC2:TGID_Z_EN: 1
; COMPUTE_PGM_RSRC2:TIDIG_COMP_CNT: 1
; COMPUTE_PGM_RSRC3_GFX90A:ACCUM_OFFSET: 13
; COMPUTE_PGM_RSRC3_GFX90A:TG_SPLIT: 0
	.section	.text._ZL29rocblas_internal_gemmt_kernelIlLi16ELi32ELi8ELc67ELc67ELc85ELb0ELb0EddPKPKdPKPdEviT_T9_T10_S7_lS9_S7_lS8_T11_S7_li,"axG",@progbits,_ZL29rocblas_internal_gemmt_kernelIlLi16ELi32ELi8ELc67ELc67ELc85ELb0ELb0EddPKPKdPKPdEviT_T9_T10_S7_lS9_S7_lS8_T11_S7_li,comdat
	.globl	_ZL29rocblas_internal_gemmt_kernelIlLi16ELi32ELi8ELc67ELc67ELc85ELb0ELb0EddPKPKdPKPdEviT_T9_T10_S7_lS9_S7_lS8_T11_S7_li ; -- Begin function _ZL29rocblas_internal_gemmt_kernelIlLi16ELi32ELi8ELc67ELc67ELc85ELb0ELb0EddPKPKdPKPdEviT_T9_T10_S7_lS9_S7_lS8_T11_S7_li
	.p2align	8
	.type	_ZL29rocblas_internal_gemmt_kernelIlLi16ELi32ELi8ELc67ELc67ELc85ELb0ELb0EddPKPKdPKPdEviT_T9_T10_S7_lS9_S7_lS8_T11_S7_li,@function
_ZL29rocblas_internal_gemmt_kernelIlLi16ELi32ELi8ELc67ELc67ELc85ELb0ELb0EddPKPKdPKPdEviT_T9_T10_S7_lS9_S7_lS8_T11_S7_li: ; @_ZL29rocblas_internal_gemmt_kernelIlLi16ELi32ELi8ELc67ELc67ELc85ELb0ELb0EddPKPKdPKPdEviT_T9_T10_S7_lS9_S7_lS8_T11_S7_li
; %bb.0:
	s_load_dwordx8 s[24:31], s[0:1], 0x48
	s_load_dwordx16 s[8:23], s[0:1], 0x8
	s_waitcnt lgkmcnt(0)
	v_cmp_neq_f64_e64 s[6:7], s[24:25], 1.0
	s_and_b64 vcc, exec, s[6:7]
	s_cbranch_vccnz .LBB494_2
; %bb.1:
	s_cmp_lg_u64 s[8:9], 0
	s_cselect_b64 s[6:7], -1, 0
	v_cmp_neq_f64_e64 s[34:35], s[10:11], 0
	s_and_b64 s[6:7], s[6:7], s[34:35]
.LBB494_2:
	s_andn2_b64 vcc, exec, s[6:7]
	s_cbranch_vccnz .LBB494_28
; %bb.3:
	s_mov_b32 s5, 0
	s_load_dword s33, s[0:1], 0x0
	s_lshl_b64 s[0:1], s[4:5], 3
	s_add_u32 s4, s26, s0
	s_addc_u32 s5, s27, s1
	s_load_dwordx2 s[4:5], s[4:5], 0x0
	s_lshl_b32 s26, s2, 5
	s_lshl_b32 s27, s3, 5
	v_cmp_eq_f64_e64 s[2:3], s[10:11], 0
	v_cmp_lt_i64_e64 s[6:7], s[8:9], 1
	s_or_b64 s[2:3], s[2:3], s[6:7]
	v_and_b32_e32 v9, 0x3ff, v0
	v_bfe_u32 v11, v0, 10, 10
	v_mov_b64_e32 v[6:7], 0
	s_and_b64 vcc, exec, s[2:3]
	v_mov_b64_e32 v[4:5], 0
	v_mov_b64_e32 v[2:3], 0
	;; [unrolled: 1-line block ×3, first 2 shown]
	s_cbranch_vccnz .LBB494_12
; %bb.4:
	s_add_u32 s2, s18, s0
	s_addc_u32 s3, s19, s1
	s_load_dwordx2 s[2:3], s[2:3], 0x0
	s_lshl_b64 s[6:7], s[22:23], 3
	v_lshl_add_u32 v1, v11, 4, v9
	v_lshrrev_b32_e32 v10, 5, v1
	v_lshrrev_b32_e32 v4, 3, v1
	s_waitcnt lgkmcnt(0)
	s_add_u32 s6, s2, s6
	s_addc_u32 s7, s3, s7
	s_add_u32 s0, s12, s0
	s_addc_u32 s1, s13, s1
	s_load_dwordx2 s[0:1], s[0:1], 0x0
	v_and_b32_e32 v1, 31, v1
	s_lshl_b64 s[2:3], s[16:17], 3
	v_or_b32_e32 v2, s26, v1
	v_lshlrev_b32_e32 v1, 3, v1
	s_waitcnt lgkmcnt(0)
	s_add_u32 s2, s0, s2
	s_addc_u32 s3, s1, s3
	v_cmp_gt_i32_e64 s[0:1], s33, v2
	v_lshl_or_b32 v18, v10, 8, v1
	s_ashr_i32 s16, s26, 31
	v_mul_lo_u32 v1, s15, v2
	v_mad_u64_u32 v[2:3], s[12:13], s14, v2, 0
	v_and_b32_e32 v8, 7, v9
	s_mul_i32 s12, s14, s16
	v_add3_u32 v3, v3, s12, v1
	v_lshlrev_b32_e32 v1, 3, v8
	v_add_u32_e32 v0, s27, v4
	v_lshl_or_b32 v1, v4, 6, v1
	v_add_u32_e32 v19, 0x800, v1
	v_ashrrev_i32_e32 v1, 31, v0
	v_lshl_add_u64 v[12:13], v[2:3], 3, s[2:3]
	v_cmp_gt_i32_e64 s[2:3], s33, v0
	v_lshl_add_u64 v[14:15], v[0:1], 3, s[6:7]
	v_mov_b32_e32 v0, 0x800
	v_lshlrev_b32_e32 v20, 3, v9
	v_lshl_add_u32 v21, v11, 6, v0
	v_mov_b32_e32 v17, 0
	v_mov_b64_e32 v[0:1], 0
	s_mov_b64 s[6:7], 0
	v_mov_b64_e32 v[2:3], 0
	v_mov_b64_e32 v[4:5], 0
	;; [unrolled: 1-line block ×3, first 2 shown]
	s_branch .LBB494_6
.LBB494_5:                              ;   in Loop: Header=BB494_6 Depth=1
	s_or_b64 exec, exec, s[12:13]
	s_waitcnt vmcnt(0) lgkmcnt(0)
	ds_write_b64 v19, v[22:23]
	s_waitcnt lgkmcnt(0)
	s_barrier
	ds_read2_b64 v[22:25], v20 offset1:16
	ds_read_b128 v[26:29], v21
	ds_read_b128 v[30:33], v21 offset:16
	ds_read_b128 v[34:37], v21 offset:32
	;; [unrolled: 1-line block ×4, first 2 shown]
	ds_read2_b64 v[46:49], v20 offset0:32 offset1:48
	s_waitcnt lgkmcnt(5)
	v_fmac_f64_e32 v[6:7], v[22:23], v[26:27]
	v_fmac_f64_e32 v[4:5], v[24:25], v[26:27]
	ds_read_b128 v[50:53], v21 offset:1040
	s_waitcnt lgkmcnt(2)
	v_fmac_f64_e32 v[2:3], v[22:23], v[42:43]
	v_fmac_f64_e32 v[0:1], v[24:25], v[42:43]
	ds_read2_b64 v[22:25], v20 offset0:64 offset1:80
	s_waitcnt lgkmcnt(2)
	v_fmac_f64_e32 v[6:7], v[46:47], v[28:29]
	v_fmac_f64_e32 v[4:5], v[48:49], v[28:29]
	ds_read2_b64 v[26:29], v20 offset0:96 offset1:112
	v_fmac_f64_e32 v[2:3], v[46:47], v[44:45]
	v_fmac_f64_e32 v[0:1], v[48:49], v[44:45]
	s_waitcnt lgkmcnt(1)
	v_fmac_f64_e32 v[6:7], v[22:23], v[30:31]
	v_fmac_f64_e32 v[4:5], v[24:25], v[30:31]
	ds_read_b128 v[42:45], v21 offset:1072
	v_fmac_f64_e32 v[2:3], v[22:23], v[50:51]
	v_fmac_f64_e32 v[0:1], v[24:25], v[50:51]
	s_waitcnt lgkmcnt(1)
	v_fmac_f64_e32 v[6:7], v[26:27], v[32:33]
	ds_read2_b64 v[22:25], v20 offset0:128 offset1:144
	v_fmac_f64_e32 v[4:5], v[28:29], v[32:33]
	v_fmac_f64_e32 v[2:3], v[26:27], v[52:53]
	v_fmac_f64_e32 v[0:1], v[28:29], v[52:53]
	ds_read_b128 v[26:29], v21 offset:1056
	ds_read2_b64 v[30:33], v20 offset0:160 offset1:176
	s_waitcnt lgkmcnt(2)
	v_fmac_f64_e32 v[6:7], v[22:23], v[34:35]
	v_fmac_f64_e32 v[4:5], v[24:25], v[34:35]
	s_add_u32 s6, s6, 8
	s_waitcnt lgkmcnt(1)
	v_fmac_f64_e32 v[2:3], v[22:23], v[26:27]
	v_fmac_f64_e32 v[0:1], v[24:25], v[26:27]
	ds_read2_b64 v[22:25], v20 offset0:192 offset1:208
	s_waitcnt lgkmcnt(1)
	v_fmac_f64_e32 v[2:3], v[30:31], v[28:29]
	v_fmac_f64_e32 v[0:1], v[32:33], v[28:29]
	ds_read2_b64 v[26:29], v20 offset0:224 offset1:240
	v_fmac_f64_e32 v[6:7], v[30:31], v[36:37]
	s_addc_u32 s7, s7, 0
	v_fmac_f64_e32 v[4:5], v[32:33], v[36:37]
	s_waitcnt lgkmcnt(1)
	v_fmac_f64_e32 v[6:7], v[22:23], v[38:39]
	v_fmac_f64_e32 v[2:3], v[22:23], v[42:43]
	v_mov_b64_e32 v[22:23], s[6:7]
	v_fmac_f64_e32 v[4:5], v[24:25], v[38:39]
	v_fmac_f64_e32 v[0:1], v[24:25], v[42:43]
	v_cmp_gt_i64_e32 vcc, s[8:9], v[22:23]
	s_waitcnt lgkmcnt(0)
	v_fmac_f64_e32 v[6:7], v[26:27], v[40:41]
	v_fmac_f64_e32 v[4:5], v[28:29], v[40:41]
	;; [unrolled: 1-line block ×4, first 2 shown]
	s_barrier
	s_cbranch_vccz .LBB494_12
.LBB494_6:                              ; =>This Inner Loop Header: Depth=1
	v_mov_b64_e32 v[22:23], 0
	s_and_saveexec_b64 s[12:13], s[0:1]
	s_cbranch_execz .LBB494_10
; %bb.7:                                ;   in Loop: Header=BB494_6 Depth=1
	v_add_u32_e32 v16, s6, v10
	v_cmp_gt_u64_e32 vcc, s[8:9], v[16:17]
	v_mov_b64_e32 v[22:23], 0
	s_and_saveexec_b64 s[14:15], vcc
	s_cbranch_execz .LBB494_9
; %bb.8:                                ;   in Loop: Header=BB494_6 Depth=1
	v_lshl_add_u64 v[22:23], v[16:17], 3, v[12:13]
	flat_load_dwordx2 v[22:23], v[22:23]
.LBB494_9:                              ;   in Loop: Header=BB494_6 Depth=1
	s_or_b64 exec, exec, s[14:15]
.LBB494_10:                             ;   in Loop: Header=BB494_6 Depth=1
	s_or_b64 exec, exec, s[12:13]
	v_add_u32_e32 v16, s6, v8
	v_cmp_gt_u64_e32 vcc, s[8:9], v[16:17]
	s_waitcnt vmcnt(0) lgkmcnt(0)
	ds_write_b64 v18, v[22:23]
	s_and_b64 s[14:15], vcc, s[2:3]
	v_mov_b64_e32 v[22:23], 0
	s_and_saveexec_b64 s[12:13], s[14:15]
	s_cbranch_execz .LBB494_5
; %bb.11:                               ;   in Loop: Header=BB494_6 Depth=1
	v_mad_u64_u32 v[22:23], s[14:15], s20, v16, 0
	v_mov_b32_e32 v24, v23
	v_mad_u64_u32 v[24:25], s[14:15], s21, v16, v[24:25]
	v_mov_b32_e32 v23, v24
	v_lshl_add_u64 v[22:23], v[22:23], 3, v[14:15]
	flat_load_dwordx2 v[22:23], v[22:23]
	s_branch .LBB494_5
.LBB494_12:
	s_lshl_b64 s[0:1], s[30:31], 3
	s_waitcnt lgkmcnt(0)
	s_add_u32 s4, s4, s0
	v_add_u32_e32 v14, s27, v11
	s_addc_u32 s5, s5, s1
	v_add_u32_e32 v8, s26, v9
	v_ashrrev_i32_e32 v9, 31, v14
	v_mad_u64_u32 v[10:11], s[0:1], s28, v14, 0
	v_mul_lo_u32 v9, s28, v9
	v_mul_lo_u32 v12, s29, v14
	v_cmp_neq_f64_e64 s[0:1], s[24:25], 0
	v_cmp_gt_i32_e64 s[2:3], s33, v14
	v_add3_u32 v11, v11, v9, v12
	v_cmp_le_i32_e32 vcc, v8, v14
	v_cndmask_b32_e64 v12, 0, 1, s[0:1]
	v_lshl_add_u64 v[10:11], v[10:11], 3, s[4:5]
	s_and_b64 s[8:9], s[2:3], vcc
	v_ashrrev_i32_e32 v9, 31, v8
	v_cmp_ne_u32_e64 s[0:1], 1, v12
	s_and_saveexec_b64 s[6:7], s[8:9]
	s_cbranch_execz .LBB494_16
; %bb.13:
	v_mul_f64 v[6:7], s[10:11], v[6:7]
	s_and_b64 vcc, exec, s[0:1]
	v_lshl_add_u64 v[12:13], v[8:9], 3, v[10:11]
	s_cbranch_vccnz .LBB494_15
; %bb.14:
	flat_load_dwordx2 v[16:17], v[12:13]
	s_waitcnt vmcnt(0) lgkmcnt(0)
	v_fmac_f64_e32 v[6:7], s[24:25], v[16:17]
.LBB494_15:
	flat_store_dwordx2 v[12:13], v[6:7]
.LBB494_16:
	s_or_b64 exec, exec, s[6:7]
	v_add_u32_e32 v6, 16, v8
	v_cmp_le_i32_e32 vcc, v6, v14
	s_and_b64 s[6:7], s[2:3], vcc
	v_ashrrev_i32_e32 v7, 31, v6
	s_and_saveexec_b64 s[2:3], s[6:7]
	s_cbranch_execz .LBB494_20
; %bb.17:
	v_mul_f64 v[4:5], s[10:11], v[4:5]
	s_and_b64 vcc, exec, s[0:1]
	v_lshl_add_u64 v[10:11], v[6:7], 3, v[10:11]
	s_cbranch_vccnz .LBB494_19
; %bb.18:
	flat_load_dwordx2 v[12:13], v[10:11]
	s_waitcnt vmcnt(0) lgkmcnt(0)
	v_fmac_f64_e32 v[4:5], s[24:25], v[12:13]
.LBB494_19:
	flat_store_dwordx2 v[10:11], v[4:5]
.LBB494_20:
	s_or_b64 exec, exec, s[2:3]
	v_add_u32_e32 v10, 16, v14
	v_ashrrev_i32_e32 v4, 31, v10
	v_mul_lo_u32 v11, s28, v4
	v_mul_lo_u32 v12, s29, v10
	v_mad_u64_u32 v[4:5], s[6:7], s28, v10, 0
	v_cmp_gt_i32_e64 s[2:3], s33, v10
	v_add3_u32 v5, v5, v11, v12
	v_cmp_le_i32_e32 vcc, v8, v10
	v_lshl_add_u64 v[4:5], v[4:5], 3, s[4:5]
	s_and_b64 s[6:7], s[2:3], vcc
	s_and_saveexec_b64 s[4:5], s[6:7]
	s_cbranch_execz .LBB494_24
; %bb.21:
	v_mul_f64 v[2:3], s[10:11], v[2:3]
	s_and_b64 vcc, exec, s[0:1]
	v_lshl_add_u64 v[8:9], v[8:9], 3, v[4:5]
	s_cbranch_vccnz .LBB494_23
; %bb.22:
	flat_load_dwordx2 v[12:13], v[8:9]
	s_waitcnt vmcnt(0) lgkmcnt(0)
	v_fmac_f64_e32 v[2:3], s[24:25], v[12:13]
.LBB494_23:
	flat_store_dwordx2 v[8:9], v[2:3]
.LBB494_24:
	s_or_b64 exec, exec, s[4:5]
	v_cmp_le_i32_e32 vcc, v6, v10
	s_and_b64 s[2:3], s[2:3], vcc
	s_and_saveexec_b64 s[4:5], s[2:3]
	s_cbranch_execz .LBB494_28
; %bb.25:
	v_mul_f64 v[0:1], s[10:11], v[0:1]
	s_and_b64 vcc, exec, s[0:1]
	v_lshl_add_u64 v[2:3], v[6:7], 3, v[4:5]
	s_cbranch_vccnz .LBB494_27
; %bb.26:
	flat_load_dwordx2 v[4:5], v[2:3]
	s_waitcnt vmcnt(0) lgkmcnt(0)
	v_fmac_f64_e32 v[0:1], s[24:25], v[4:5]
.LBB494_27:
	flat_store_dwordx2 v[2:3], v[0:1]
.LBB494_28:
	s_endpgm
	.section	.rodata,"a",@progbits
	.p2align	6, 0x0
	.amdhsa_kernel _ZL29rocblas_internal_gemmt_kernelIlLi16ELi32ELi8ELc67ELc67ELc85ELb0ELb0EddPKPKdPKPdEviT_T9_T10_S7_lS9_S7_lS8_T11_S7_li
		.amdhsa_group_segment_fixed_size 4096
		.amdhsa_private_segment_fixed_size 0
		.amdhsa_kernarg_size 108
		.amdhsa_user_sgpr_count 2
		.amdhsa_user_sgpr_dispatch_ptr 0
		.amdhsa_user_sgpr_queue_ptr 0
		.amdhsa_user_sgpr_kernarg_segment_ptr 1
		.amdhsa_user_sgpr_dispatch_id 0
		.amdhsa_user_sgpr_kernarg_preload_length 0
		.amdhsa_user_sgpr_kernarg_preload_offset 0
		.amdhsa_user_sgpr_private_segment_size 0
		.amdhsa_uses_dynamic_stack 0
		.amdhsa_enable_private_segment 0
		.amdhsa_system_sgpr_workgroup_id_x 1
		.amdhsa_system_sgpr_workgroup_id_y 1
		.amdhsa_system_sgpr_workgroup_id_z 1
		.amdhsa_system_sgpr_workgroup_info 0
		.amdhsa_system_vgpr_workitem_id 1
		.amdhsa_next_free_vgpr 54
		.amdhsa_next_free_sgpr 36
		.amdhsa_accum_offset 56
		.amdhsa_reserve_vcc 1
		.amdhsa_float_round_mode_32 0
		.amdhsa_float_round_mode_16_64 0
		.amdhsa_float_denorm_mode_32 3
		.amdhsa_float_denorm_mode_16_64 3
		.amdhsa_dx10_clamp 1
		.amdhsa_ieee_mode 1
		.amdhsa_fp16_overflow 0
		.amdhsa_tg_split 0
		.amdhsa_exception_fp_ieee_invalid_op 0
		.amdhsa_exception_fp_denorm_src 0
		.amdhsa_exception_fp_ieee_div_zero 0
		.amdhsa_exception_fp_ieee_overflow 0
		.amdhsa_exception_fp_ieee_underflow 0
		.amdhsa_exception_fp_ieee_inexact 0
		.amdhsa_exception_int_div_zero 0
	.end_amdhsa_kernel
	.section	.text._ZL29rocblas_internal_gemmt_kernelIlLi16ELi32ELi8ELc67ELc67ELc85ELb0ELb0EddPKPKdPKPdEviT_T9_T10_S7_lS9_S7_lS8_T11_S7_li,"axG",@progbits,_ZL29rocblas_internal_gemmt_kernelIlLi16ELi32ELi8ELc67ELc67ELc85ELb0ELb0EddPKPKdPKPdEviT_T9_T10_S7_lS9_S7_lS8_T11_S7_li,comdat
.Lfunc_end494:
	.size	_ZL29rocblas_internal_gemmt_kernelIlLi16ELi32ELi8ELc67ELc67ELc85ELb0ELb0EddPKPKdPKPdEviT_T9_T10_S7_lS9_S7_lS8_T11_S7_li, .Lfunc_end494-_ZL29rocblas_internal_gemmt_kernelIlLi16ELi32ELi8ELc67ELc67ELc85ELb0ELb0EddPKPKdPKPdEviT_T9_T10_S7_lS9_S7_lS8_T11_S7_li
                                        ; -- End function
	.set _ZL29rocblas_internal_gemmt_kernelIlLi16ELi32ELi8ELc67ELc67ELc85ELb0ELb0EddPKPKdPKPdEviT_T9_T10_S7_lS9_S7_lS8_T11_S7_li.num_vgpr, 54
	.set _ZL29rocblas_internal_gemmt_kernelIlLi16ELi32ELi8ELc67ELc67ELc85ELb0ELb0EddPKPKdPKPdEviT_T9_T10_S7_lS9_S7_lS8_T11_S7_li.num_agpr, 0
	.set _ZL29rocblas_internal_gemmt_kernelIlLi16ELi32ELi8ELc67ELc67ELc85ELb0ELb0EddPKPKdPKPdEviT_T9_T10_S7_lS9_S7_lS8_T11_S7_li.numbered_sgpr, 36
	.set _ZL29rocblas_internal_gemmt_kernelIlLi16ELi32ELi8ELc67ELc67ELc85ELb0ELb0EddPKPKdPKPdEviT_T9_T10_S7_lS9_S7_lS8_T11_S7_li.num_named_barrier, 0
	.set _ZL29rocblas_internal_gemmt_kernelIlLi16ELi32ELi8ELc67ELc67ELc85ELb0ELb0EddPKPKdPKPdEviT_T9_T10_S7_lS9_S7_lS8_T11_S7_li.private_seg_size, 0
	.set _ZL29rocblas_internal_gemmt_kernelIlLi16ELi32ELi8ELc67ELc67ELc85ELb0ELb0EddPKPKdPKPdEviT_T9_T10_S7_lS9_S7_lS8_T11_S7_li.uses_vcc, 1
	.set _ZL29rocblas_internal_gemmt_kernelIlLi16ELi32ELi8ELc67ELc67ELc85ELb0ELb0EddPKPKdPKPdEviT_T9_T10_S7_lS9_S7_lS8_T11_S7_li.uses_flat_scratch, 0
	.set _ZL29rocblas_internal_gemmt_kernelIlLi16ELi32ELi8ELc67ELc67ELc85ELb0ELb0EddPKPKdPKPdEviT_T9_T10_S7_lS9_S7_lS8_T11_S7_li.has_dyn_sized_stack, 0
	.set _ZL29rocblas_internal_gemmt_kernelIlLi16ELi32ELi8ELc67ELc67ELc85ELb0ELb0EddPKPKdPKPdEviT_T9_T10_S7_lS9_S7_lS8_T11_S7_li.has_recursion, 0
	.set _ZL29rocblas_internal_gemmt_kernelIlLi16ELi32ELi8ELc67ELc67ELc85ELb0ELb0EddPKPKdPKPdEviT_T9_T10_S7_lS9_S7_lS8_T11_S7_li.has_indirect_call, 0
	.section	.AMDGPU.csdata,"",@progbits
; Kernel info:
; codeLenInByte = 1328
; TotalNumSgprs: 42
; NumVgprs: 54
; NumAgprs: 0
; TotalNumVgprs: 54
; ScratchSize: 0
; MemoryBound: 0
; FloatMode: 240
; IeeeMode: 1
; LDSByteSize: 4096 bytes/workgroup (compile time only)
; SGPRBlocks: 5
; VGPRBlocks: 6
; NumSGPRsForWavesPerEU: 42
; NumVGPRsForWavesPerEU: 54
; AccumOffset: 56
; Occupancy: 8
; WaveLimiterHint : 1
; COMPUTE_PGM_RSRC2:SCRATCH_EN: 0
; COMPUTE_PGM_RSRC2:USER_SGPR: 2
; COMPUTE_PGM_RSRC2:TRAP_HANDLER: 0
; COMPUTE_PGM_RSRC2:TGID_X_EN: 1
; COMPUTE_PGM_RSRC2:TGID_Y_EN: 1
; COMPUTE_PGM_RSRC2:TGID_Z_EN: 1
; COMPUTE_PGM_RSRC2:TIDIG_COMP_CNT: 1
; COMPUTE_PGM_RSRC3_GFX90A:ACCUM_OFFSET: 13
; COMPUTE_PGM_RSRC3_GFX90A:TG_SPLIT: 0
	.section	.text._ZL29rocblas_internal_gemmt_kernelIlLi16ELi32ELi8ELc78ELc78ELc76ELb0ELb0EddPKPKdPKPdEviT_T9_T10_S7_lS9_S7_lS8_T11_S7_li,"axG",@progbits,_ZL29rocblas_internal_gemmt_kernelIlLi16ELi32ELi8ELc78ELc78ELc76ELb0ELb0EddPKPKdPKPdEviT_T9_T10_S7_lS9_S7_lS8_T11_S7_li,comdat
	.globl	_ZL29rocblas_internal_gemmt_kernelIlLi16ELi32ELi8ELc78ELc78ELc76ELb0ELb0EddPKPKdPKPdEviT_T9_T10_S7_lS9_S7_lS8_T11_S7_li ; -- Begin function _ZL29rocblas_internal_gemmt_kernelIlLi16ELi32ELi8ELc78ELc78ELc76ELb0ELb0EddPKPKdPKPdEviT_T9_T10_S7_lS9_S7_lS8_T11_S7_li
	.p2align	8
	.type	_ZL29rocblas_internal_gemmt_kernelIlLi16ELi32ELi8ELc78ELc78ELc76ELb0ELb0EddPKPKdPKPdEviT_T9_T10_S7_lS9_S7_lS8_T11_S7_li,@function
_ZL29rocblas_internal_gemmt_kernelIlLi16ELi32ELi8ELc78ELc78ELc76ELb0ELb0EddPKPKdPKPdEviT_T9_T10_S7_lS9_S7_lS8_T11_S7_li: ; @_ZL29rocblas_internal_gemmt_kernelIlLi16ELi32ELi8ELc78ELc78ELc76ELb0ELb0EddPKPKdPKPdEviT_T9_T10_S7_lS9_S7_lS8_T11_S7_li
; %bb.0:
	s_load_dwordx8 s[24:31], s[0:1], 0x48
	s_load_dwordx16 s[8:23], s[0:1], 0x8
	s_waitcnt lgkmcnt(0)
	v_cmp_neq_f64_e64 s[6:7], s[24:25], 1.0
	s_and_b64 vcc, exec, s[6:7]
	s_cbranch_vccnz .LBB495_2
; %bb.1:
	s_cmp_lg_u64 s[8:9], 0
	s_cselect_b64 s[6:7], -1, 0
	v_cmp_neq_f64_e64 s[34:35], s[10:11], 0
	s_and_b64 s[6:7], s[6:7], s[34:35]
.LBB495_2:
	s_andn2_b64 vcc, exec, s[6:7]
	s_cbranch_vccnz .LBB495_28
; %bb.3:
	s_mov_b32 s5, 0
	s_load_dword s33, s[0:1], 0x0
	s_lshl_b64 s[0:1], s[4:5], 3
	s_add_u32 s4, s26, s0
	s_addc_u32 s5, s27, s1
	s_load_dwordx2 s[4:5], s[4:5], 0x0
	s_lshl_b32 s26, s2, 5
	s_lshl_b32 s27, s3, 5
	v_cmp_eq_f64_e64 s[2:3], s[10:11], 0
	v_cmp_lt_i64_e64 s[6:7], s[8:9], 1
	s_or_b64 s[2:3], s[2:3], s[6:7]
	v_and_b32_e32 v9, 0x3ff, v0
	v_bfe_u32 v11, v0, 10, 10
	v_mov_b64_e32 v[6:7], 0
	s_and_b64 vcc, exec, s[2:3]
	v_mov_b64_e32 v[4:5], 0
	v_mov_b64_e32 v[2:3], 0
	;; [unrolled: 1-line block ×3, first 2 shown]
	s_cbranch_vccnz .LBB495_12
; %bb.4:
	s_add_u32 s2, s18, s0
	s_addc_u32 s3, s19, s1
	s_load_dwordx2 s[2:3], s[2:3], 0x0
	s_lshl_b64 s[6:7], s[22:23], 3
	v_lshl_add_u32 v0, v11, 4, v9
	v_and_b32_e32 v1, 31, v0
	v_lshrrev_b32_e32 v10, 5, v0
	s_waitcnt lgkmcnt(0)
	s_add_u32 s6, s2, s6
	s_addc_u32 s7, s3, s7
	s_add_u32 s0, s12, s0
	s_addc_u32 s1, s13, s1
	s_load_dwordx2 s[0:1], s[0:1], 0x0
	s_lshl_b64 s[2:3], s[16:17], 3
	v_lshrrev_b32_e32 v2, 3, v0
	v_or_b32_e32 v0, s26, v1
	v_lshlrev_b32_e32 v1, 3, v1
	s_waitcnt lgkmcnt(0)
	s_add_u32 s2, s0, s2
	v_and_b32_e32 v8, 7, v9
	s_addc_u32 s3, s1, s3
	v_lshl_or_b32 v18, v10, 8, v1
	v_ashrrev_i32_e32 v1, 31, v0
	v_cmp_gt_i32_e64 s[0:1], s33, v0
	v_lshl_add_u64 v[12:13], v[0:1], 3, s[2:3]
	v_lshlrev_b32_e32 v0, 3, v8
	v_add_u32_e32 v3, s27, v2
	v_lshl_or_b32 v0, v2, 6, v0
	v_add_u32_e32 v19, 0x800, v0
	v_ashrrev_i32_e32 v0, 31, v3
	v_mul_lo_u32 v2, s20, v0
	v_mul_lo_u32 v4, s21, v3
	v_mad_u64_u32 v[0:1], s[12:13], s20, v3, 0
	v_add3_u32 v1, v1, v2, v4
	v_lshl_add_u64 v[14:15], v[0:1], 3, s[6:7]
	v_mov_b32_e32 v0, 0x800
	v_cmp_gt_i32_e64 s[2:3], s33, v3
	v_lshlrev_b32_e32 v20, 3, v9
	v_lshl_add_u32 v21, v11, 6, v0
	v_mov_b32_e32 v17, 0
	v_mov_b64_e32 v[0:1], 0
	s_mov_b64 s[6:7], 0
	v_mov_b64_e32 v[2:3], 0
	v_mov_b64_e32 v[4:5], 0
	;; [unrolled: 1-line block ×3, first 2 shown]
	s_branch .LBB495_6
.LBB495_5:                              ;   in Loop: Header=BB495_6 Depth=1
	s_or_b64 exec, exec, s[12:13]
	s_waitcnt vmcnt(0) lgkmcnt(0)
	ds_write_b64 v19, v[22:23]
	s_waitcnt lgkmcnt(0)
	s_barrier
	ds_read2_b64 v[22:25], v20 offset1:16
	ds_read_b128 v[26:29], v21
	ds_read_b128 v[30:33], v21 offset:16
	ds_read_b128 v[34:37], v21 offset:32
	;; [unrolled: 1-line block ×4, first 2 shown]
	ds_read2_b64 v[46:49], v20 offset0:32 offset1:48
	s_waitcnt lgkmcnt(5)
	v_fmac_f64_e32 v[6:7], v[22:23], v[26:27]
	v_fmac_f64_e32 v[4:5], v[24:25], v[26:27]
	ds_read_b128 v[50:53], v21 offset:1040
	s_waitcnt lgkmcnt(2)
	v_fmac_f64_e32 v[2:3], v[22:23], v[42:43]
	v_fmac_f64_e32 v[0:1], v[24:25], v[42:43]
	ds_read2_b64 v[22:25], v20 offset0:64 offset1:80
	s_waitcnt lgkmcnt(2)
	v_fmac_f64_e32 v[6:7], v[46:47], v[28:29]
	v_fmac_f64_e32 v[4:5], v[48:49], v[28:29]
	ds_read2_b64 v[26:29], v20 offset0:96 offset1:112
	v_fmac_f64_e32 v[2:3], v[46:47], v[44:45]
	v_fmac_f64_e32 v[0:1], v[48:49], v[44:45]
	s_waitcnt lgkmcnt(1)
	v_fmac_f64_e32 v[6:7], v[22:23], v[30:31]
	v_fmac_f64_e32 v[4:5], v[24:25], v[30:31]
	ds_read_b128 v[42:45], v21 offset:1072
	v_fmac_f64_e32 v[2:3], v[22:23], v[50:51]
	v_fmac_f64_e32 v[0:1], v[24:25], v[50:51]
	s_waitcnt lgkmcnt(1)
	v_fmac_f64_e32 v[6:7], v[26:27], v[32:33]
	ds_read2_b64 v[22:25], v20 offset0:128 offset1:144
	v_fmac_f64_e32 v[4:5], v[28:29], v[32:33]
	v_fmac_f64_e32 v[2:3], v[26:27], v[52:53]
	v_fmac_f64_e32 v[0:1], v[28:29], v[52:53]
	ds_read_b128 v[26:29], v21 offset:1056
	ds_read2_b64 v[30:33], v20 offset0:160 offset1:176
	s_waitcnt lgkmcnt(2)
	v_fmac_f64_e32 v[6:7], v[22:23], v[34:35]
	v_fmac_f64_e32 v[4:5], v[24:25], v[34:35]
	s_add_u32 s6, s6, 8
	s_waitcnt lgkmcnt(1)
	v_fmac_f64_e32 v[2:3], v[22:23], v[26:27]
	v_fmac_f64_e32 v[0:1], v[24:25], v[26:27]
	ds_read2_b64 v[22:25], v20 offset0:192 offset1:208
	s_waitcnt lgkmcnt(1)
	v_fmac_f64_e32 v[2:3], v[30:31], v[28:29]
	v_fmac_f64_e32 v[0:1], v[32:33], v[28:29]
	ds_read2_b64 v[26:29], v20 offset0:224 offset1:240
	v_fmac_f64_e32 v[6:7], v[30:31], v[36:37]
	s_addc_u32 s7, s7, 0
	v_fmac_f64_e32 v[4:5], v[32:33], v[36:37]
	s_waitcnt lgkmcnt(1)
	v_fmac_f64_e32 v[6:7], v[22:23], v[38:39]
	v_fmac_f64_e32 v[2:3], v[22:23], v[42:43]
	v_mov_b64_e32 v[22:23], s[6:7]
	v_fmac_f64_e32 v[4:5], v[24:25], v[38:39]
	v_fmac_f64_e32 v[0:1], v[24:25], v[42:43]
	v_cmp_gt_i64_e32 vcc, s[8:9], v[22:23]
	s_waitcnt lgkmcnt(0)
	v_fmac_f64_e32 v[6:7], v[26:27], v[40:41]
	v_fmac_f64_e32 v[4:5], v[28:29], v[40:41]
	;; [unrolled: 1-line block ×4, first 2 shown]
	s_barrier
	s_cbranch_vccz .LBB495_12
.LBB495_6:                              ; =>This Inner Loop Header: Depth=1
	v_mov_b64_e32 v[22:23], 0
	s_and_saveexec_b64 s[12:13], s[0:1]
	s_cbranch_execz .LBB495_10
; %bb.7:                                ;   in Loop: Header=BB495_6 Depth=1
	v_add_u32_e32 v16, s6, v10
	v_cmp_gt_u64_e32 vcc, s[8:9], v[16:17]
	v_mov_b64_e32 v[22:23], 0
	s_and_saveexec_b64 s[16:17], vcc
	s_cbranch_execz .LBB495_9
; %bb.8:                                ;   in Loop: Header=BB495_6 Depth=1
	v_mad_u64_u32 v[22:23], s[18:19], s14, v16, 0
	v_mov_b32_e32 v24, v23
	v_mad_u64_u32 v[24:25], s[18:19], s15, v16, v[24:25]
	v_mov_b32_e32 v23, v24
	v_lshl_add_u64 v[22:23], v[22:23], 3, v[12:13]
	flat_load_dwordx2 v[22:23], v[22:23]
.LBB495_9:                              ;   in Loop: Header=BB495_6 Depth=1
	s_or_b64 exec, exec, s[16:17]
.LBB495_10:                             ;   in Loop: Header=BB495_6 Depth=1
	s_or_b64 exec, exec, s[12:13]
	v_add_u32_e32 v16, s6, v8
	v_cmp_gt_u64_e32 vcc, s[8:9], v[16:17]
	s_waitcnt vmcnt(0) lgkmcnt(0)
	ds_write_b64 v18, v[22:23]
	s_and_b64 s[16:17], vcc, s[2:3]
	v_mov_b64_e32 v[22:23], 0
	s_and_saveexec_b64 s[12:13], s[16:17]
	s_cbranch_execz .LBB495_5
; %bb.11:                               ;   in Loop: Header=BB495_6 Depth=1
	v_lshl_add_u64 v[22:23], v[16:17], 3, v[14:15]
	flat_load_dwordx2 v[22:23], v[22:23]
	s_branch .LBB495_5
.LBB495_12:
	s_lshl_b64 s[0:1], s[30:31], 3
	s_waitcnt lgkmcnt(0)
	s_add_u32 s6, s4, s0
	v_add_u32_e32 v14, s27, v11
	s_addc_u32 s7, s5, s1
	v_add_u32_e32 v8, s26, v9
	v_ashrrev_i32_e32 v9, 31, v14
	v_mad_u64_u32 v[10:11], s[0:1], s28, v14, 0
	v_mul_lo_u32 v9, s28, v9
	v_mul_lo_u32 v12, s29, v14
	v_cmp_neq_f64_e64 s[0:1], s[24:25], 0
	v_add3_u32 v11, v11, v9, v12
	v_cmp_le_i32_e32 vcc, v14, v8
	v_cmp_gt_i32_e64 s[2:3], s33, v8
	v_cndmask_b32_e64 v12, 0, 1, s[0:1]
	v_lshl_add_u64 v[10:11], v[10:11], 3, s[6:7]
	s_and_b64 s[8:9], vcc, s[2:3]
	v_ashrrev_i32_e32 v9, 31, v8
	v_cmp_ne_u32_e64 s[0:1], 1, v12
	s_and_saveexec_b64 s[4:5], s[8:9]
	s_cbranch_execz .LBB495_16
; %bb.13:
	v_mul_f64 v[6:7], s[10:11], v[6:7]
	s_and_b64 vcc, exec, s[0:1]
	v_lshl_add_u64 v[12:13], v[8:9], 3, v[10:11]
	s_cbranch_vccnz .LBB495_15
; %bb.14:
	flat_load_dwordx2 v[16:17], v[12:13]
	s_waitcnt vmcnt(0) lgkmcnt(0)
	v_fmac_f64_e32 v[6:7], s[24:25], v[16:17]
.LBB495_15:
	flat_store_dwordx2 v[12:13], v[6:7]
.LBB495_16:
	s_or_b64 exec, exec, s[4:5]
	v_add_u32_e32 v6, 16, v8
	v_cmp_le_i32_e32 vcc, v14, v6
	v_cmp_gt_i32_e64 s[4:5], s33, v6
	s_and_b64 s[12:13], vcc, s[4:5]
	v_ashrrev_i32_e32 v7, 31, v6
	s_and_saveexec_b64 s[8:9], s[12:13]
	s_cbranch_execz .LBB495_20
; %bb.17:
	v_mul_f64 v[4:5], s[10:11], v[4:5]
	s_and_b64 vcc, exec, s[0:1]
	v_lshl_add_u64 v[10:11], v[6:7], 3, v[10:11]
	s_cbranch_vccnz .LBB495_19
; %bb.18:
	flat_load_dwordx2 v[12:13], v[10:11]
	s_waitcnt vmcnt(0) lgkmcnt(0)
	v_fmac_f64_e32 v[4:5], s[24:25], v[12:13]
.LBB495_19:
	flat_store_dwordx2 v[10:11], v[4:5]
.LBB495_20:
	s_or_b64 exec, exec, s[8:9]
	v_add_u32_e32 v10, 16, v14
	v_ashrrev_i32_e32 v4, 31, v10
	v_mul_lo_u32 v11, s28, v4
	v_mul_lo_u32 v12, s29, v10
	v_mad_u64_u32 v[4:5], s[8:9], s28, v10, 0
	v_add3_u32 v5, v5, v11, v12
	v_cmp_le_i32_e32 vcc, v10, v8
	v_lshl_add_u64 v[4:5], v[4:5], 3, s[6:7]
	s_and_b64 s[6:7], vcc, s[2:3]
	s_and_saveexec_b64 s[2:3], s[6:7]
	s_cbranch_execz .LBB495_24
; %bb.21:
	v_mul_f64 v[2:3], s[10:11], v[2:3]
	s_and_b64 vcc, exec, s[0:1]
	v_lshl_add_u64 v[8:9], v[8:9], 3, v[4:5]
	s_cbranch_vccnz .LBB495_23
; %bb.22:
	flat_load_dwordx2 v[12:13], v[8:9]
	s_waitcnt vmcnt(0) lgkmcnt(0)
	v_fmac_f64_e32 v[2:3], s[24:25], v[12:13]
.LBB495_23:
	flat_store_dwordx2 v[8:9], v[2:3]
.LBB495_24:
	s_or_b64 exec, exec, s[2:3]
	v_cmp_le_i32_e32 vcc, v10, v6
	s_and_b64 s[2:3], vcc, s[4:5]
	s_and_saveexec_b64 s[4:5], s[2:3]
	s_cbranch_execz .LBB495_28
; %bb.25:
	v_mul_f64 v[0:1], s[10:11], v[0:1]
	s_and_b64 vcc, exec, s[0:1]
	v_lshl_add_u64 v[2:3], v[6:7], 3, v[4:5]
	s_cbranch_vccnz .LBB495_27
; %bb.26:
	flat_load_dwordx2 v[4:5], v[2:3]
	s_waitcnt vmcnt(0) lgkmcnt(0)
	v_fmac_f64_e32 v[0:1], s[24:25], v[4:5]
.LBB495_27:
	flat_store_dwordx2 v[2:3], v[0:1]
.LBB495_28:
	s_endpgm
	.section	.rodata,"a",@progbits
	.p2align	6, 0x0
	.amdhsa_kernel _ZL29rocblas_internal_gemmt_kernelIlLi16ELi32ELi8ELc78ELc78ELc76ELb0ELb0EddPKPKdPKPdEviT_T9_T10_S7_lS9_S7_lS8_T11_S7_li
		.amdhsa_group_segment_fixed_size 4096
		.amdhsa_private_segment_fixed_size 0
		.amdhsa_kernarg_size 108
		.amdhsa_user_sgpr_count 2
		.amdhsa_user_sgpr_dispatch_ptr 0
		.amdhsa_user_sgpr_queue_ptr 0
		.amdhsa_user_sgpr_kernarg_segment_ptr 1
		.amdhsa_user_sgpr_dispatch_id 0
		.amdhsa_user_sgpr_kernarg_preload_length 0
		.amdhsa_user_sgpr_kernarg_preload_offset 0
		.amdhsa_user_sgpr_private_segment_size 0
		.amdhsa_uses_dynamic_stack 0
		.amdhsa_enable_private_segment 0
		.amdhsa_system_sgpr_workgroup_id_x 1
		.amdhsa_system_sgpr_workgroup_id_y 1
		.amdhsa_system_sgpr_workgroup_id_z 1
		.amdhsa_system_sgpr_workgroup_info 0
		.amdhsa_system_vgpr_workitem_id 1
		.amdhsa_next_free_vgpr 54
		.amdhsa_next_free_sgpr 36
		.amdhsa_accum_offset 56
		.amdhsa_reserve_vcc 1
		.amdhsa_float_round_mode_32 0
		.amdhsa_float_round_mode_16_64 0
		.amdhsa_float_denorm_mode_32 3
		.amdhsa_float_denorm_mode_16_64 3
		.amdhsa_dx10_clamp 1
		.amdhsa_ieee_mode 1
		.amdhsa_fp16_overflow 0
		.amdhsa_tg_split 0
		.amdhsa_exception_fp_ieee_invalid_op 0
		.amdhsa_exception_fp_denorm_src 0
		.amdhsa_exception_fp_ieee_div_zero 0
		.amdhsa_exception_fp_ieee_overflow 0
		.amdhsa_exception_fp_ieee_underflow 0
		.amdhsa_exception_fp_ieee_inexact 0
		.amdhsa_exception_int_div_zero 0
	.end_amdhsa_kernel
	.section	.text._ZL29rocblas_internal_gemmt_kernelIlLi16ELi32ELi8ELc78ELc78ELc76ELb0ELb0EddPKPKdPKPdEviT_T9_T10_S7_lS9_S7_lS8_T11_S7_li,"axG",@progbits,_ZL29rocblas_internal_gemmt_kernelIlLi16ELi32ELi8ELc78ELc78ELc76ELb0ELb0EddPKPKdPKPdEviT_T9_T10_S7_lS9_S7_lS8_T11_S7_li,comdat
.Lfunc_end495:
	.size	_ZL29rocblas_internal_gemmt_kernelIlLi16ELi32ELi8ELc78ELc78ELc76ELb0ELb0EddPKPKdPKPdEviT_T9_T10_S7_lS9_S7_lS8_T11_S7_li, .Lfunc_end495-_ZL29rocblas_internal_gemmt_kernelIlLi16ELi32ELi8ELc78ELc78ELc76ELb0ELb0EddPKPKdPKPdEviT_T9_T10_S7_lS9_S7_lS8_T11_S7_li
                                        ; -- End function
	.set _ZL29rocblas_internal_gemmt_kernelIlLi16ELi32ELi8ELc78ELc78ELc76ELb0ELb0EddPKPKdPKPdEviT_T9_T10_S7_lS9_S7_lS8_T11_S7_li.num_vgpr, 54
	.set _ZL29rocblas_internal_gemmt_kernelIlLi16ELi32ELi8ELc78ELc78ELc76ELb0ELb0EddPKPKdPKPdEviT_T9_T10_S7_lS9_S7_lS8_T11_S7_li.num_agpr, 0
	.set _ZL29rocblas_internal_gemmt_kernelIlLi16ELi32ELi8ELc78ELc78ELc76ELb0ELb0EddPKPKdPKPdEviT_T9_T10_S7_lS9_S7_lS8_T11_S7_li.numbered_sgpr, 36
	.set _ZL29rocblas_internal_gemmt_kernelIlLi16ELi32ELi8ELc78ELc78ELc76ELb0ELb0EddPKPKdPKPdEviT_T9_T10_S7_lS9_S7_lS8_T11_S7_li.num_named_barrier, 0
	.set _ZL29rocblas_internal_gemmt_kernelIlLi16ELi32ELi8ELc78ELc78ELc76ELb0ELb0EddPKPKdPKPdEviT_T9_T10_S7_lS9_S7_lS8_T11_S7_li.private_seg_size, 0
	.set _ZL29rocblas_internal_gemmt_kernelIlLi16ELi32ELi8ELc78ELc78ELc76ELb0ELb0EddPKPKdPKPdEviT_T9_T10_S7_lS9_S7_lS8_T11_S7_li.uses_vcc, 1
	.set _ZL29rocblas_internal_gemmt_kernelIlLi16ELi32ELi8ELc78ELc78ELc76ELb0ELb0EddPKPKdPKPdEviT_T9_T10_S7_lS9_S7_lS8_T11_S7_li.uses_flat_scratch, 0
	.set _ZL29rocblas_internal_gemmt_kernelIlLi16ELi32ELi8ELc78ELc78ELc76ELb0ELb0EddPKPKdPKPdEviT_T9_T10_S7_lS9_S7_lS8_T11_S7_li.has_dyn_sized_stack, 0
	.set _ZL29rocblas_internal_gemmt_kernelIlLi16ELi32ELi8ELc78ELc78ELc76ELb0ELb0EddPKPKdPKPdEviT_T9_T10_S7_lS9_S7_lS8_T11_S7_li.has_recursion, 0
	.set _ZL29rocblas_internal_gemmt_kernelIlLi16ELi32ELi8ELc78ELc78ELc76ELb0ELb0EddPKPKdPKPdEviT_T9_T10_S7_lS9_S7_lS8_T11_S7_li.has_indirect_call, 0
	.section	.AMDGPU.csdata,"",@progbits
; Kernel info:
; codeLenInByte = 1332
; TotalNumSgprs: 42
; NumVgprs: 54
; NumAgprs: 0
; TotalNumVgprs: 54
; ScratchSize: 0
; MemoryBound: 0
; FloatMode: 240
; IeeeMode: 1
; LDSByteSize: 4096 bytes/workgroup (compile time only)
; SGPRBlocks: 5
; VGPRBlocks: 6
; NumSGPRsForWavesPerEU: 42
; NumVGPRsForWavesPerEU: 54
; AccumOffset: 56
; Occupancy: 8
; WaveLimiterHint : 1
; COMPUTE_PGM_RSRC2:SCRATCH_EN: 0
; COMPUTE_PGM_RSRC2:USER_SGPR: 2
; COMPUTE_PGM_RSRC2:TRAP_HANDLER: 0
; COMPUTE_PGM_RSRC2:TGID_X_EN: 1
; COMPUTE_PGM_RSRC2:TGID_Y_EN: 1
; COMPUTE_PGM_RSRC2:TGID_Z_EN: 1
; COMPUTE_PGM_RSRC2:TIDIG_COMP_CNT: 1
; COMPUTE_PGM_RSRC3_GFX90A:ACCUM_OFFSET: 13
; COMPUTE_PGM_RSRC3_GFX90A:TG_SPLIT: 0
	.section	.text._ZL29rocblas_internal_gemmt_kernelIlLi16ELi32ELi8ELc78ELc84ELc76ELb0ELb0EddPKPKdPKPdEviT_T9_T10_S7_lS9_S7_lS8_T11_S7_li,"axG",@progbits,_ZL29rocblas_internal_gemmt_kernelIlLi16ELi32ELi8ELc78ELc84ELc76ELb0ELb0EddPKPKdPKPdEviT_T9_T10_S7_lS9_S7_lS8_T11_S7_li,comdat
	.globl	_ZL29rocblas_internal_gemmt_kernelIlLi16ELi32ELi8ELc78ELc84ELc76ELb0ELb0EddPKPKdPKPdEviT_T9_T10_S7_lS9_S7_lS8_T11_S7_li ; -- Begin function _ZL29rocblas_internal_gemmt_kernelIlLi16ELi32ELi8ELc78ELc84ELc76ELb0ELb0EddPKPKdPKPdEviT_T9_T10_S7_lS9_S7_lS8_T11_S7_li
	.p2align	8
	.type	_ZL29rocblas_internal_gemmt_kernelIlLi16ELi32ELi8ELc78ELc84ELc76ELb0ELb0EddPKPKdPKPdEviT_T9_T10_S7_lS9_S7_lS8_T11_S7_li,@function
_ZL29rocblas_internal_gemmt_kernelIlLi16ELi32ELi8ELc78ELc84ELc76ELb0ELb0EddPKPKdPKPdEviT_T9_T10_S7_lS9_S7_lS8_T11_S7_li: ; @_ZL29rocblas_internal_gemmt_kernelIlLi16ELi32ELi8ELc78ELc84ELc76ELb0ELb0EddPKPKdPKPdEviT_T9_T10_S7_lS9_S7_lS8_T11_S7_li
; %bb.0:
	s_load_dwordx8 s[24:31], s[0:1], 0x48
	s_load_dwordx16 s[8:23], s[0:1], 0x8
	s_waitcnt lgkmcnt(0)
	v_cmp_neq_f64_e64 s[6:7], s[24:25], 1.0
	s_and_b64 vcc, exec, s[6:7]
	s_cbranch_vccnz .LBB496_2
; %bb.1:
	s_cmp_lg_u64 s[8:9], 0
	s_cselect_b64 s[6:7], -1, 0
	v_cmp_neq_f64_e64 s[34:35], s[10:11], 0
	s_and_b64 s[6:7], s[6:7], s[34:35]
.LBB496_2:
	s_andn2_b64 vcc, exec, s[6:7]
	s_cbranch_vccnz .LBB496_28
; %bb.3:
	s_mov_b32 s5, 0
	s_load_dword s33, s[0:1], 0x0
	s_lshl_b64 s[0:1], s[4:5], 3
	s_add_u32 s4, s26, s0
	s_addc_u32 s5, s27, s1
	s_load_dwordx2 s[4:5], s[4:5], 0x0
	s_lshl_b32 s26, s2, 5
	s_lshl_b32 s27, s3, 5
	v_cmp_eq_f64_e64 s[2:3], s[10:11], 0
	v_cmp_lt_i64_e64 s[6:7], s[8:9], 1
	s_or_b64 s[2:3], s[2:3], s[6:7]
	v_and_b32_e32 v9, 0x3ff, v0
	v_bfe_u32 v11, v0, 10, 10
	v_mov_b64_e32 v[6:7], 0
	s_and_b64 vcc, exec, s[2:3]
	v_mov_b64_e32 v[4:5], 0
	v_mov_b64_e32 v[2:3], 0
	;; [unrolled: 1-line block ×3, first 2 shown]
	s_cbranch_vccnz .LBB496_12
; %bb.4:
	s_add_u32 s2, s18, s0
	s_addc_u32 s3, s19, s1
	s_load_dwordx2 s[2:3], s[2:3], 0x0
	s_lshl_b64 s[6:7], s[22:23], 3
	v_lshl_add_u32 v1, v11, 4, v9
	v_lshrrev_b32_e32 v10, 5, v1
	v_lshrrev_b32_e32 v4, 3, v1
	s_waitcnt lgkmcnt(0)
	s_add_u32 s6, s2, s6
	s_addc_u32 s7, s3, s7
	s_add_u32 s0, s12, s0
	s_addc_u32 s1, s13, s1
	s_load_dwordx2 s[0:1], s[0:1], 0x0
	v_and_b32_e32 v1, 31, v1
	v_and_b32_e32 v8, 7, v9
	v_or_b32_e32 v2, s26, v1
	v_lshlrev_b32_e32 v1, 3, v1
	s_lshl_b64 s[2:3], s[16:17], 3
	v_lshl_or_b32 v18, v10, 8, v1
	v_lshlrev_b32_e32 v1, 3, v8
	v_add_u32_e32 v0, s27, v4
	s_waitcnt lgkmcnt(0)
	s_add_u32 s2, s0, s2
	v_lshl_or_b32 v1, v4, 6, v1
	s_addc_u32 s3, s1, s3
	v_ashrrev_i32_e32 v3, 31, v2
	v_add_u32_e32 v19, 0x800, v1
	v_ashrrev_i32_e32 v1, 31, v0
	v_lshl_add_u64 v[12:13], v[2:3], 3, s[2:3]
	v_cmp_gt_i32_e64 s[2:3], s33, v0
	v_lshl_add_u64 v[14:15], v[0:1], 3, s[6:7]
	v_mov_b32_e32 v0, 0x800
	v_cmp_gt_i32_e64 s[0:1], s33, v2
	v_lshlrev_b32_e32 v20, 3, v9
	v_lshl_add_u32 v21, v11, 6, v0
	v_mov_b32_e32 v17, 0
	v_mov_b64_e32 v[0:1], 0
	s_mov_b64 s[6:7], 0
	v_mov_b64_e32 v[2:3], 0
	v_mov_b64_e32 v[4:5], 0
	;; [unrolled: 1-line block ×3, first 2 shown]
	s_branch .LBB496_6
.LBB496_5:                              ;   in Loop: Header=BB496_6 Depth=1
	s_or_b64 exec, exec, s[12:13]
	s_waitcnt vmcnt(0) lgkmcnt(0)
	ds_write_b64 v19, v[22:23]
	s_waitcnt lgkmcnt(0)
	s_barrier
	ds_read2_b64 v[22:25], v20 offset1:16
	ds_read_b128 v[26:29], v21
	ds_read_b128 v[30:33], v21 offset:16
	ds_read_b128 v[34:37], v21 offset:32
	;; [unrolled: 1-line block ×4, first 2 shown]
	ds_read2_b64 v[46:49], v20 offset0:32 offset1:48
	s_waitcnt lgkmcnt(5)
	v_fmac_f64_e32 v[6:7], v[22:23], v[26:27]
	v_fmac_f64_e32 v[4:5], v[24:25], v[26:27]
	ds_read_b128 v[50:53], v21 offset:1040
	s_waitcnt lgkmcnt(2)
	v_fmac_f64_e32 v[2:3], v[22:23], v[42:43]
	v_fmac_f64_e32 v[0:1], v[24:25], v[42:43]
	ds_read2_b64 v[22:25], v20 offset0:64 offset1:80
	s_waitcnt lgkmcnt(2)
	v_fmac_f64_e32 v[6:7], v[46:47], v[28:29]
	v_fmac_f64_e32 v[4:5], v[48:49], v[28:29]
	ds_read2_b64 v[26:29], v20 offset0:96 offset1:112
	v_fmac_f64_e32 v[2:3], v[46:47], v[44:45]
	v_fmac_f64_e32 v[0:1], v[48:49], v[44:45]
	s_waitcnt lgkmcnt(1)
	v_fmac_f64_e32 v[6:7], v[22:23], v[30:31]
	v_fmac_f64_e32 v[4:5], v[24:25], v[30:31]
	ds_read_b128 v[42:45], v21 offset:1072
	v_fmac_f64_e32 v[2:3], v[22:23], v[50:51]
	v_fmac_f64_e32 v[0:1], v[24:25], v[50:51]
	s_waitcnt lgkmcnt(1)
	v_fmac_f64_e32 v[6:7], v[26:27], v[32:33]
	ds_read2_b64 v[22:25], v20 offset0:128 offset1:144
	v_fmac_f64_e32 v[4:5], v[28:29], v[32:33]
	v_fmac_f64_e32 v[2:3], v[26:27], v[52:53]
	;; [unrolled: 1-line block ×3, first 2 shown]
	ds_read_b128 v[26:29], v21 offset:1056
	ds_read2_b64 v[30:33], v20 offset0:160 offset1:176
	s_waitcnt lgkmcnt(2)
	v_fmac_f64_e32 v[6:7], v[22:23], v[34:35]
	v_fmac_f64_e32 v[4:5], v[24:25], v[34:35]
	s_add_u32 s6, s6, 8
	s_waitcnt lgkmcnt(1)
	v_fmac_f64_e32 v[2:3], v[22:23], v[26:27]
	v_fmac_f64_e32 v[0:1], v[24:25], v[26:27]
	ds_read2_b64 v[22:25], v20 offset0:192 offset1:208
	s_waitcnt lgkmcnt(1)
	v_fmac_f64_e32 v[2:3], v[30:31], v[28:29]
	v_fmac_f64_e32 v[0:1], v[32:33], v[28:29]
	ds_read2_b64 v[26:29], v20 offset0:224 offset1:240
	v_fmac_f64_e32 v[6:7], v[30:31], v[36:37]
	s_addc_u32 s7, s7, 0
	v_fmac_f64_e32 v[4:5], v[32:33], v[36:37]
	s_waitcnt lgkmcnt(1)
	v_fmac_f64_e32 v[6:7], v[22:23], v[38:39]
	v_fmac_f64_e32 v[2:3], v[22:23], v[42:43]
	v_mov_b64_e32 v[22:23], s[6:7]
	v_fmac_f64_e32 v[4:5], v[24:25], v[38:39]
	v_fmac_f64_e32 v[0:1], v[24:25], v[42:43]
	v_cmp_gt_i64_e32 vcc, s[8:9], v[22:23]
	s_waitcnt lgkmcnt(0)
	v_fmac_f64_e32 v[6:7], v[26:27], v[40:41]
	v_fmac_f64_e32 v[4:5], v[28:29], v[40:41]
	;; [unrolled: 1-line block ×4, first 2 shown]
	s_barrier
	s_cbranch_vccz .LBB496_12
.LBB496_6:                              ; =>This Inner Loop Header: Depth=1
	v_mov_b64_e32 v[22:23], 0
	s_and_saveexec_b64 s[12:13], s[0:1]
	s_cbranch_execz .LBB496_10
; %bb.7:                                ;   in Loop: Header=BB496_6 Depth=1
	v_add_u32_e32 v16, s6, v10
	v_cmp_gt_u64_e32 vcc, s[8:9], v[16:17]
	v_mov_b64_e32 v[22:23], 0
	s_and_saveexec_b64 s[16:17], vcc
	s_cbranch_execz .LBB496_9
; %bb.8:                                ;   in Loop: Header=BB496_6 Depth=1
	v_mad_u64_u32 v[22:23], s[18:19], s14, v16, 0
	v_mov_b32_e32 v24, v23
	v_mad_u64_u32 v[24:25], s[18:19], s15, v16, v[24:25]
	v_mov_b32_e32 v23, v24
	v_lshl_add_u64 v[22:23], v[22:23], 3, v[12:13]
	flat_load_dwordx2 v[22:23], v[22:23]
.LBB496_9:                              ;   in Loop: Header=BB496_6 Depth=1
	s_or_b64 exec, exec, s[16:17]
.LBB496_10:                             ;   in Loop: Header=BB496_6 Depth=1
	s_or_b64 exec, exec, s[12:13]
	v_add_u32_e32 v16, s6, v8
	v_cmp_gt_u64_e32 vcc, s[8:9], v[16:17]
	s_waitcnt vmcnt(0) lgkmcnt(0)
	ds_write_b64 v18, v[22:23]
	s_and_b64 s[16:17], vcc, s[2:3]
	v_mov_b64_e32 v[22:23], 0
	s_and_saveexec_b64 s[12:13], s[16:17]
	s_cbranch_execz .LBB496_5
; %bb.11:                               ;   in Loop: Header=BB496_6 Depth=1
	v_mad_u64_u32 v[22:23], s[16:17], s20, v16, 0
	v_mov_b32_e32 v24, v23
	v_mad_u64_u32 v[24:25], s[16:17], s21, v16, v[24:25]
	v_mov_b32_e32 v23, v24
	v_lshl_add_u64 v[22:23], v[22:23], 3, v[14:15]
	flat_load_dwordx2 v[22:23], v[22:23]
	s_branch .LBB496_5
.LBB496_12:
	s_lshl_b64 s[0:1], s[30:31], 3
	s_waitcnt lgkmcnt(0)
	s_add_u32 s6, s4, s0
	v_add_u32_e32 v14, s27, v11
	s_addc_u32 s7, s5, s1
	v_add_u32_e32 v8, s26, v9
	v_ashrrev_i32_e32 v9, 31, v14
	v_mad_u64_u32 v[10:11], s[0:1], s28, v14, 0
	v_mul_lo_u32 v9, s28, v9
	v_mul_lo_u32 v12, s29, v14
	v_cmp_neq_f64_e64 s[0:1], s[24:25], 0
	v_add3_u32 v11, v11, v9, v12
	v_cmp_le_i32_e32 vcc, v14, v8
	v_cmp_gt_i32_e64 s[2:3], s33, v8
	v_cndmask_b32_e64 v12, 0, 1, s[0:1]
	v_lshl_add_u64 v[10:11], v[10:11], 3, s[6:7]
	s_and_b64 s[8:9], vcc, s[2:3]
	v_ashrrev_i32_e32 v9, 31, v8
	v_cmp_ne_u32_e64 s[0:1], 1, v12
	s_and_saveexec_b64 s[4:5], s[8:9]
	s_cbranch_execz .LBB496_16
; %bb.13:
	v_mul_f64 v[6:7], s[10:11], v[6:7]
	s_and_b64 vcc, exec, s[0:1]
	v_lshl_add_u64 v[12:13], v[8:9], 3, v[10:11]
	s_cbranch_vccnz .LBB496_15
; %bb.14:
	flat_load_dwordx2 v[16:17], v[12:13]
	s_waitcnt vmcnt(0) lgkmcnt(0)
	v_fmac_f64_e32 v[6:7], s[24:25], v[16:17]
.LBB496_15:
	flat_store_dwordx2 v[12:13], v[6:7]
.LBB496_16:
	s_or_b64 exec, exec, s[4:5]
	v_add_u32_e32 v6, 16, v8
	v_cmp_le_i32_e32 vcc, v14, v6
	v_cmp_gt_i32_e64 s[4:5], s33, v6
	s_and_b64 s[12:13], vcc, s[4:5]
	v_ashrrev_i32_e32 v7, 31, v6
	s_and_saveexec_b64 s[8:9], s[12:13]
	s_cbranch_execz .LBB496_20
; %bb.17:
	v_mul_f64 v[4:5], s[10:11], v[4:5]
	s_and_b64 vcc, exec, s[0:1]
	v_lshl_add_u64 v[10:11], v[6:7], 3, v[10:11]
	s_cbranch_vccnz .LBB496_19
; %bb.18:
	flat_load_dwordx2 v[12:13], v[10:11]
	s_waitcnt vmcnt(0) lgkmcnt(0)
	v_fmac_f64_e32 v[4:5], s[24:25], v[12:13]
.LBB496_19:
	flat_store_dwordx2 v[10:11], v[4:5]
.LBB496_20:
	s_or_b64 exec, exec, s[8:9]
	v_add_u32_e32 v10, 16, v14
	v_ashrrev_i32_e32 v4, 31, v10
	v_mul_lo_u32 v11, s28, v4
	v_mul_lo_u32 v12, s29, v10
	v_mad_u64_u32 v[4:5], s[8:9], s28, v10, 0
	v_add3_u32 v5, v5, v11, v12
	v_cmp_le_i32_e32 vcc, v10, v8
	v_lshl_add_u64 v[4:5], v[4:5], 3, s[6:7]
	s_and_b64 s[6:7], vcc, s[2:3]
	s_and_saveexec_b64 s[2:3], s[6:7]
	s_cbranch_execz .LBB496_24
; %bb.21:
	v_mul_f64 v[2:3], s[10:11], v[2:3]
	s_and_b64 vcc, exec, s[0:1]
	v_lshl_add_u64 v[8:9], v[8:9], 3, v[4:5]
	s_cbranch_vccnz .LBB496_23
; %bb.22:
	flat_load_dwordx2 v[12:13], v[8:9]
	s_waitcnt vmcnt(0) lgkmcnt(0)
	v_fmac_f64_e32 v[2:3], s[24:25], v[12:13]
.LBB496_23:
	flat_store_dwordx2 v[8:9], v[2:3]
.LBB496_24:
	s_or_b64 exec, exec, s[2:3]
	v_cmp_le_i32_e32 vcc, v10, v6
	s_and_b64 s[2:3], vcc, s[4:5]
	s_and_saveexec_b64 s[4:5], s[2:3]
	s_cbranch_execz .LBB496_28
; %bb.25:
	v_mul_f64 v[0:1], s[10:11], v[0:1]
	s_and_b64 vcc, exec, s[0:1]
	v_lshl_add_u64 v[2:3], v[6:7], 3, v[4:5]
	s_cbranch_vccnz .LBB496_27
; %bb.26:
	flat_load_dwordx2 v[4:5], v[2:3]
	s_waitcnt vmcnt(0) lgkmcnt(0)
	v_fmac_f64_e32 v[0:1], s[24:25], v[4:5]
.LBB496_27:
	flat_store_dwordx2 v[2:3], v[0:1]
.LBB496_28:
	s_endpgm
	.section	.rodata,"a",@progbits
	.p2align	6, 0x0
	.amdhsa_kernel _ZL29rocblas_internal_gemmt_kernelIlLi16ELi32ELi8ELc78ELc84ELc76ELb0ELb0EddPKPKdPKPdEviT_T9_T10_S7_lS9_S7_lS8_T11_S7_li
		.amdhsa_group_segment_fixed_size 4096
		.amdhsa_private_segment_fixed_size 0
		.amdhsa_kernarg_size 108
		.amdhsa_user_sgpr_count 2
		.amdhsa_user_sgpr_dispatch_ptr 0
		.amdhsa_user_sgpr_queue_ptr 0
		.amdhsa_user_sgpr_kernarg_segment_ptr 1
		.amdhsa_user_sgpr_dispatch_id 0
		.amdhsa_user_sgpr_kernarg_preload_length 0
		.amdhsa_user_sgpr_kernarg_preload_offset 0
		.amdhsa_user_sgpr_private_segment_size 0
		.amdhsa_uses_dynamic_stack 0
		.amdhsa_enable_private_segment 0
		.amdhsa_system_sgpr_workgroup_id_x 1
		.amdhsa_system_sgpr_workgroup_id_y 1
		.amdhsa_system_sgpr_workgroup_id_z 1
		.amdhsa_system_sgpr_workgroup_info 0
		.amdhsa_system_vgpr_workitem_id 1
		.amdhsa_next_free_vgpr 54
		.amdhsa_next_free_sgpr 36
		.amdhsa_accum_offset 56
		.amdhsa_reserve_vcc 1
		.amdhsa_float_round_mode_32 0
		.amdhsa_float_round_mode_16_64 0
		.amdhsa_float_denorm_mode_32 3
		.amdhsa_float_denorm_mode_16_64 3
		.amdhsa_dx10_clamp 1
		.amdhsa_ieee_mode 1
		.amdhsa_fp16_overflow 0
		.amdhsa_tg_split 0
		.amdhsa_exception_fp_ieee_invalid_op 0
		.amdhsa_exception_fp_denorm_src 0
		.amdhsa_exception_fp_ieee_div_zero 0
		.amdhsa_exception_fp_ieee_overflow 0
		.amdhsa_exception_fp_ieee_underflow 0
		.amdhsa_exception_fp_ieee_inexact 0
		.amdhsa_exception_int_div_zero 0
	.end_amdhsa_kernel
	.section	.text._ZL29rocblas_internal_gemmt_kernelIlLi16ELi32ELi8ELc78ELc84ELc76ELb0ELb0EddPKPKdPKPdEviT_T9_T10_S7_lS9_S7_lS8_T11_S7_li,"axG",@progbits,_ZL29rocblas_internal_gemmt_kernelIlLi16ELi32ELi8ELc78ELc84ELc76ELb0ELb0EddPKPKdPKPdEviT_T9_T10_S7_lS9_S7_lS8_T11_S7_li,comdat
.Lfunc_end496:
	.size	_ZL29rocblas_internal_gemmt_kernelIlLi16ELi32ELi8ELc78ELc84ELc76ELb0ELb0EddPKPKdPKPdEviT_T9_T10_S7_lS9_S7_lS8_T11_S7_li, .Lfunc_end496-_ZL29rocblas_internal_gemmt_kernelIlLi16ELi32ELi8ELc78ELc84ELc76ELb0ELb0EddPKPKdPKPdEviT_T9_T10_S7_lS9_S7_lS8_T11_S7_li
                                        ; -- End function
	.set _ZL29rocblas_internal_gemmt_kernelIlLi16ELi32ELi8ELc78ELc84ELc76ELb0ELb0EddPKPKdPKPdEviT_T9_T10_S7_lS9_S7_lS8_T11_S7_li.num_vgpr, 54
	.set _ZL29rocblas_internal_gemmt_kernelIlLi16ELi32ELi8ELc78ELc84ELc76ELb0ELb0EddPKPKdPKPdEviT_T9_T10_S7_lS9_S7_lS8_T11_S7_li.num_agpr, 0
	.set _ZL29rocblas_internal_gemmt_kernelIlLi16ELi32ELi8ELc78ELc84ELc76ELb0ELb0EddPKPKdPKPdEviT_T9_T10_S7_lS9_S7_lS8_T11_S7_li.numbered_sgpr, 36
	.set _ZL29rocblas_internal_gemmt_kernelIlLi16ELi32ELi8ELc78ELc84ELc76ELb0ELb0EddPKPKdPKPdEviT_T9_T10_S7_lS9_S7_lS8_T11_S7_li.num_named_barrier, 0
	.set _ZL29rocblas_internal_gemmt_kernelIlLi16ELi32ELi8ELc78ELc84ELc76ELb0ELb0EddPKPKdPKPdEviT_T9_T10_S7_lS9_S7_lS8_T11_S7_li.private_seg_size, 0
	.set _ZL29rocblas_internal_gemmt_kernelIlLi16ELi32ELi8ELc78ELc84ELc76ELb0ELb0EddPKPKdPKPdEviT_T9_T10_S7_lS9_S7_lS8_T11_S7_li.uses_vcc, 1
	.set _ZL29rocblas_internal_gemmt_kernelIlLi16ELi32ELi8ELc78ELc84ELc76ELb0ELb0EddPKPKdPKPdEviT_T9_T10_S7_lS9_S7_lS8_T11_S7_li.uses_flat_scratch, 0
	.set _ZL29rocblas_internal_gemmt_kernelIlLi16ELi32ELi8ELc78ELc84ELc76ELb0ELb0EddPKPKdPKPdEviT_T9_T10_S7_lS9_S7_lS8_T11_S7_li.has_dyn_sized_stack, 0
	.set _ZL29rocblas_internal_gemmt_kernelIlLi16ELi32ELi8ELc78ELc84ELc76ELb0ELb0EddPKPKdPKPdEviT_T9_T10_S7_lS9_S7_lS8_T11_S7_li.has_recursion, 0
	.set _ZL29rocblas_internal_gemmt_kernelIlLi16ELi32ELi8ELc78ELc84ELc76ELb0ELb0EddPKPKdPKPdEviT_T9_T10_S7_lS9_S7_lS8_T11_S7_li.has_indirect_call, 0
	.section	.AMDGPU.csdata,"",@progbits
; Kernel info:
; codeLenInByte = 1324
; TotalNumSgprs: 42
; NumVgprs: 54
; NumAgprs: 0
; TotalNumVgprs: 54
; ScratchSize: 0
; MemoryBound: 0
; FloatMode: 240
; IeeeMode: 1
; LDSByteSize: 4096 bytes/workgroup (compile time only)
; SGPRBlocks: 5
; VGPRBlocks: 6
; NumSGPRsForWavesPerEU: 42
; NumVGPRsForWavesPerEU: 54
; AccumOffset: 56
; Occupancy: 8
; WaveLimiterHint : 1
; COMPUTE_PGM_RSRC2:SCRATCH_EN: 0
; COMPUTE_PGM_RSRC2:USER_SGPR: 2
; COMPUTE_PGM_RSRC2:TRAP_HANDLER: 0
; COMPUTE_PGM_RSRC2:TGID_X_EN: 1
; COMPUTE_PGM_RSRC2:TGID_Y_EN: 1
; COMPUTE_PGM_RSRC2:TGID_Z_EN: 1
; COMPUTE_PGM_RSRC2:TIDIG_COMP_CNT: 1
; COMPUTE_PGM_RSRC3_GFX90A:ACCUM_OFFSET: 13
; COMPUTE_PGM_RSRC3_GFX90A:TG_SPLIT: 0
	.section	.text._ZL29rocblas_internal_gemmt_kernelIlLi16ELi32ELi8ELc78ELc67ELc76ELb0ELb0EddPKPKdPKPdEviT_T9_T10_S7_lS9_S7_lS8_T11_S7_li,"axG",@progbits,_ZL29rocblas_internal_gemmt_kernelIlLi16ELi32ELi8ELc78ELc67ELc76ELb0ELb0EddPKPKdPKPdEviT_T9_T10_S7_lS9_S7_lS8_T11_S7_li,comdat
	.globl	_ZL29rocblas_internal_gemmt_kernelIlLi16ELi32ELi8ELc78ELc67ELc76ELb0ELb0EddPKPKdPKPdEviT_T9_T10_S7_lS9_S7_lS8_T11_S7_li ; -- Begin function _ZL29rocblas_internal_gemmt_kernelIlLi16ELi32ELi8ELc78ELc67ELc76ELb0ELb0EddPKPKdPKPdEviT_T9_T10_S7_lS9_S7_lS8_T11_S7_li
	.p2align	8
	.type	_ZL29rocblas_internal_gemmt_kernelIlLi16ELi32ELi8ELc78ELc67ELc76ELb0ELb0EddPKPKdPKPdEviT_T9_T10_S7_lS9_S7_lS8_T11_S7_li,@function
_ZL29rocblas_internal_gemmt_kernelIlLi16ELi32ELi8ELc78ELc67ELc76ELb0ELb0EddPKPKdPKPdEviT_T9_T10_S7_lS9_S7_lS8_T11_S7_li: ; @_ZL29rocblas_internal_gemmt_kernelIlLi16ELi32ELi8ELc78ELc67ELc76ELb0ELb0EddPKPKdPKPdEviT_T9_T10_S7_lS9_S7_lS8_T11_S7_li
; %bb.0:
	s_load_dwordx8 s[24:31], s[0:1], 0x48
	s_load_dwordx16 s[8:23], s[0:1], 0x8
	s_waitcnt lgkmcnt(0)
	v_cmp_neq_f64_e64 s[6:7], s[24:25], 1.0
	s_and_b64 vcc, exec, s[6:7]
	s_cbranch_vccnz .LBB497_2
; %bb.1:
	s_cmp_lg_u64 s[8:9], 0
	s_cselect_b64 s[6:7], -1, 0
	v_cmp_neq_f64_e64 s[34:35], s[10:11], 0
	s_and_b64 s[6:7], s[6:7], s[34:35]
.LBB497_2:
	s_andn2_b64 vcc, exec, s[6:7]
	s_cbranch_vccnz .LBB497_28
; %bb.3:
	s_mov_b32 s5, 0
	s_load_dword s33, s[0:1], 0x0
	s_lshl_b64 s[0:1], s[4:5], 3
	s_add_u32 s4, s26, s0
	s_addc_u32 s5, s27, s1
	s_load_dwordx2 s[4:5], s[4:5], 0x0
	s_lshl_b32 s26, s2, 5
	s_lshl_b32 s27, s3, 5
	v_cmp_eq_f64_e64 s[2:3], s[10:11], 0
	v_cmp_lt_i64_e64 s[6:7], s[8:9], 1
	s_or_b64 s[2:3], s[2:3], s[6:7]
	v_and_b32_e32 v9, 0x3ff, v0
	v_bfe_u32 v11, v0, 10, 10
	v_mov_b64_e32 v[6:7], 0
	s_and_b64 vcc, exec, s[2:3]
	v_mov_b64_e32 v[4:5], 0
	v_mov_b64_e32 v[2:3], 0
	;; [unrolled: 1-line block ×3, first 2 shown]
	s_cbranch_vccnz .LBB497_12
; %bb.4:
	s_add_u32 s2, s18, s0
	s_addc_u32 s3, s19, s1
	s_load_dwordx2 s[2:3], s[2:3], 0x0
	s_lshl_b64 s[6:7], s[22:23], 3
	v_lshl_add_u32 v1, v11, 4, v9
	v_lshrrev_b32_e32 v10, 5, v1
	v_lshrrev_b32_e32 v4, 3, v1
	s_waitcnt lgkmcnt(0)
	s_add_u32 s6, s2, s6
	s_addc_u32 s7, s3, s7
	s_add_u32 s0, s12, s0
	s_addc_u32 s1, s13, s1
	s_load_dwordx2 s[0:1], s[0:1], 0x0
	v_and_b32_e32 v1, 31, v1
	v_and_b32_e32 v8, 7, v9
	v_or_b32_e32 v2, s26, v1
	v_lshlrev_b32_e32 v1, 3, v1
	s_lshl_b64 s[2:3], s[16:17], 3
	v_lshl_or_b32 v18, v10, 8, v1
	v_lshlrev_b32_e32 v1, 3, v8
	v_add_u32_e32 v0, s27, v4
	s_waitcnt lgkmcnt(0)
	s_add_u32 s2, s0, s2
	v_lshl_or_b32 v1, v4, 6, v1
	s_addc_u32 s3, s1, s3
	v_ashrrev_i32_e32 v3, 31, v2
	v_add_u32_e32 v19, 0x800, v1
	v_ashrrev_i32_e32 v1, 31, v0
	v_lshl_add_u64 v[12:13], v[2:3], 3, s[2:3]
	v_cmp_gt_i32_e64 s[2:3], s33, v0
	v_lshl_add_u64 v[14:15], v[0:1], 3, s[6:7]
	v_mov_b32_e32 v0, 0x800
	v_cmp_gt_i32_e64 s[0:1], s33, v2
	v_lshlrev_b32_e32 v20, 3, v9
	v_lshl_add_u32 v21, v11, 6, v0
	v_mov_b32_e32 v17, 0
	v_mov_b64_e32 v[0:1], 0
	s_mov_b64 s[6:7], 0
	v_mov_b64_e32 v[2:3], 0
	v_mov_b64_e32 v[4:5], 0
	;; [unrolled: 1-line block ×3, first 2 shown]
	s_branch .LBB497_6
.LBB497_5:                              ;   in Loop: Header=BB497_6 Depth=1
	s_or_b64 exec, exec, s[12:13]
	s_waitcnt vmcnt(0) lgkmcnt(0)
	ds_write_b64 v19, v[22:23]
	s_waitcnt lgkmcnt(0)
	s_barrier
	ds_read2_b64 v[22:25], v20 offset1:16
	ds_read_b128 v[26:29], v21
	ds_read_b128 v[30:33], v21 offset:16
	ds_read_b128 v[34:37], v21 offset:32
	;; [unrolled: 1-line block ×4, first 2 shown]
	ds_read2_b64 v[46:49], v20 offset0:32 offset1:48
	s_waitcnt lgkmcnt(5)
	v_fmac_f64_e32 v[6:7], v[22:23], v[26:27]
	v_fmac_f64_e32 v[4:5], v[24:25], v[26:27]
	ds_read_b128 v[50:53], v21 offset:1040
	s_waitcnt lgkmcnt(2)
	v_fmac_f64_e32 v[2:3], v[22:23], v[42:43]
	v_fmac_f64_e32 v[0:1], v[24:25], v[42:43]
	ds_read2_b64 v[22:25], v20 offset0:64 offset1:80
	s_waitcnt lgkmcnt(2)
	v_fmac_f64_e32 v[6:7], v[46:47], v[28:29]
	v_fmac_f64_e32 v[4:5], v[48:49], v[28:29]
	ds_read2_b64 v[26:29], v20 offset0:96 offset1:112
	v_fmac_f64_e32 v[2:3], v[46:47], v[44:45]
	v_fmac_f64_e32 v[0:1], v[48:49], v[44:45]
	s_waitcnt lgkmcnt(1)
	v_fmac_f64_e32 v[6:7], v[22:23], v[30:31]
	v_fmac_f64_e32 v[4:5], v[24:25], v[30:31]
	ds_read_b128 v[42:45], v21 offset:1072
	v_fmac_f64_e32 v[2:3], v[22:23], v[50:51]
	v_fmac_f64_e32 v[0:1], v[24:25], v[50:51]
	s_waitcnt lgkmcnt(1)
	v_fmac_f64_e32 v[6:7], v[26:27], v[32:33]
	ds_read2_b64 v[22:25], v20 offset0:128 offset1:144
	v_fmac_f64_e32 v[4:5], v[28:29], v[32:33]
	v_fmac_f64_e32 v[2:3], v[26:27], v[52:53]
	;; [unrolled: 1-line block ×3, first 2 shown]
	ds_read_b128 v[26:29], v21 offset:1056
	ds_read2_b64 v[30:33], v20 offset0:160 offset1:176
	s_waitcnt lgkmcnt(2)
	v_fmac_f64_e32 v[6:7], v[22:23], v[34:35]
	v_fmac_f64_e32 v[4:5], v[24:25], v[34:35]
	s_add_u32 s6, s6, 8
	s_waitcnt lgkmcnt(1)
	v_fmac_f64_e32 v[2:3], v[22:23], v[26:27]
	v_fmac_f64_e32 v[0:1], v[24:25], v[26:27]
	ds_read2_b64 v[22:25], v20 offset0:192 offset1:208
	s_waitcnt lgkmcnt(1)
	v_fmac_f64_e32 v[2:3], v[30:31], v[28:29]
	v_fmac_f64_e32 v[0:1], v[32:33], v[28:29]
	ds_read2_b64 v[26:29], v20 offset0:224 offset1:240
	v_fmac_f64_e32 v[6:7], v[30:31], v[36:37]
	s_addc_u32 s7, s7, 0
	v_fmac_f64_e32 v[4:5], v[32:33], v[36:37]
	s_waitcnt lgkmcnt(1)
	v_fmac_f64_e32 v[6:7], v[22:23], v[38:39]
	v_fmac_f64_e32 v[2:3], v[22:23], v[42:43]
	v_mov_b64_e32 v[22:23], s[6:7]
	v_fmac_f64_e32 v[4:5], v[24:25], v[38:39]
	v_fmac_f64_e32 v[0:1], v[24:25], v[42:43]
	v_cmp_gt_i64_e32 vcc, s[8:9], v[22:23]
	s_waitcnt lgkmcnt(0)
	v_fmac_f64_e32 v[6:7], v[26:27], v[40:41]
	v_fmac_f64_e32 v[4:5], v[28:29], v[40:41]
	;; [unrolled: 1-line block ×4, first 2 shown]
	s_barrier
	s_cbranch_vccz .LBB497_12
.LBB497_6:                              ; =>This Inner Loop Header: Depth=1
	v_mov_b64_e32 v[22:23], 0
	s_and_saveexec_b64 s[12:13], s[0:1]
	s_cbranch_execz .LBB497_10
; %bb.7:                                ;   in Loop: Header=BB497_6 Depth=1
	v_add_u32_e32 v16, s6, v10
	v_cmp_gt_u64_e32 vcc, s[8:9], v[16:17]
	v_mov_b64_e32 v[22:23], 0
	s_and_saveexec_b64 s[16:17], vcc
	s_cbranch_execz .LBB497_9
; %bb.8:                                ;   in Loop: Header=BB497_6 Depth=1
	v_mad_u64_u32 v[22:23], s[18:19], s14, v16, 0
	v_mov_b32_e32 v24, v23
	v_mad_u64_u32 v[24:25], s[18:19], s15, v16, v[24:25]
	v_mov_b32_e32 v23, v24
	v_lshl_add_u64 v[22:23], v[22:23], 3, v[12:13]
	flat_load_dwordx2 v[22:23], v[22:23]
.LBB497_9:                              ;   in Loop: Header=BB497_6 Depth=1
	s_or_b64 exec, exec, s[16:17]
.LBB497_10:                             ;   in Loop: Header=BB497_6 Depth=1
	s_or_b64 exec, exec, s[12:13]
	v_add_u32_e32 v16, s6, v8
	v_cmp_gt_u64_e32 vcc, s[8:9], v[16:17]
	s_waitcnt vmcnt(0) lgkmcnt(0)
	ds_write_b64 v18, v[22:23]
	s_and_b64 s[16:17], vcc, s[2:3]
	v_mov_b64_e32 v[22:23], 0
	s_and_saveexec_b64 s[12:13], s[16:17]
	s_cbranch_execz .LBB497_5
; %bb.11:                               ;   in Loop: Header=BB497_6 Depth=1
	v_mad_u64_u32 v[22:23], s[16:17], s20, v16, 0
	v_mov_b32_e32 v24, v23
	v_mad_u64_u32 v[24:25], s[16:17], s21, v16, v[24:25]
	v_mov_b32_e32 v23, v24
	v_lshl_add_u64 v[22:23], v[22:23], 3, v[14:15]
	flat_load_dwordx2 v[22:23], v[22:23]
	s_branch .LBB497_5
.LBB497_12:
	s_lshl_b64 s[0:1], s[30:31], 3
	s_waitcnt lgkmcnt(0)
	s_add_u32 s6, s4, s0
	v_add_u32_e32 v14, s27, v11
	s_addc_u32 s7, s5, s1
	v_add_u32_e32 v8, s26, v9
	v_ashrrev_i32_e32 v9, 31, v14
	v_mad_u64_u32 v[10:11], s[0:1], s28, v14, 0
	v_mul_lo_u32 v9, s28, v9
	v_mul_lo_u32 v12, s29, v14
	v_cmp_neq_f64_e64 s[0:1], s[24:25], 0
	v_add3_u32 v11, v11, v9, v12
	v_cmp_le_i32_e32 vcc, v14, v8
	v_cmp_gt_i32_e64 s[2:3], s33, v8
	v_cndmask_b32_e64 v12, 0, 1, s[0:1]
	v_lshl_add_u64 v[10:11], v[10:11], 3, s[6:7]
	s_and_b64 s[8:9], vcc, s[2:3]
	v_ashrrev_i32_e32 v9, 31, v8
	v_cmp_ne_u32_e64 s[0:1], 1, v12
	s_and_saveexec_b64 s[4:5], s[8:9]
	s_cbranch_execz .LBB497_16
; %bb.13:
	v_mul_f64 v[6:7], s[10:11], v[6:7]
	s_and_b64 vcc, exec, s[0:1]
	v_lshl_add_u64 v[12:13], v[8:9], 3, v[10:11]
	s_cbranch_vccnz .LBB497_15
; %bb.14:
	flat_load_dwordx2 v[16:17], v[12:13]
	s_waitcnt vmcnt(0) lgkmcnt(0)
	v_fmac_f64_e32 v[6:7], s[24:25], v[16:17]
.LBB497_15:
	flat_store_dwordx2 v[12:13], v[6:7]
.LBB497_16:
	s_or_b64 exec, exec, s[4:5]
	v_add_u32_e32 v6, 16, v8
	v_cmp_le_i32_e32 vcc, v14, v6
	v_cmp_gt_i32_e64 s[4:5], s33, v6
	s_and_b64 s[12:13], vcc, s[4:5]
	v_ashrrev_i32_e32 v7, 31, v6
	s_and_saveexec_b64 s[8:9], s[12:13]
	s_cbranch_execz .LBB497_20
; %bb.17:
	v_mul_f64 v[4:5], s[10:11], v[4:5]
	s_and_b64 vcc, exec, s[0:1]
	v_lshl_add_u64 v[10:11], v[6:7], 3, v[10:11]
	s_cbranch_vccnz .LBB497_19
; %bb.18:
	flat_load_dwordx2 v[12:13], v[10:11]
	s_waitcnt vmcnt(0) lgkmcnt(0)
	v_fmac_f64_e32 v[4:5], s[24:25], v[12:13]
.LBB497_19:
	flat_store_dwordx2 v[10:11], v[4:5]
.LBB497_20:
	s_or_b64 exec, exec, s[8:9]
	v_add_u32_e32 v10, 16, v14
	v_ashrrev_i32_e32 v4, 31, v10
	v_mul_lo_u32 v11, s28, v4
	v_mul_lo_u32 v12, s29, v10
	v_mad_u64_u32 v[4:5], s[8:9], s28, v10, 0
	v_add3_u32 v5, v5, v11, v12
	v_cmp_le_i32_e32 vcc, v10, v8
	v_lshl_add_u64 v[4:5], v[4:5], 3, s[6:7]
	s_and_b64 s[6:7], vcc, s[2:3]
	s_and_saveexec_b64 s[2:3], s[6:7]
	s_cbranch_execz .LBB497_24
; %bb.21:
	v_mul_f64 v[2:3], s[10:11], v[2:3]
	s_and_b64 vcc, exec, s[0:1]
	v_lshl_add_u64 v[8:9], v[8:9], 3, v[4:5]
	s_cbranch_vccnz .LBB497_23
; %bb.22:
	flat_load_dwordx2 v[12:13], v[8:9]
	s_waitcnt vmcnt(0) lgkmcnt(0)
	v_fmac_f64_e32 v[2:3], s[24:25], v[12:13]
.LBB497_23:
	flat_store_dwordx2 v[8:9], v[2:3]
.LBB497_24:
	s_or_b64 exec, exec, s[2:3]
	v_cmp_le_i32_e32 vcc, v10, v6
	s_and_b64 s[2:3], vcc, s[4:5]
	s_and_saveexec_b64 s[4:5], s[2:3]
	s_cbranch_execz .LBB497_28
; %bb.25:
	v_mul_f64 v[0:1], s[10:11], v[0:1]
	s_and_b64 vcc, exec, s[0:1]
	v_lshl_add_u64 v[2:3], v[6:7], 3, v[4:5]
	s_cbranch_vccnz .LBB497_27
; %bb.26:
	flat_load_dwordx2 v[4:5], v[2:3]
	s_waitcnt vmcnt(0) lgkmcnt(0)
	v_fmac_f64_e32 v[0:1], s[24:25], v[4:5]
.LBB497_27:
	flat_store_dwordx2 v[2:3], v[0:1]
.LBB497_28:
	s_endpgm
	.section	.rodata,"a",@progbits
	.p2align	6, 0x0
	.amdhsa_kernel _ZL29rocblas_internal_gemmt_kernelIlLi16ELi32ELi8ELc78ELc67ELc76ELb0ELb0EddPKPKdPKPdEviT_T9_T10_S7_lS9_S7_lS8_T11_S7_li
		.amdhsa_group_segment_fixed_size 4096
		.amdhsa_private_segment_fixed_size 0
		.amdhsa_kernarg_size 108
		.amdhsa_user_sgpr_count 2
		.amdhsa_user_sgpr_dispatch_ptr 0
		.amdhsa_user_sgpr_queue_ptr 0
		.amdhsa_user_sgpr_kernarg_segment_ptr 1
		.amdhsa_user_sgpr_dispatch_id 0
		.amdhsa_user_sgpr_kernarg_preload_length 0
		.amdhsa_user_sgpr_kernarg_preload_offset 0
		.amdhsa_user_sgpr_private_segment_size 0
		.amdhsa_uses_dynamic_stack 0
		.amdhsa_enable_private_segment 0
		.amdhsa_system_sgpr_workgroup_id_x 1
		.amdhsa_system_sgpr_workgroup_id_y 1
		.amdhsa_system_sgpr_workgroup_id_z 1
		.amdhsa_system_sgpr_workgroup_info 0
		.amdhsa_system_vgpr_workitem_id 1
		.amdhsa_next_free_vgpr 54
		.amdhsa_next_free_sgpr 36
		.amdhsa_accum_offset 56
		.amdhsa_reserve_vcc 1
		.amdhsa_float_round_mode_32 0
		.amdhsa_float_round_mode_16_64 0
		.amdhsa_float_denorm_mode_32 3
		.amdhsa_float_denorm_mode_16_64 3
		.amdhsa_dx10_clamp 1
		.amdhsa_ieee_mode 1
		.amdhsa_fp16_overflow 0
		.amdhsa_tg_split 0
		.amdhsa_exception_fp_ieee_invalid_op 0
		.amdhsa_exception_fp_denorm_src 0
		.amdhsa_exception_fp_ieee_div_zero 0
		.amdhsa_exception_fp_ieee_overflow 0
		.amdhsa_exception_fp_ieee_underflow 0
		.amdhsa_exception_fp_ieee_inexact 0
		.amdhsa_exception_int_div_zero 0
	.end_amdhsa_kernel
	.section	.text._ZL29rocblas_internal_gemmt_kernelIlLi16ELi32ELi8ELc78ELc67ELc76ELb0ELb0EddPKPKdPKPdEviT_T9_T10_S7_lS9_S7_lS8_T11_S7_li,"axG",@progbits,_ZL29rocblas_internal_gemmt_kernelIlLi16ELi32ELi8ELc78ELc67ELc76ELb0ELb0EddPKPKdPKPdEviT_T9_T10_S7_lS9_S7_lS8_T11_S7_li,comdat
.Lfunc_end497:
	.size	_ZL29rocblas_internal_gemmt_kernelIlLi16ELi32ELi8ELc78ELc67ELc76ELb0ELb0EddPKPKdPKPdEviT_T9_T10_S7_lS9_S7_lS8_T11_S7_li, .Lfunc_end497-_ZL29rocblas_internal_gemmt_kernelIlLi16ELi32ELi8ELc78ELc67ELc76ELb0ELb0EddPKPKdPKPdEviT_T9_T10_S7_lS9_S7_lS8_T11_S7_li
                                        ; -- End function
	.set _ZL29rocblas_internal_gemmt_kernelIlLi16ELi32ELi8ELc78ELc67ELc76ELb0ELb0EddPKPKdPKPdEviT_T9_T10_S7_lS9_S7_lS8_T11_S7_li.num_vgpr, 54
	.set _ZL29rocblas_internal_gemmt_kernelIlLi16ELi32ELi8ELc78ELc67ELc76ELb0ELb0EddPKPKdPKPdEviT_T9_T10_S7_lS9_S7_lS8_T11_S7_li.num_agpr, 0
	.set _ZL29rocblas_internal_gemmt_kernelIlLi16ELi32ELi8ELc78ELc67ELc76ELb0ELb0EddPKPKdPKPdEviT_T9_T10_S7_lS9_S7_lS8_T11_S7_li.numbered_sgpr, 36
	.set _ZL29rocblas_internal_gemmt_kernelIlLi16ELi32ELi8ELc78ELc67ELc76ELb0ELb0EddPKPKdPKPdEviT_T9_T10_S7_lS9_S7_lS8_T11_S7_li.num_named_barrier, 0
	.set _ZL29rocblas_internal_gemmt_kernelIlLi16ELi32ELi8ELc78ELc67ELc76ELb0ELb0EddPKPKdPKPdEviT_T9_T10_S7_lS9_S7_lS8_T11_S7_li.private_seg_size, 0
	.set _ZL29rocblas_internal_gemmt_kernelIlLi16ELi32ELi8ELc78ELc67ELc76ELb0ELb0EddPKPKdPKPdEviT_T9_T10_S7_lS9_S7_lS8_T11_S7_li.uses_vcc, 1
	.set _ZL29rocblas_internal_gemmt_kernelIlLi16ELi32ELi8ELc78ELc67ELc76ELb0ELb0EddPKPKdPKPdEviT_T9_T10_S7_lS9_S7_lS8_T11_S7_li.uses_flat_scratch, 0
	.set _ZL29rocblas_internal_gemmt_kernelIlLi16ELi32ELi8ELc78ELc67ELc76ELb0ELb0EddPKPKdPKPdEviT_T9_T10_S7_lS9_S7_lS8_T11_S7_li.has_dyn_sized_stack, 0
	.set _ZL29rocblas_internal_gemmt_kernelIlLi16ELi32ELi8ELc78ELc67ELc76ELb0ELb0EddPKPKdPKPdEviT_T9_T10_S7_lS9_S7_lS8_T11_S7_li.has_recursion, 0
	.set _ZL29rocblas_internal_gemmt_kernelIlLi16ELi32ELi8ELc78ELc67ELc76ELb0ELb0EddPKPKdPKPdEviT_T9_T10_S7_lS9_S7_lS8_T11_S7_li.has_indirect_call, 0
	.section	.AMDGPU.csdata,"",@progbits
; Kernel info:
; codeLenInByte = 1324
; TotalNumSgprs: 42
; NumVgprs: 54
; NumAgprs: 0
; TotalNumVgprs: 54
; ScratchSize: 0
; MemoryBound: 0
; FloatMode: 240
; IeeeMode: 1
; LDSByteSize: 4096 bytes/workgroup (compile time only)
; SGPRBlocks: 5
; VGPRBlocks: 6
; NumSGPRsForWavesPerEU: 42
; NumVGPRsForWavesPerEU: 54
; AccumOffset: 56
; Occupancy: 8
; WaveLimiterHint : 1
; COMPUTE_PGM_RSRC2:SCRATCH_EN: 0
; COMPUTE_PGM_RSRC2:USER_SGPR: 2
; COMPUTE_PGM_RSRC2:TRAP_HANDLER: 0
; COMPUTE_PGM_RSRC2:TGID_X_EN: 1
; COMPUTE_PGM_RSRC2:TGID_Y_EN: 1
; COMPUTE_PGM_RSRC2:TGID_Z_EN: 1
; COMPUTE_PGM_RSRC2:TIDIG_COMP_CNT: 1
; COMPUTE_PGM_RSRC3_GFX90A:ACCUM_OFFSET: 13
; COMPUTE_PGM_RSRC3_GFX90A:TG_SPLIT: 0
	.section	.text._ZL29rocblas_internal_gemmt_kernelIlLi16ELi32ELi8ELc84ELc78ELc76ELb0ELb0EddPKPKdPKPdEviT_T9_T10_S7_lS9_S7_lS8_T11_S7_li,"axG",@progbits,_ZL29rocblas_internal_gemmt_kernelIlLi16ELi32ELi8ELc84ELc78ELc76ELb0ELb0EddPKPKdPKPdEviT_T9_T10_S7_lS9_S7_lS8_T11_S7_li,comdat
	.globl	_ZL29rocblas_internal_gemmt_kernelIlLi16ELi32ELi8ELc84ELc78ELc76ELb0ELb0EddPKPKdPKPdEviT_T9_T10_S7_lS9_S7_lS8_T11_S7_li ; -- Begin function _ZL29rocblas_internal_gemmt_kernelIlLi16ELi32ELi8ELc84ELc78ELc76ELb0ELb0EddPKPKdPKPdEviT_T9_T10_S7_lS9_S7_lS8_T11_S7_li
	.p2align	8
	.type	_ZL29rocblas_internal_gemmt_kernelIlLi16ELi32ELi8ELc84ELc78ELc76ELb0ELb0EddPKPKdPKPdEviT_T9_T10_S7_lS9_S7_lS8_T11_S7_li,@function
_ZL29rocblas_internal_gemmt_kernelIlLi16ELi32ELi8ELc84ELc78ELc76ELb0ELb0EddPKPKdPKPdEviT_T9_T10_S7_lS9_S7_lS8_T11_S7_li: ; @_ZL29rocblas_internal_gemmt_kernelIlLi16ELi32ELi8ELc84ELc78ELc76ELb0ELb0EddPKPKdPKPdEviT_T9_T10_S7_lS9_S7_lS8_T11_S7_li
; %bb.0:
	s_load_dwordx8 s[24:31], s[0:1], 0x48
	s_load_dwordx16 s[8:23], s[0:1], 0x8
	s_waitcnt lgkmcnt(0)
	v_cmp_neq_f64_e64 s[6:7], s[24:25], 1.0
	s_and_b64 vcc, exec, s[6:7]
	s_cbranch_vccnz .LBB498_2
; %bb.1:
	s_cmp_lg_u64 s[8:9], 0
	s_cselect_b64 s[6:7], -1, 0
	v_cmp_neq_f64_e64 s[34:35], s[10:11], 0
	s_and_b64 s[6:7], s[6:7], s[34:35]
.LBB498_2:
	s_andn2_b64 vcc, exec, s[6:7]
	s_cbranch_vccnz .LBB498_28
; %bb.3:
	s_mov_b32 s5, 0
	s_load_dword s33, s[0:1], 0x0
	s_lshl_b64 s[0:1], s[4:5], 3
	s_add_u32 s4, s26, s0
	s_addc_u32 s5, s27, s1
	s_load_dwordx2 s[4:5], s[4:5], 0x0
	s_lshl_b32 s26, s2, 5
	s_lshl_b32 s27, s3, 5
	v_cmp_eq_f64_e64 s[2:3], s[10:11], 0
	v_cmp_lt_i64_e64 s[6:7], s[8:9], 1
	s_or_b64 s[2:3], s[2:3], s[6:7]
	v_and_b32_e32 v9, 0x3ff, v0
	v_bfe_u32 v11, v0, 10, 10
	v_mov_b64_e32 v[6:7], 0
	s_and_b64 vcc, exec, s[2:3]
	v_mov_b64_e32 v[4:5], 0
	v_mov_b64_e32 v[2:3], 0
	;; [unrolled: 1-line block ×3, first 2 shown]
	s_cbranch_vccnz .LBB498_12
; %bb.4:
	s_add_u32 s2, s18, s0
	s_addc_u32 s3, s19, s1
	s_load_dwordx2 s[2:3], s[2:3], 0x0
	s_lshl_b64 s[6:7], s[22:23], 3
	v_lshl_add_u32 v0, v11, 4, v9
	v_lshrrev_b32_e32 v10, 5, v0
	v_lshrrev_b32_e32 v2, 3, v0
	s_waitcnt lgkmcnt(0)
	s_add_u32 s6, s2, s6
	s_addc_u32 s7, s3, s7
	s_add_u32 s0, s12, s0
	s_addc_u32 s1, s13, s1
	s_load_dwordx2 s[0:1], s[0:1], 0x0
	v_and_b32_e32 v0, 31, v0
	s_lshl_b64 s[2:3], s[16:17], 3
	v_or_b32_e32 v1, s26, v0
	v_lshlrev_b32_e32 v0, 3, v0
	s_waitcnt lgkmcnt(0)
	s_add_u32 s2, s0, s2
	s_addc_u32 s3, s1, s3
	v_cmp_gt_i32_e64 s[0:1], s33, v1
	v_lshl_or_b32 v18, v10, 8, v0
	s_ashr_i32 s16, s26, 31
	v_mul_lo_u32 v4, s15, v1
	v_mad_u64_u32 v[0:1], s[12:13], s14, v1, 0
	s_mul_i32 s12, s14, s16
	v_and_b32_e32 v8, 7, v9
	v_add3_u32 v1, v1, s12, v4
	v_lshl_add_u64 v[12:13], v[0:1], 3, s[2:3]
	v_lshlrev_b32_e32 v0, 3, v8
	v_add_u32_e32 v3, s27, v2
	v_lshl_or_b32 v0, v2, 6, v0
	v_add_u32_e32 v19, 0x800, v0
	v_ashrrev_i32_e32 v0, 31, v3
	v_mul_lo_u32 v2, s20, v0
	v_mul_lo_u32 v4, s21, v3
	v_mad_u64_u32 v[0:1], s[12:13], s20, v3, 0
	v_add3_u32 v1, v1, v2, v4
	v_lshl_add_u64 v[14:15], v[0:1], 3, s[6:7]
	v_mov_b32_e32 v0, 0x800
	v_cmp_gt_i32_e64 s[2:3], s33, v3
	v_lshlrev_b32_e32 v20, 3, v9
	v_lshl_add_u32 v21, v11, 6, v0
	v_mov_b32_e32 v17, 0
	v_mov_b64_e32 v[0:1], 0
	s_mov_b64 s[6:7], 0
	v_mov_b64_e32 v[2:3], 0
	v_mov_b64_e32 v[4:5], 0
	;; [unrolled: 1-line block ×3, first 2 shown]
	s_branch .LBB498_6
.LBB498_5:                              ;   in Loop: Header=BB498_6 Depth=1
	s_or_b64 exec, exec, s[12:13]
	s_waitcnt vmcnt(0) lgkmcnt(0)
	ds_write_b64 v19, v[22:23]
	s_waitcnt lgkmcnt(0)
	s_barrier
	ds_read2_b64 v[22:25], v20 offset1:16
	ds_read_b128 v[26:29], v21
	ds_read_b128 v[30:33], v21 offset:16
	ds_read_b128 v[34:37], v21 offset:32
	;; [unrolled: 1-line block ×4, first 2 shown]
	ds_read2_b64 v[46:49], v20 offset0:32 offset1:48
	s_waitcnt lgkmcnt(5)
	v_fmac_f64_e32 v[6:7], v[22:23], v[26:27]
	v_fmac_f64_e32 v[4:5], v[24:25], v[26:27]
	ds_read_b128 v[50:53], v21 offset:1040
	s_waitcnt lgkmcnt(2)
	v_fmac_f64_e32 v[2:3], v[22:23], v[42:43]
	v_fmac_f64_e32 v[0:1], v[24:25], v[42:43]
	ds_read2_b64 v[22:25], v20 offset0:64 offset1:80
	s_waitcnt lgkmcnt(2)
	v_fmac_f64_e32 v[6:7], v[46:47], v[28:29]
	v_fmac_f64_e32 v[4:5], v[48:49], v[28:29]
	ds_read2_b64 v[26:29], v20 offset0:96 offset1:112
	v_fmac_f64_e32 v[2:3], v[46:47], v[44:45]
	v_fmac_f64_e32 v[0:1], v[48:49], v[44:45]
	s_waitcnt lgkmcnt(1)
	v_fmac_f64_e32 v[6:7], v[22:23], v[30:31]
	v_fmac_f64_e32 v[4:5], v[24:25], v[30:31]
	ds_read_b128 v[42:45], v21 offset:1072
	v_fmac_f64_e32 v[2:3], v[22:23], v[50:51]
	v_fmac_f64_e32 v[0:1], v[24:25], v[50:51]
	s_waitcnt lgkmcnt(1)
	v_fmac_f64_e32 v[6:7], v[26:27], v[32:33]
	ds_read2_b64 v[22:25], v20 offset0:128 offset1:144
	v_fmac_f64_e32 v[4:5], v[28:29], v[32:33]
	v_fmac_f64_e32 v[2:3], v[26:27], v[52:53]
	;; [unrolled: 1-line block ×3, first 2 shown]
	ds_read_b128 v[26:29], v21 offset:1056
	ds_read2_b64 v[30:33], v20 offset0:160 offset1:176
	s_waitcnt lgkmcnt(2)
	v_fmac_f64_e32 v[6:7], v[22:23], v[34:35]
	v_fmac_f64_e32 v[4:5], v[24:25], v[34:35]
	s_add_u32 s6, s6, 8
	s_waitcnt lgkmcnt(1)
	v_fmac_f64_e32 v[2:3], v[22:23], v[26:27]
	v_fmac_f64_e32 v[0:1], v[24:25], v[26:27]
	ds_read2_b64 v[22:25], v20 offset0:192 offset1:208
	s_waitcnt lgkmcnt(1)
	v_fmac_f64_e32 v[2:3], v[30:31], v[28:29]
	v_fmac_f64_e32 v[0:1], v[32:33], v[28:29]
	ds_read2_b64 v[26:29], v20 offset0:224 offset1:240
	v_fmac_f64_e32 v[6:7], v[30:31], v[36:37]
	s_addc_u32 s7, s7, 0
	v_fmac_f64_e32 v[4:5], v[32:33], v[36:37]
	s_waitcnt lgkmcnt(1)
	v_fmac_f64_e32 v[6:7], v[22:23], v[38:39]
	v_fmac_f64_e32 v[2:3], v[22:23], v[42:43]
	v_mov_b64_e32 v[22:23], s[6:7]
	v_fmac_f64_e32 v[4:5], v[24:25], v[38:39]
	v_fmac_f64_e32 v[0:1], v[24:25], v[42:43]
	v_cmp_gt_i64_e32 vcc, s[8:9], v[22:23]
	s_waitcnt lgkmcnt(0)
	v_fmac_f64_e32 v[6:7], v[26:27], v[40:41]
	v_fmac_f64_e32 v[4:5], v[28:29], v[40:41]
	;; [unrolled: 1-line block ×4, first 2 shown]
	s_barrier
	s_cbranch_vccz .LBB498_12
.LBB498_6:                              ; =>This Inner Loop Header: Depth=1
	v_mov_b64_e32 v[22:23], 0
	s_and_saveexec_b64 s[12:13], s[0:1]
	s_cbranch_execz .LBB498_10
; %bb.7:                                ;   in Loop: Header=BB498_6 Depth=1
	v_add_u32_e32 v16, s6, v10
	v_cmp_gt_u64_e32 vcc, s[8:9], v[16:17]
	v_mov_b64_e32 v[22:23], 0
	s_and_saveexec_b64 s[14:15], vcc
	s_cbranch_execz .LBB498_9
; %bb.8:                                ;   in Loop: Header=BB498_6 Depth=1
	v_lshl_add_u64 v[22:23], v[16:17], 3, v[12:13]
	flat_load_dwordx2 v[22:23], v[22:23]
.LBB498_9:                              ;   in Loop: Header=BB498_6 Depth=1
	s_or_b64 exec, exec, s[14:15]
.LBB498_10:                             ;   in Loop: Header=BB498_6 Depth=1
	s_or_b64 exec, exec, s[12:13]
	v_add_u32_e32 v16, s6, v8
	v_cmp_gt_u64_e32 vcc, s[8:9], v[16:17]
	s_waitcnt vmcnt(0) lgkmcnt(0)
	ds_write_b64 v18, v[22:23]
	s_and_b64 s[14:15], vcc, s[2:3]
	v_mov_b64_e32 v[22:23], 0
	s_and_saveexec_b64 s[12:13], s[14:15]
	s_cbranch_execz .LBB498_5
; %bb.11:                               ;   in Loop: Header=BB498_6 Depth=1
	v_lshl_add_u64 v[22:23], v[16:17], 3, v[14:15]
	flat_load_dwordx2 v[22:23], v[22:23]
	s_branch .LBB498_5
.LBB498_12:
	s_lshl_b64 s[0:1], s[30:31], 3
	s_waitcnt lgkmcnt(0)
	s_add_u32 s6, s4, s0
	v_add_u32_e32 v14, s27, v11
	s_addc_u32 s7, s5, s1
	v_add_u32_e32 v8, s26, v9
	v_ashrrev_i32_e32 v9, 31, v14
	v_mad_u64_u32 v[10:11], s[0:1], s28, v14, 0
	v_mul_lo_u32 v9, s28, v9
	v_mul_lo_u32 v12, s29, v14
	v_cmp_neq_f64_e64 s[0:1], s[24:25], 0
	v_add3_u32 v11, v11, v9, v12
	v_cmp_le_i32_e32 vcc, v14, v8
	v_cmp_gt_i32_e64 s[2:3], s33, v8
	v_cndmask_b32_e64 v12, 0, 1, s[0:1]
	v_lshl_add_u64 v[10:11], v[10:11], 3, s[6:7]
	s_and_b64 s[8:9], vcc, s[2:3]
	v_ashrrev_i32_e32 v9, 31, v8
	v_cmp_ne_u32_e64 s[0:1], 1, v12
	s_and_saveexec_b64 s[4:5], s[8:9]
	s_cbranch_execz .LBB498_16
; %bb.13:
	v_mul_f64 v[6:7], s[10:11], v[6:7]
	s_and_b64 vcc, exec, s[0:1]
	v_lshl_add_u64 v[12:13], v[8:9], 3, v[10:11]
	s_cbranch_vccnz .LBB498_15
; %bb.14:
	flat_load_dwordx2 v[16:17], v[12:13]
	s_waitcnt vmcnt(0) lgkmcnt(0)
	v_fmac_f64_e32 v[6:7], s[24:25], v[16:17]
.LBB498_15:
	flat_store_dwordx2 v[12:13], v[6:7]
.LBB498_16:
	s_or_b64 exec, exec, s[4:5]
	v_add_u32_e32 v6, 16, v8
	v_cmp_le_i32_e32 vcc, v14, v6
	v_cmp_gt_i32_e64 s[4:5], s33, v6
	s_and_b64 s[12:13], vcc, s[4:5]
	v_ashrrev_i32_e32 v7, 31, v6
	s_and_saveexec_b64 s[8:9], s[12:13]
	s_cbranch_execz .LBB498_20
; %bb.17:
	v_mul_f64 v[4:5], s[10:11], v[4:5]
	s_and_b64 vcc, exec, s[0:1]
	v_lshl_add_u64 v[10:11], v[6:7], 3, v[10:11]
	s_cbranch_vccnz .LBB498_19
; %bb.18:
	flat_load_dwordx2 v[12:13], v[10:11]
	s_waitcnt vmcnt(0) lgkmcnt(0)
	v_fmac_f64_e32 v[4:5], s[24:25], v[12:13]
.LBB498_19:
	flat_store_dwordx2 v[10:11], v[4:5]
.LBB498_20:
	s_or_b64 exec, exec, s[8:9]
	v_add_u32_e32 v10, 16, v14
	v_ashrrev_i32_e32 v4, 31, v10
	v_mul_lo_u32 v11, s28, v4
	v_mul_lo_u32 v12, s29, v10
	v_mad_u64_u32 v[4:5], s[8:9], s28, v10, 0
	v_add3_u32 v5, v5, v11, v12
	v_cmp_le_i32_e32 vcc, v10, v8
	v_lshl_add_u64 v[4:5], v[4:5], 3, s[6:7]
	s_and_b64 s[6:7], vcc, s[2:3]
	s_and_saveexec_b64 s[2:3], s[6:7]
	s_cbranch_execz .LBB498_24
; %bb.21:
	v_mul_f64 v[2:3], s[10:11], v[2:3]
	s_and_b64 vcc, exec, s[0:1]
	v_lshl_add_u64 v[8:9], v[8:9], 3, v[4:5]
	s_cbranch_vccnz .LBB498_23
; %bb.22:
	flat_load_dwordx2 v[12:13], v[8:9]
	s_waitcnt vmcnt(0) lgkmcnt(0)
	v_fmac_f64_e32 v[2:3], s[24:25], v[12:13]
.LBB498_23:
	flat_store_dwordx2 v[8:9], v[2:3]
.LBB498_24:
	s_or_b64 exec, exec, s[2:3]
	v_cmp_le_i32_e32 vcc, v10, v6
	s_and_b64 s[2:3], vcc, s[4:5]
	s_and_saveexec_b64 s[4:5], s[2:3]
	s_cbranch_execz .LBB498_28
; %bb.25:
	v_mul_f64 v[0:1], s[10:11], v[0:1]
	s_and_b64 vcc, exec, s[0:1]
	v_lshl_add_u64 v[2:3], v[6:7], 3, v[4:5]
	s_cbranch_vccnz .LBB498_27
; %bb.26:
	flat_load_dwordx2 v[4:5], v[2:3]
	s_waitcnt vmcnt(0) lgkmcnt(0)
	v_fmac_f64_e32 v[0:1], s[24:25], v[4:5]
.LBB498_27:
	flat_store_dwordx2 v[2:3], v[0:1]
.LBB498_28:
	s_endpgm
	.section	.rodata,"a",@progbits
	.p2align	6, 0x0
	.amdhsa_kernel _ZL29rocblas_internal_gemmt_kernelIlLi16ELi32ELi8ELc84ELc78ELc76ELb0ELb0EddPKPKdPKPdEviT_T9_T10_S7_lS9_S7_lS8_T11_S7_li
		.amdhsa_group_segment_fixed_size 4096
		.amdhsa_private_segment_fixed_size 0
		.amdhsa_kernarg_size 108
		.amdhsa_user_sgpr_count 2
		.amdhsa_user_sgpr_dispatch_ptr 0
		.amdhsa_user_sgpr_queue_ptr 0
		.amdhsa_user_sgpr_kernarg_segment_ptr 1
		.amdhsa_user_sgpr_dispatch_id 0
		.amdhsa_user_sgpr_kernarg_preload_length 0
		.amdhsa_user_sgpr_kernarg_preload_offset 0
		.amdhsa_user_sgpr_private_segment_size 0
		.amdhsa_uses_dynamic_stack 0
		.amdhsa_enable_private_segment 0
		.amdhsa_system_sgpr_workgroup_id_x 1
		.amdhsa_system_sgpr_workgroup_id_y 1
		.amdhsa_system_sgpr_workgroup_id_z 1
		.amdhsa_system_sgpr_workgroup_info 0
		.amdhsa_system_vgpr_workitem_id 1
		.amdhsa_next_free_vgpr 54
		.amdhsa_next_free_sgpr 36
		.amdhsa_accum_offset 56
		.amdhsa_reserve_vcc 1
		.amdhsa_float_round_mode_32 0
		.amdhsa_float_round_mode_16_64 0
		.amdhsa_float_denorm_mode_32 3
		.amdhsa_float_denorm_mode_16_64 3
		.amdhsa_dx10_clamp 1
		.amdhsa_ieee_mode 1
		.amdhsa_fp16_overflow 0
		.amdhsa_tg_split 0
		.amdhsa_exception_fp_ieee_invalid_op 0
		.amdhsa_exception_fp_denorm_src 0
		.amdhsa_exception_fp_ieee_div_zero 0
		.amdhsa_exception_fp_ieee_overflow 0
		.amdhsa_exception_fp_ieee_underflow 0
		.amdhsa_exception_fp_ieee_inexact 0
		.amdhsa_exception_int_div_zero 0
	.end_amdhsa_kernel
	.section	.text._ZL29rocblas_internal_gemmt_kernelIlLi16ELi32ELi8ELc84ELc78ELc76ELb0ELb0EddPKPKdPKPdEviT_T9_T10_S7_lS9_S7_lS8_T11_S7_li,"axG",@progbits,_ZL29rocblas_internal_gemmt_kernelIlLi16ELi32ELi8ELc84ELc78ELc76ELb0ELb0EddPKPKdPKPdEviT_T9_T10_S7_lS9_S7_lS8_T11_S7_li,comdat
.Lfunc_end498:
	.size	_ZL29rocblas_internal_gemmt_kernelIlLi16ELi32ELi8ELc84ELc78ELc76ELb0ELb0EddPKPKdPKPdEviT_T9_T10_S7_lS9_S7_lS8_T11_S7_li, .Lfunc_end498-_ZL29rocblas_internal_gemmt_kernelIlLi16ELi32ELi8ELc84ELc78ELc76ELb0ELb0EddPKPKdPKPdEviT_T9_T10_S7_lS9_S7_lS8_T11_S7_li
                                        ; -- End function
	.set _ZL29rocblas_internal_gemmt_kernelIlLi16ELi32ELi8ELc84ELc78ELc76ELb0ELb0EddPKPKdPKPdEviT_T9_T10_S7_lS9_S7_lS8_T11_S7_li.num_vgpr, 54
	.set _ZL29rocblas_internal_gemmt_kernelIlLi16ELi32ELi8ELc84ELc78ELc76ELb0ELb0EddPKPKdPKPdEviT_T9_T10_S7_lS9_S7_lS8_T11_S7_li.num_agpr, 0
	.set _ZL29rocblas_internal_gemmt_kernelIlLi16ELi32ELi8ELc84ELc78ELc76ELb0ELb0EddPKPKdPKPdEviT_T9_T10_S7_lS9_S7_lS8_T11_S7_li.numbered_sgpr, 36
	.set _ZL29rocblas_internal_gemmt_kernelIlLi16ELi32ELi8ELc84ELc78ELc76ELb0ELb0EddPKPKdPKPdEviT_T9_T10_S7_lS9_S7_lS8_T11_S7_li.num_named_barrier, 0
	.set _ZL29rocblas_internal_gemmt_kernelIlLi16ELi32ELi8ELc84ELc78ELc76ELb0ELb0EddPKPKdPKPdEviT_T9_T10_S7_lS9_S7_lS8_T11_S7_li.private_seg_size, 0
	.set _ZL29rocblas_internal_gemmt_kernelIlLi16ELi32ELi8ELc84ELc78ELc76ELb0ELb0EddPKPKdPKPdEviT_T9_T10_S7_lS9_S7_lS8_T11_S7_li.uses_vcc, 1
	.set _ZL29rocblas_internal_gemmt_kernelIlLi16ELi32ELi8ELc84ELc78ELc76ELb0ELb0EddPKPKdPKPdEviT_T9_T10_S7_lS9_S7_lS8_T11_S7_li.uses_flat_scratch, 0
	.set _ZL29rocblas_internal_gemmt_kernelIlLi16ELi32ELi8ELc84ELc78ELc76ELb0ELb0EddPKPKdPKPdEviT_T9_T10_S7_lS9_S7_lS8_T11_S7_li.has_dyn_sized_stack, 0
	.set _ZL29rocblas_internal_gemmt_kernelIlLi16ELi32ELi8ELc84ELc78ELc76ELb0ELb0EddPKPKdPKPdEviT_T9_T10_S7_lS9_S7_lS8_T11_S7_li.has_recursion, 0
	.set _ZL29rocblas_internal_gemmt_kernelIlLi16ELi32ELi8ELc84ELc78ELc76ELb0ELb0EddPKPKdPKPdEviT_T9_T10_S7_lS9_S7_lS8_T11_S7_li.has_indirect_call, 0
	.section	.AMDGPU.csdata,"",@progbits
; Kernel info:
; codeLenInByte = 1336
; TotalNumSgprs: 42
; NumVgprs: 54
; NumAgprs: 0
; TotalNumVgprs: 54
; ScratchSize: 0
; MemoryBound: 0
; FloatMode: 240
; IeeeMode: 1
; LDSByteSize: 4096 bytes/workgroup (compile time only)
; SGPRBlocks: 5
; VGPRBlocks: 6
; NumSGPRsForWavesPerEU: 42
; NumVGPRsForWavesPerEU: 54
; AccumOffset: 56
; Occupancy: 8
; WaveLimiterHint : 1
; COMPUTE_PGM_RSRC2:SCRATCH_EN: 0
; COMPUTE_PGM_RSRC2:USER_SGPR: 2
; COMPUTE_PGM_RSRC2:TRAP_HANDLER: 0
; COMPUTE_PGM_RSRC2:TGID_X_EN: 1
; COMPUTE_PGM_RSRC2:TGID_Y_EN: 1
; COMPUTE_PGM_RSRC2:TGID_Z_EN: 1
; COMPUTE_PGM_RSRC2:TIDIG_COMP_CNT: 1
; COMPUTE_PGM_RSRC3_GFX90A:ACCUM_OFFSET: 13
; COMPUTE_PGM_RSRC3_GFX90A:TG_SPLIT: 0
	.section	.text._ZL29rocblas_internal_gemmt_kernelIlLi16ELi32ELi8ELc84ELc84ELc76ELb0ELb0EddPKPKdPKPdEviT_T9_T10_S7_lS9_S7_lS8_T11_S7_li,"axG",@progbits,_ZL29rocblas_internal_gemmt_kernelIlLi16ELi32ELi8ELc84ELc84ELc76ELb0ELb0EddPKPKdPKPdEviT_T9_T10_S7_lS9_S7_lS8_T11_S7_li,comdat
	.globl	_ZL29rocblas_internal_gemmt_kernelIlLi16ELi32ELi8ELc84ELc84ELc76ELb0ELb0EddPKPKdPKPdEviT_T9_T10_S7_lS9_S7_lS8_T11_S7_li ; -- Begin function _ZL29rocblas_internal_gemmt_kernelIlLi16ELi32ELi8ELc84ELc84ELc76ELb0ELb0EddPKPKdPKPdEviT_T9_T10_S7_lS9_S7_lS8_T11_S7_li
	.p2align	8
	.type	_ZL29rocblas_internal_gemmt_kernelIlLi16ELi32ELi8ELc84ELc84ELc76ELb0ELb0EddPKPKdPKPdEviT_T9_T10_S7_lS9_S7_lS8_T11_S7_li,@function
_ZL29rocblas_internal_gemmt_kernelIlLi16ELi32ELi8ELc84ELc84ELc76ELb0ELb0EddPKPKdPKPdEviT_T9_T10_S7_lS9_S7_lS8_T11_S7_li: ; @_ZL29rocblas_internal_gemmt_kernelIlLi16ELi32ELi8ELc84ELc84ELc76ELb0ELb0EddPKPKdPKPdEviT_T9_T10_S7_lS9_S7_lS8_T11_S7_li
; %bb.0:
	s_load_dwordx8 s[24:31], s[0:1], 0x48
	s_load_dwordx16 s[8:23], s[0:1], 0x8
	s_waitcnt lgkmcnt(0)
	v_cmp_neq_f64_e64 s[6:7], s[24:25], 1.0
	s_and_b64 vcc, exec, s[6:7]
	s_cbranch_vccnz .LBB499_2
; %bb.1:
	s_cmp_lg_u64 s[8:9], 0
	s_cselect_b64 s[6:7], -1, 0
	v_cmp_neq_f64_e64 s[34:35], s[10:11], 0
	s_and_b64 s[6:7], s[6:7], s[34:35]
.LBB499_2:
	s_andn2_b64 vcc, exec, s[6:7]
	s_cbranch_vccnz .LBB499_28
; %bb.3:
	s_mov_b32 s5, 0
	s_load_dword s33, s[0:1], 0x0
	s_lshl_b64 s[0:1], s[4:5], 3
	s_add_u32 s4, s26, s0
	s_addc_u32 s5, s27, s1
	s_load_dwordx2 s[4:5], s[4:5], 0x0
	s_lshl_b32 s26, s2, 5
	s_lshl_b32 s27, s3, 5
	v_cmp_eq_f64_e64 s[2:3], s[10:11], 0
	v_cmp_lt_i64_e64 s[6:7], s[8:9], 1
	s_or_b64 s[2:3], s[2:3], s[6:7]
	v_and_b32_e32 v9, 0x3ff, v0
	v_bfe_u32 v11, v0, 10, 10
	v_mov_b64_e32 v[6:7], 0
	s_and_b64 vcc, exec, s[2:3]
	v_mov_b64_e32 v[4:5], 0
	v_mov_b64_e32 v[2:3], 0
	;; [unrolled: 1-line block ×3, first 2 shown]
	s_cbranch_vccnz .LBB499_12
; %bb.4:
	s_add_u32 s2, s18, s0
	s_addc_u32 s3, s19, s1
	s_load_dwordx2 s[2:3], s[2:3], 0x0
	s_lshl_b64 s[6:7], s[22:23], 3
	v_lshl_add_u32 v1, v11, 4, v9
	v_lshrrev_b32_e32 v10, 5, v1
	v_lshrrev_b32_e32 v4, 3, v1
	s_waitcnt lgkmcnt(0)
	s_add_u32 s6, s2, s6
	s_addc_u32 s7, s3, s7
	s_add_u32 s0, s12, s0
	s_addc_u32 s1, s13, s1
	s_load_dwordx2 s[0:1], s[0:1], 0x0
	v_and_b32_e32 v1, 31, v1
	s_lshl_b64 s[2:3], s[16:17], 3
	v_or_b32_e32 v2, s26, v1
	v_lshlrev_b32_e32 v1, 3, v1
	s_waitcnt lgkmcnt(0)
	s_add_u32 s2, s0, s2
	s_addc_u32 s3, s1, s3
	v_cmp_gt_i32_e64 s[0:1], s33, v2
	v_lshl_or_b32 v18, v10, 8, v1
	s_ashr_i32 s16, s26, 31
	v_mul_lo_u32 v1, s15, v2
	v_mad_u64_u32 v[2:3], s[12:13], s14, v2, 0
	v_and_b32_e32 v8, 7, v9
	s_mul_i32 s12, s14, s16
	v_add3_u32 v3, v3, s12, v1
	v_lshlrev_b32_e32 v1, 3, v8
	v_add_u32_e32 v0, s27, v4
	v_lshl_or_b32 v1, v4, 6, v1
	v_add_u32_e32 v19, 0x800, v1
	v_ashrrev_i32_e32 v1, 31, v0
	v_lshl_add_u64 v[12:13], v[2:3], 3, s[2:3]
	v_cmp_gt_i32_e64 s[2:3], s33, v0
	v_lshl_add_u64 v[14:15], v[0:1], 3, s[6:7]
	v_mov_b32_e32 v0, 0x800
	v_lshlrev_b32_e32 v20, 3, v9
	v_lshl_add_u32 v21, v11, 6, v0
	v_mov_b32_e32 v17, 0
	v_mov_b64_e32 v[0:1], 0
	s_mov_b64 s[6:7], 0
	v_mov_b64_e32 v[2:3], 0
	v_mov_b64_e32 v[4:5], 0
	;; [unrolled: 1-line block ×3, first 2 shown]
	s_branch .LBB499_6
.LBB499_5:                              ;   in Loop: Header=BB499_6 Depth=1
	s_or_b64 exec, exec, s[12:13]
	s_waitcnt vmcnt(0) lgkmcnt(0)
	ds_write_b64 v19, v[22:23]
	s_waitcnt lgkmcnt(0)
	s_barrier
	ds_read2_b64 v[22:25], v20 offset1:16
	ds_read_b128 v[26:29], v21
	ds_read_b128 v[30:33], v21 offset:16
	ds_read_b128 v[34:37], v21 offset:32
	;; [unrolled: 1-line block ×4, first 2 shown]
	ds_read2_b64 v[46:49], v20 offset0:32 offset1:48
	s_waitcnt lgkmcnt(5)
	v_fmac_f64_e32 v[6:7], v[22:23], v[26:27]
	v_fmac_f64_e32 v[4:5], v[24:25], v[26:27]
	ds_read_b128 v[50:53], v21 offset:1040
	s_waitcnt lgkmcnt(2)
	v_fmac_f64_e32 v[2:3], v[22:23], v[42:43]
	v_fmac_f64_e32 v[0:1], v[24:25], v[42:43]
	ds_read2_b64 v[22:25], v20 offset0:64 offset1:80
	s_waitcnt lgkmcnt(2)
	v_fmac_f64_e32 v[6:7], v[46:47], v[28:29]
	v_fmac_f64_e32 v[4:5], v[48:49], v[28:29]
	ds_read2_b64 v[26:29], v20 offset0:96 offset1:112
	v_fmac_f64_e32 v[2:3], v[46:47], v[44:45]
	v_fmac_f64_e32 v[0:1], v[48:49], v[44:45]
	s_waitcnt lgkmcnt(1)
	v_fmac_f64_e32 v[6:7], v[22:23], v[30:31]
	v_fmac_f64_e32 v[4:5], v[24:25], v[30:31]
	ds_read_b128 v[42:45], v21 offset:1072
	v_fmac_f64_e32 v[2:3], v[22:23], v[50:51]
	v_fmac_f64_e32 v[0:1], v[24:25], v[50:51]
	s_waitcnt lgkmcnt(1)
	v_fmac_f64_e32 v[6:7], v[26:27], v[32:33]
	ds_read2_b64 v[22:25], v20 offset0:128 offset1:144
	v_fmac_f64_e32 v[4:5], v[28:29], v[32:33]
	v_fmac_f64_e32 v[2:3], v[26:27], v[52:53]
	;; [unrolled: 1-line block ×3, first 2 shown]
	ds_read_b128 v[26:29], v21 offset:1056
	ds_read2_b64 v[30:33], v20 offset0:160 offset1:176
	s_waitcnt lgkmcnt(2)
	v_fmac_f64_e32 v[6:7], v[22:23], v[34:35]
	v_fmac_f64_e32 v[4:5], v[24:25], v[34:35]
	s_add_u32 s6, s6, 8
	s_waitcnt lgkmcnt(1)
	v_fmac_f64_e32 v[2:3], v[22:23], v[26:27]
	v_fmac_f64_e32 v[0:1], v[24:25], v[26:27]
	ds_read2_b64 v[22:25], v20 offset0:192 offset1:208
	s_waitcnt lgkmcnt(1)
	v_fmac_f64_e32 v[2:3], v[30:31], v[28:29]
	v_fmac_f64_e32 v[0:1], v[32:33], v[28:29]
	ds_read2_b64 v[26:29], v20 offset0:224 offset1:240
	v_fmac_f64_e32 v[6:7], v[30:31], v[36:37]
	s_addc_u32 s7, s7, 0
	v_fmac_f64_e32 v[4:5], v[32:33], v[36:37]
	s_waitcnt lgkmcnt(1)
	v_fmac_f64_e32 v[6:7], v[22:23], v[38:39]
	v_fmac_f64_e32 v[2:3], v[22:23], v[42:43]
	v_mov_b64_e32 v[22:23], s[6:7]
	v_fmac_f64_e32 v[4:5], v[24:25], v[38:39]
	v_fmac_f64_e32 v[0:1], v[24:25], v[42:43]
	v_cmp_gt_i64_e32 vcc, s[8:9], v[22:23]
	s_waitcnt lgkmcnt(0)
	v_fmac_f64_e32 v[6:7], v[26:27], v[40:41]
	v_fmac_f64_e32 v[4:5], v[28:29], v[40:41]
	v_fmac_f64_e32 v[2:3], v[26:27], v[44:45]
	v_fmac_f64_e32 v[0:1], v[28:29], v[44:45]
	s_barrier
	s_cbranch_vccz .LBB499_12
.LBB499_6:                              ; =>This Inner Loop Header: Depth=1
	v_mov_b64_e32 v[22:23], 0
	s_and_saveexec_b64 s[12:13], s[0:1]
	s_cbranch_execz .LBB499_10
; %bb.7:                                ;   in Loop: Header=BB499_6 Depth=1
	v_add_u32_e32 v16, s6, v10
	v_cmp_gt_u64_e32 vcc, s[8:9], v[16:17]
	v_mov_b64_e32 v[22:23], 0
	s_and_saveexec_b64 s[14:15], vcc
	s_cbranch_execz .LBB499_9
; %bb.8:                                ;   in Loop: Header=BB499_6 Depth=1
	v_lshl_add_u64 v[22:23], v[16:17], 3, v[12:13]
	flat_load_dwordx2 v[22:23], v[22:23]
.LBB499_9:                              ;   in Loop: Header=BB499_6 Depth=1
	s_or_b64 exec, exec, s[14:15]
.LBB499_10:                             ;   in Loop: Header=BB499_6 Depth=1
	s_or_b64 exec, exec, s[12:13]
	v_add_u32_e32 v16, s6, v8
	v_cmp_gt_u64_e32 vcc, s[8:9], v[16:17]
	s_waitcnt vmcnt(0) lgkmcnt(0)
	ds_write_b64 v18, v[22:23]
	s_and_b64 s[14:15], vcc, s[2:3]
	v_mov_b64_e32 v[22:23], 0
	s_and_saveexec_b64 s[12:13], s[14:15]
	s_cbranch_execz .LBB499_5
; %bb.11:                               ;   in Loop: Header=BB499_6 Depth=1
	v_mad_u64_u32 v[22:23], s[14:15], s20, v16, 0
	v_mov_b32_e32 v24, v23
	v_mad_u64_u32 v[24:25], s[14:15], s21, v16, v[24:25]
	v_mov_b32_e32 v23, v24
	v_lshl_add_u64 v[22:23], v[22:23], 3, v[14:15]
	flat_load_dwordx2 v[22:23], v[22:23]
	s_branch .LBB499_5
.LBB499_12:
	s_lshl_b64 s[0:1], s[30:31], 3
	s_waitcnt lgkmcnt(0)
	s_add_u32 s6, s4, s0
	v_add_u32_e32 v14, s27, v11
	s_addc_u32 s7, s5, s1
	v_add_u32_e32 v8, s26, v9
	v_ashrrev_i32_e32 v9, 31, v14
	v_mad_u64_u32 v[10:11], s[0:1], s28, v14, 0
	v_mul_lo_u32 v9, s28, v9
	v_mul_lo_u32 v12, s29, v14
	v_cmp_neq_f64_e64 s[0:1], s[24:25], 0
	v_add3_u32 v11, v11, v9, v12
	v_cmp_le_i32_e32 vcc, v14, v8
	v_cmp_gt_i32_e64 s[2:3], s33, v8
	v_cndmask_b32_e64 v12, 0, 1, s[0:1]
	v_lshl_add_u64 v[10:11], v[10:11], 3, s[6:7]
	s_and_b64 s[8:9], vcc, s[2:3]
	v_ashrrev_i32_e32 v9, 31, v8
	v_cmp_ne_u32_e64 s[0:1], 1, v12
	s_and_saveexec_b64 s[4:5], s[8:9]
	s_cbranch_execz .LBB499_16
; %bb.13:
	v_mul_f64 v[6:7], s[10:11], v[6:7]
	s_and_b64 vcc, exec, s[0:1]
	v_lshl_add_u64 v[12:13], v[8:9], 3, v[10:11]
	s_cbranch_vccnz .LBB499_15
; %bb.14:
	flat_load_dwordx2 v[16:17], v[12:13]
	s_waitcnt vmcnt(0) lgkmcnt(0)
	v_fmac_f64_e32 v[6:7], s[24:25], v[16:17]
.LBB499_15:
	flat_store_dwordx2 v[12:13], v[6:7]
.LBB499_16:
	s_or_b64 exec, exec, s[4:5]
	v_add_u32_e32 v6, 16, v8
	v_cmp_le_i32_e32 vcc, v14, v6
	v_cmp_gt_i32_e64 s[4:5], s33, v6
	s_and_b64 s[12:13], vcc, s[4:5]
	v_ashrrev_i32_e32 v7, 31, v6
	s_and_saveexec_b64 s[8:9], s[12:13]
	s_cbranch_execz .LBB499_20
; %bb.17:
	v_mul_f64 v[4:5], s[10:11], v[4:5]
	s_and_b64 vcc, exec, s[0:1]
	v_lshl_add_u64 v[10:11], v[6:7], 3, v[10:11]
	s_cbranch_vccnz .LBB499_19
; %bb.18:
	flat_load_dwordx2 v[12:13], v[10:11]
	s_waitcnt vmcnt(0) lgkmcnt(0)
	v_fmac_f64_e32 v[4:5], s[24:25], v[12:13]
.LBB499_19:
	flat_store_dwordx2 v[10:11], v[4:5]
.LBB499_20:
	s_or_b64 exec, exec, s[8:9]
	v_add_u32_e32 v10, 16, v14
	v_ashrrev_i32_e32 v4, 31, v10
	v_mul_lo_u32 v11, s28, v4
	v_mul_lo_u32 v12, s29, v10
	v_mad_u64_u32 v[4:5], s[8:9], s28, v10, 0
	v_add3_u32 v5, v5, v11, v12
	v_cmp_le_i32_e32 vcc, v10, v8
	v_lshl_add_u64 v[4:5], v[4:5], 3, s[6:7]
	s_and_b64 s[6:7], vcc, s[2:3]
	s_and_saveexec_b64 s[2:3], s[6:7]
	s_cbranch_execz .LBB499_24
; %bb.21:
	v_mul_f64 v[2:3], s[10:11], v[2:3]
	s_and_b64 vcc, exec, s[0:1]
	v_lshl_add_u64 v[8:9], v[8:9], 3, v[4:5]
	s_cbranch_vccnz .LBB499_23
; %bb.22:
	flat_load_dwordx2 v[12:13], v[8:9]
	s_waitcnt vmcnt(0) lgkmcnt(0)
	v_fmac_f64_e32 v[2:3], s[24:25], v[12:13]
.LBB499_23:
	flat_store_dwordx2 v[8:9], v[2:3]
.LBB499_24:
	s_or_b64 exec, exec, s[2:3]
	v_cmp_le_i32_e32 vcc, v10, v6
	s_and_b64 s[2:3], vcc, s[4:5]
	s_and_saveexec_b64 s[4:5], s[2:3]
	s_cbranch_execz .LBB499_28
; %bb.25:
	v_mul_f64 v[0:1], s[10:11], v[0:1]
	s_and_b64 vcc, exec, s[0:1]
	v_lshl_add_u64 v[2:3], v[6:7], 3, v[4:5]
	s_cbranch_vccnz .LBB499_27
; %bb.26:
	flat_load_dwordx2 v[4:5], v[2:3]
	s_waitcnt vmcnt(0) lgkmcnt(0)
	v_fmac_f64_e32 v[0:1], s[24:25], v[4:5]
.LBB499_27:
	flat_store_dwordx2 v[2:3], v[0:1]
.LBB499_28:
	s_endpgm
	.section	.rodata,"a",@progbits
	.p2align	6, 0x0
	.amdhsa_kernel _ZL29rocblas_internal_gemmt_kernelIlLi16ELi32ELi8ELc84ELc84ELc76ELb0ELb0EddPKPKdPKPdEviT_T9_T10_S7_lS9_S7_lS8_T11_S7_li
		.amdhsa_group_segment_fixed_size 4096
		.amdhsa_private_segment_fixed_size 0
		.amdhsa_kernarg_size 108
		.amdhsa_user_sgpr_count 2
		.amdhsa_user_sgpr_dispatch_ptr 0
		.amdhsa_user_sgpr_queue_ptr 0
		.amdhsa_user_sgpr_kernarg_segment_ptr 1
		.amdhsa_user_sgpr_dispatch_id 0
		.amdhsa_user_sgpr_kernarg_preload_length 0
		.amdhsa_user_sgpr_kernarg_preload_offset 0
		.amdhsa_user_sgpr_private_segment_size 0
		.amdhsa_uses_dynamic_stack 0
		.amdhsa_enable_private_segment 0
		.amdhsa_system_sgpr_workgroup_id_x 1
		.amdhsa_system_sgpr_workgroup_id_y 1
		.amdhsa_system_sgpr_workgroup_id_z 1
		.amdhsa_system_sgpr_workgroup_info 0
		.amdhsa_system_vgpr_workitem_id 1
		.amdhsa_next_free_vgpr 54
		.amdhsa_next_free_sgpr 36
		.amdhsa_accum_offset 56
		.amdhsa_reserve_vcc 1
		.amdhsa_float_round_mode_32 0
		.amdhsa_float_round_mode_16_64 0
		.amdhsa_float_denorm_mode_32 3
		.amdhsa_float_denorm_mode_16_64 3
		.amdhsa_dx10_clamp 1
		.amdhsa_ieee_mode 1
		.amdhsa_fp16_overflow 0
		.amdhsa_tg_split 0
		.amdhsa_exception_fp_ieee_invalid_op 0
		.amdhsa_exception_fp_denorm_src 0
		.amdhsa_exception_fp_ieee_div_zero 0
		.amdhsa_exception_fp_ieee_overflow 0
		.amdhsa_exception_fp_ieee_underflow 0
		.amdhsa_exception_fp_ieee_inexact 0
		.amdhsa_exception_int_div_zero 0
	.end_amdhsa_kernel
	.section	.text._ZL29rocblas_internal_gemmt_kernelIlLi16ELi32ELi8ELc84ELc84ELc76ELb0ELb0EddPKPKdPKPdEviT_T9_T10_S7_lS9_S7_lS8_T11_S7_li,"axG",@progbits,_ZL29rocblas_internal_gemmt_kernelIlLi16ELi32ELi8ELc84ELc84ELc76ELb0ELb0EddPKPKdPKPdEviT_T9_T10_S7_lS9_S7_lS8_T11_S7_li,comdat
.Lfunc_end499:
	.size	_ZL29rocblas_internal_gemmt_kernelIlLi16ELi32ELi8ELc84ELc84ELc76ELb0ELb0EddPKPKdPKPdEviT_T9_T10_S7_lS9_S7_lS8_T11_S7_li, .Lfunc_end499-_ZL29rocblas_internal_gemmt_kernelIlLi16ELi32ELi8ELc84ELc84ELc76ELb0ELb0EddPKPKdPKPdEviT_T9_T10_S7_lS9_S7_lS8_T11_S7_li
                                        ; -- End function
	.set _ZL29rocblas_internal_gemmt_kernelIlLi16ELi32ELi8ELc84ELc84ELc76ELb0ELb0EddPKPKdPKPdEviT_T9_T10_S7_lS9_S7_lS8_T11_S7_li.num_vgpr, 54
	.set _ZL29rocblas_internal_gemmt_kernelIlLi16ELi32ELi8ELc84ELc84ELc76ELb0ELb0EddPKPKdPKPdEviT_T9_T10_S7_lS9_S7_lS8_T11_S7_li.num_agpr, 0
	.set _ZL29rocblas_internal_gemmt_kernelIlLi16ELi32ELi8ELc84ELc84ELc76ELb0ELb0EddPKPKdPKPdEviT_T9_T10_S7_lS9_S7_lS8_T11_S7_li.numbered_sgpr, 36
	.set _ZL29rocblas_internal_gemmt_kernelIlLi16ELi32ELi8ELc84ELc84ELc76ELb0ELb0EddPKPKdPKPdEviT_T9_T10_S7_lS9_S7_lS8_T11_S7_li.num_named_barrier, 0
	.set _ZL29rocblas_internal_gemmt_kernelIlLi16ELi32ELi8ELc84ELc84ELc76ELb0ELb0EddPKPKdPKPdEviT_T9_T10_S7_lS9_S7_lS8_T11_S7_li.private_seg_size, 0
	.set _ZL29rocblas_internal_gemmt_kernelIlLi16ELi32ELi8ELc84ELc84ELc76ELb0ELb0EddPKPKdPKPdEviT_T9_T10_S7_lS9_S7_lS8_T11_S7_li.uses_vcc, 1
	.set _ZL29rocblas_internal_gemmt_kernelIlLi16ELi32ELi8ELc84ELc84ELc76ELb0ELb0EddPKPKdPKPdEviT_T9_T10_S7_lS9_S7_lS8_T11_S7_li.uses_flat_scratch, 0
	.set _ZL29rocblas_internal_gemmt_kernelIlLi16ELi32ELi8ELc84ELc84ELc76ELb0ELb0EddPKPKdPKPdEviT_T9_T10_S7_lS9_S7_lS8_T11_S7_li.has_dyn_sized_stack, 0
	.set _ZL29rocblas_internal_gemmt_kernelIlLi16ELi32ELi8ELc84ELc84ELc76ELb0ELb0EddPKPKdPKPdEviT_T9_T10_S7_lS9_S7_lS8_T11_S7_li.has_recursion, 0
	.set _ZL29rocblas_internal_gemmt_kernelIlLi16ELi32ELi8ELc84ELc84ELc76ELb0ELb0EddPKPKdPKPdEviT_T9_T10_S7_lS9_S7_lS8_T11_S7_li.has_indirect_call, 0
	.section	.AMDGPU.csdata,"",@progbits
; Kernel info:
; codeLenInByte = 1328
; TotalNumSgprs: 42
; NumVgprs: 54
; NumAgprs: 0
; TotalNumVgprs: 54
; ScratchSize: 0
; MemoryBound: 0
; FloatMode: 240
; IeeeMode: 1
; LDSByteSize: 4096 bytes/workgroup (compile time only)
; SGPRBlocks: 5
; VGPRBlocks: 6
; NumSGPRsForWavesPerEU: 42
; NumVGPRsForWavesPerEU: 54
; AccumOffset: 56
; Occupancy: 8
; WaveLimiterHint : 1
; COMPUTE_PGM_RSRC2:SCRATCH_EN: 0
; COMPUTE_PGM_RSRC2:USER_SGPR: 2
; COMPUTE_PGM_RSRC2:TRAP_HANDLER: 0
; COMPUTE_PGM_RSRC2:TGID_X_EN: 1
; COMPUTE_PGM_RSRC2:TGID_Y_EN: 1
; COMPUTE_PGM_RSRC2:TGID_Z_EN: 1
; COMPUTE_PGM_RSRC2:TIDIG_COMP_CNT: 1
; COMPUTE_PGM_RSRC3_GFX90A:ACCUM_OFFSET: 13
; COMPUTE_PGM_RSRC3_GFX90A:TG_SPLIT: 0
	.section	.text._ZL29rocblas_internal_gemmt_kernelIlLi16ELi32ELi8ELc84ELc67ELc76ELb0ELb0EddPKPKdPKPdEviT_T9_T10_S7_lS9_S7_lS8_T11_S7_li,"axG",@progbits,_ZL29rocblas_internal_gemmt_kernelIlLi16ELi32ELi8ELc84ELc67ELc76ELb0ELb0EddPKPKdPKPdEviT_T9_T10_S7_lS9_S7_lS8_T11_S7_li,comdat
	.globl	_ZL29rocblas_internal_gemmt_kernelIlLi16ELi32ELi8ELc84ELc67ELc76ELb0ELb0EddPKPKdPKPdEviT_T9_T10_S7_lS9_S7_lS8_T11_S7_li ; -- Begin function _ZL29rocblas_internal_gemmt_kernelIlLi16ELi32ELi8ELc84ELc67ELc76ELb0ELb0EddPKPKdPKPdEviT_T9_T10_S7_lS9_S7_lS8_T11_S7_li
	.p2align	8
	.type	_ZL29rocblas_internal_gemmt_kernelIlLi16ELi32ELi8ELc84ELc67ELc76ELb0ELb0EddPKPKdPKPdEviT_T9_T10_S7_lS9_S7_lS8_T11_S7_li,@function
_ZL29rocblas_internal_gemmt_kernelIlLi16ELi32ELi8ELc84ELc67ELc76ELb0ELb0EddPKPKdPKPdEviT_T9_T10_S7_lS9_S7_lS8_T11_S7_li: ; @_ZL29rocblas_internal_gemmt_kernelIlLi16ELi32ELi8ELc84ELc67ELc76ELb0ELb0EddPKPKdPKPdEviT_T9_T10_S7_lS9_S7_lS8_T11_S7_li
; %bb.0:
	s_load_dwordx8 s[24:31], s[0:1], 0x48
	s_load_dwordx16 s[8:23], s[0:1], 0x8
	s_waitcnt lgkmcnt(0)
	v_cmp_neq_f64_e64 s[6:7], s[24:25], 1.0
	s_and_b64 vcc, exec, s[6:7]
	s_cbranch_vccnz .LBB500_2
; %bb.1:
	s_cmp_lg_u64 s[8:9], 0
	s_cselect_b64 s[6:7], -1, 0
	v_cmp_neq_f64_e64 s[34:35], s[10:11], 0
	s_and_b64 s[6:7], s[6:7], s[34:35]
.LBB500_2:
	s_andn2_b64 vcc, exec, s[6:7]
	s_cbranch_vccnz .LBB500_28
; %bb.3:
	s_mov_b32 s5, 0
	s_load_dword s33, s[0:1], 0x0
	s_lshl_b64 s[0:1], s[4:5], 3
	s_add_u32 s4, s26, s0
	s_addc_u32 s5, s27, s1
	s_load_dwordx2 s[4:5], s[4:5], 0x0
	s_lshl_b32 s26, s2, 5
	s_lshl_b32 s27, s3, 5
	v_cmp_eq_f64_e64 s[2:3], s[10:11], 0
	v_cmp_lt_i64_e64 s[6:7], s[8:9], 1
	s_or_b64 s[2:3], s[2:3], s[6:7]
	v_and_b32_e32 v9, 0x3ff, v0
	v_bfe_u32 v11, v0, 10, 10
	v_mov_b64_e32 v[6:7], 0
	s_and_b64 vcc, exec, s[2:3]
	v_mov_b64_e32 v[4:5], 0
	v_mov_b64_e32 v[2:3], 0
	;; [unrolled: 1-line block ×3, first 2 shown]
	s_cbranch_vccnz .LBB500_12
; %bb.4:
	s_add_u32 s2, s18, s0
	s_addc_u32 s3, s19, s1
	s_load_dwordx2 s[2:3], s[2:3], 0x0
	s_lshl_b64 s[6:7], s[22:23], 3
	v_lshl_add_u32 v1, v11, 4, v9
	v_lshrrev_b32_e32 v10, 5, v1
	v_lshrrev_b32_e32 v4, 3, v1
	s_waitcnt lgkmcnt(0)
	s_add_u32 s6, s2, s6
	s_addc_u32 s7, s3, s7
	s_add_u32 s0, s12, s0
	s_addc_u32 s1, s13, s1
	s_load_dwordx2 s[0:1], s[0:1], 0x0
	v_and_b32_e32 v1, 31, v1
	s_lshl_b64 s[2:3], s[16:17], 3
	v_or_b32_e32 v2, s26, v1
	v_lshlrev_b32_e32 v1, 3, v1
	s_waitcnt lgkmcnt(0)
	s_add_u32 s2, s0, s2
	s_addc_u32 s3, s1, s3
	v_cmp_gt_i32_e64 s[0:1], s33, v2
	v_lshl_or_b32 v18, v10, 8, v1
	s_ashr_i32 s16, s26, 31
	v_mul_lo_u32 v1, s15, v2
	v_mad_u64_u32 v[2:3], s[12:13], s14, v2, 0
	v_and_b32_e32 v8, 7, v9
	s_mul_i32 s12, s14, s16
	v_add3_u32 v3, v3, s12, v1
	v_lshlrev_b32_e32 v1, 3, v8
	v_add_u32_e32 v0, s27, v4
	v_lshl_or_b32 v1, v4, 6, v1
	v_add_u32_e32 v19, 0x800, v1
	v_ashrrev_i32_e32 v1, 31, v0
	v_lshl_add_u64 v[12:13], v[2:3], 3, s[2:3]
	v_cmp_gt_i32_e64 s[2:3], s33, v0
	v_lshl_add_u64 v[14:15], v[0:1], 3, s[6:7]
	v_mov_b32_e32 v0, 0x800
	v_lshlrev_b32_e32 v20, 3, v9
	v_lshl_add_u32 v21, v11, 6, v0
	v_mov_b32_e32 v17, 0
	v_mov_b64_e32 v[0:1], 0
	s_mov_b64 s[6:7], 0
	v_mov_b64_e32 v[2:3], 0
	v_mov_b64_e32 v[4:5], 0
	;; [unrolled: 1-line block ×3, first 2 shown]
	s_branch .LBB500_6
.LBB500_5:                              ;   in Loop: Header=BB500_6 Depth=1
	s_or_b64 exec, exec, s[12:13]
	s_waitcnt vmcnt(0) lgkmcnt(0)
	ds_write_b64 v19, v[22:23]
	s_waitcnt lgkmcnt(0)
	s_barrier
	ds_read2_b64 v[22:25], v20 offset1:16
	ds_read_b128 v[26:29], v21
	ds_read_b128 v[30:33], v21 offset:16
	ds_read_b128 v[34:37], v21 offset:32
	;; [unrolled: 1-line block ×4, first 2 shown]
	ds_read2_b64 v[46:49], v20 offset0:32 offset1:48
	s_waitcnt lgkmcnt(5)
	v_fmac_f64_e32 v[6:7], v[22:23], v[26:27]
	v_fmac_f64_e32 v[4:5], v[24:25], v[26:27]
	ds_read_b128 v[50:53], v21 offset:1040
	s_waitcnt lgkmcnt(2)
	v_fmac_f64_e32 v[2:3], v[22:23], v[42:43]
	v_fmac_f64_e32 v[0:1], v[24:25], v[42:43]
	ds_read2_b64 v[22:25], v20 offset0:64 offset1:80
	s_waitcnt lgkmcnt(2)
	v_fmac_f64_e32 v[6:7], v[46:47], v[28:29]
	v_fmac_f64_e32 v[4:5], v[48:49], v[28:29]
	ds_read2_b64 v[26:29], v20 offset0:96 offset1:112
	v_fmac_f64_e32 v[2:3], v[46:47], v[44:45]
	v_fmac_f64_e32 v[0:1], v[48:49], v[44:45]
	s_waitcnt lgkmcnt(1)
	v_fmac_f64_e32 v[6:7], v[22:23], v[30:31]
	v_fmac_f64_e32 v[4:5], v[24:25], v[30:31]
	ds_read_b128 v[42:45], v21 offset:1072
	v_fmac_f64_e32 v[2:3], v[22:23], v[50:51]
	v_fmac_f64_e32 v[0:1], v[24:25], v[50:51]
	s_waitcnt lgkmcnt(1)
	v_fmac_f64_e32 v[6:7], v[26:27], v[32:33]
	ds_read2_b64 v[22:25], v20 offset0:128 offset1:144
	v_fmac_f64_e32 v[4:5], v[28:29], v[32:33]
	v_fmac_f64_e32 v[2:3], v[26:27], v[52:53]
	;; [unrolled: 1-line block ×3, first 2 shown]
	ds_read_b128 v[26:29], v21 offset:1056
	ds_read2_b64 v[30:33], v20 offset0:160 offset1:176
	s_waitcnt lgkmcnt(2)
	v_fmac_f64_e32 v[6:7], v[22:23], v[34:35]
	v_fmac_f64_e32 v[4:5], v[24:25], v[34:35]
	s_add_u32 s6, s6, 8
	s_waitcnt lgkmcnt(1)
	v_fmac_f64_e32 v[2:3], v[22:23], v[26:27]
	v_fmac_f64_e32 v[0:1], v[24:25], v[26:27]
	ds_read2_b64 v[22:25], v20 offset0:192 offset1:208
	s_waitcnt lgkmcnt(1)
	v_fmac_f64_e32 v[2:3], v[30:31], v[28:29]
	v_fmac_f64_e32 v[0:1], v[32:33], v[28:29]
	ds_read2_b64 v[26:29], v20 offset0:224 offset1:240
	v_fmac_f64_e32 v[6:7], v[30:31], v[36:37]
	s_addc_u32 s7, s7, 0
	v_fmac_f64_e32 v[4:5], v[32:33], v[36:37]
	s_waitcnt lgkmcnt(1)
	v_fmac_f64_e32 v[6:7], v[22:23], v[38:39]
	v_fmac_f64_e32 v[2:3], v[22:23], v[42:43]
	v_mov_b64_e32 v[22:23], s[6:7]
	v_fmac_f64_e32 v[4:5], v[24:25], v[38:39]
	v_fmac_f64_e32 v[0:1], v[24:25], v[42:43]
	v_cmp_gt_i64_e32 vcc, s[8:9], v[22:23]
	s_waitcnt lgkmcnt(0)
	v_fmac_f64_e32 v[6:7], v[26:27], v[40:41]
	v_fmac_f64_e32 v[4:5], v[28:29], v[40:41]
	;; [unrolled: 1-line block ×4, first 2 shown]
	s_barrier
	s_cbranch_vccz .LBB500_12
.LBB500_6:                              ; =>This Inner Loop Header: Depth=1
	v_mov_b64_e32 v[22:23], 0
	s_and_saveexec_b64 s[12:13], s[0:1]
	s_cbranch_execz .LBB500_10
; %bb.7:                                ;   in Loop: Header=BB500_6 Depth=1
	v_add_u32_e32 v16, s6, v10
	v_cmp_gt_u64_e32 vcc, s[8:9], v[16:17]
	v_mov_b64_e32 v[22:23], 0
	s_and_saveexec_b64 s[14:15], vcc
	s_cbranch_execz .LBB500_9
; %bb.8:                                ;   in Loop: Header=BB500_6 Depth=1
	v_lshl_add_u64 v[22:23], v[16:17], 3, v[12:13]
	flat_load_dwordx2 v[22:23], v[22:23]
.LBB500_9:                              ;   in Loop: Header=BB500_6 Depth=1
	s_or_b64 exec, exec, s[14:15]
.LBB500_10:                             ;   in Loop: Header=BB500_6 Depth=1
	s_or_b64 exec, exec, s[12:13]
	v_add_u32_e32 v16, s6, v8
	v_cmp_gt_u64_e32 vcc, s[8:9], v[16:17]
	s_waitcnt vmcnt(0) lgkmcnt(0)
	ds_write_b64 v18, v[22:23]
	s_and_b64 s[14:15], vcc, s[2:3]
	v_mov_b64_e32 v[22:23], 0
	s_and_saveexec_b64 s[12:13], s[14:15]
	s_cbranch_execz .LBB500_5
; %bb.11:                               ;   in Loop: Header=BB500_6 Depth=1
	v_mad_u64_u32 v[22:23], s[14:15], s20, v16, 0
	v_mov_b32_e32 v24, v23
	v_mad_u64_u32 v[24:25], s[14:15], s21, v16, v[24:25]
	v_mov_b32_e32 v23, v24
	v_lshl_add_u64 v[22:23], v[22:23], 3, v[14:15]
	flat_load_dwordx2 v[22:23], v[22:23]
	s_branch .LBB500_5
.LBB500_12:
	s_lshl_b64 s[0:1], s[30:31], 3
	s_waitcnt lgkmcnt(0)
	s_add_u32 s6, s4, s0
	v_add_u32_e32 v14, s27, v11
	s_addc_u32 s7, s5, s1
	v_add_u32_e32 v8, s26, v9
	v_ashrrev_i32_e32 v9, 31, v14
	v_mad_u64_u32 v[10:11], s[0:1], s28, v14, 0
	v_mul_lo_u32 v9, s28, v9
	v_mul_lo_u32 v12, s29, v14
	v_cmp_neq_f64_e64 s[0:1], s[24:25], 0
	v_add3_u32 v11, v11, v9, v12
	v_cmp_le_i32_e32 vcc, v14, v8
	v_cmp_gt_i32_e64 s[2:3], s33, v8
	v_cndmask_b32_e64 v12, 0, 1, s[0:1]
	v_lshl_add_u64 v[10:11], v[10:11], 3, s[6:7]
	s_and_b64 s[8:9], vcc, s[2:3]
	v_ashrrev_i32_e32 v9, 31, v8
	v_cmp_ne_u32_e64 s[0:1], 1, v12
	s_and_saveexec_b64 s[4:5], s[8:9]
	s_cbranch_execz .LBB500_16
; %bb.13:
	v_mul_f64 v[6:7], s[10:11], v[6:7]
	s_and_b64 vcc, exec, s[0:1]
	v_lshl_add_u64 v[12:13], v[8:9], 3, v[10:11]
	s_cbranch_vccnz .LBB500_15
; %bb.14:
	flat_load_dwordx2 v[16:17], v[12:13]
	s_waitcnt vmcnt(0) lgkmcnt(0)
	v_fmac_f64_e32 v[6:7], s[24:25], v[16:17]
.LBB500_15:
	flat_store_dwordx2 v[12:13], v[6:7]
.LBB500_16:
	s_or_b64 exec, exec, s[4:5]
	v_add_u32_e32 v6, 16, v8
	v_cmp_le_i32_e32 vcc, v14, v6
	v_cmp_gt_i32_e64 s[4:5], s33, v6
	s_and_b64 s[12:13], vcc, s[4:5]
	v_ashrrev_i32_e32 v7, 31, v6
	s_and_saveexec_b64 s[8:9], s[12:13]
	s_cbranch_execz .LBB500_20
; %bb.17:
	v_mul_f64 v[4:5], s[10:11], v[4:5]
	s_and_b64 vcc, exec, s[0:1]
	v_lshl_add_u64 v[10:11], v[6:7], 3, v[10:11]
	s_cbranch_vccnz .LBB500_19
; %bb.18:
	flat_load_dwordx2 v[12:13], v[10:11]
	s_waitcnt vmcnt(0) lgkmcnt(0)
	v_fmac_f64_e32 v[4:5], s[24:25], v[12:13]
.LBB500_19:
	flat_store_dwordx2 v[10:11], v[4:5]
.LBB500_20:
	s_or_b64 exec, exec, s[8:9]
	v_add_u32_e32 v10, 16, v14
	v_ashrrev_i32_e32 v4, 31, v10
	v_mul_lo_u32 v11, s28, v4
	v_mul_lo_u32 v12, s29, v10
	v_mad_u64_u32 v[4:5], s[8:9], s28, v10, 0
	v_add3_u32 v5, v5, v11, v12
	v_cmp_le_i32_e32 vcc, v10, v8
	v_lshl_add_u64 v[4:5], v[4:5], 3, s[6:7]
	s_and_b64 s[6:7], vcc, s[2:3]
	s_and_saveexec_b64 s[2:3], s[6:7]
	s_cbranch_execz .LBB500_24
; %bb.21:
	v_mul_f64 v[2:3], s[10:11], v[2:3]
	s_and_b64 vcc, exec, s[0:1]
	v_lshl_add_u64 v[8:9], v[8:9], 3, v[4:5]
	s_cbranch_vccnz .LBB500_23
; %bb.22:
	flat_load_dwordx2 v[12:13], v[8:9]
	s_waitcnt vmcnt(0) lgkmcnt(0)
	v_fmac_f64_e32 v[2:3], s[24:25], v[12:13]
.LBB500_23:
	flat_store_dwordx2 v[8:9], v[2:3]
.LBB500_24:
	s_or_b64 exec, exec, s[2:3]
	v_cmp_le_i32_e32 vcc, v10, v6
	s_and_b64 s[2:3], vcc, s[4:5]
	s_and_saveexec_b64 s[4:5], s[2:3]
	s_cbranch_execz .LBB500_28
; %bb.25:
	v_mul_f64 v[0:1], s[10:11], v[0:1]
	s_and_b64 vcc, exec, s[0:1]
	v_lshl_add_u64 v[2:3], v[6:7], 3, v[4:5]
	s_cbranch_vccnz .LBB500_27
; %bb.26:
	flat_load_dwordx2 v[4:5], v[2:3]
	s_waitcnt vmcnt(0) lgkmcnt(0)
	v_fmac_f64_e32 v[0:1], s[24:25], v[4:5]
.LBB500_27:
	flat_store_dwordx2 v[2:3], v[0:1]
.LBB500_28:
	s_endpgm
	.section	.rodata,"a",@progbits
	.p2align	6, 0x0
	.amdhsa_kernel _ZL29rocblas_internal_gemmt_kernelIlLi16ELi32ELi8ELc84ELc67ELc76ELb0ELb0EddPKPKdPKPdEviT_T9_T10_S7_lS9_S7_lS8_T11_S7_li
		.amdhsa_group_segment_fixed_size 4096
		.amdhsa_private_segment_fixed_size 0
		.amdhsa_kernarg_size 108
		.amdhsa_user_sgpr_count 2
		.amdhsa_user_sgpr_dispatch_ptr 0
		.amdhsa_user_sgpr_queue_ptr 0
		.amdhsa_user_sgpr_kernarg_segment_ptr 1
		.amdhsa_user_sgpr_dispatch_id 0
		.amdhsa_user_sgpr_kernarg_preload_length 0
		.amdhsa_user_sgpr_kernarg_preload_offset 0
		.amdhsa_user_sgpr_private_segment_size 0
		.amdhsa_uses_dynamic_stack 0
		.amdhsa_enable_private_segment 0
		.amdhsa_system_sgpr_workgroup_id_x 1
		.amdhsa_system_sgpr_workgroup_id_y 1
		.amdhsa_system_sgpr_workgroup_id_z 1
		.amdhsa_system_sgpr_workgroup_info 0
		.amdhsa_system_vgpr_workitem_id 1
		.amdhsa_next_free_vgpr 54
		.amdhsa_next_free_sgpr 36
		.amdhsa_accum_offset 56
		.amdhsa_reserve_vcc 1
		.amdhsa_float_round_mode_32 0
		.amdhsa_float_round_mode_16_64 0
		.amdhsa_float_denorm_mode_32 3
		.amdhsa_float_denorm_mode_16_64 3
		.amdhsa_dx10_clamp 1
		.amdhsa_ieee_mode 1
		.amdhsa_fp16_overflow 0
		.amdhsa_tg_split 0
		.amdhsa_exception_fp_ieee_invalid_op 0
		.amdhsa_exception_fp_denorm_src 0
		.amdhsa_exception_fp_ieee_div_zero 0
		.amdhsa_exception_fp_ieee_overflow 0
		.amdhsa_exception_fp_ieee_underflow 0
		.amdhsa_exception_fp_ieee_inexact 0
		.amdhsa_exception_int_div_zero 0
	.end_amdhsa_kernel
	.section	.text._ZL29rocblas_internal_gemmt_kernelIlLi16ELi32ELi8ELc84ELc67ELc76ELb0ELb0EddPKPKdPKPdEviT_T9_T10_S7_lS9_S7_lS8_T11_S7_li,"axG",@progbits,_ZL29rocblas_internal_gemmt_kernelIlLi16ELi32ELi8ELc84ELc67ELc76ELb0ELb0EddPKPKdPKPdEviT_T9_T10_S7_lS9_S7_lS8_T11_S7_li,comdat
.Lfunc_end500:
	.size	_ZL29rocblas_internal_gemmt_kernelIlLi16ELi32ELi8ELc84ELc67ELc76ELb0ELb0EddPKPKdPKPdEviT_T9_T10_S7_lS9_S7_lS8_T11_S7_li, .Lfunc_end500-_ZL29rocblas_internal_gemmt_kernelIlLi16ELi32ELi8ELc84ELc67ELc76ELb0ELb0EddPKPKdPKPdEviT_T9_T10_S7_lS9_S7_lS8_T11_S7_li
                                        ; -- End function
	.set _ZL29rocblas_internal_gemmt_kernelIlLi16ELi32ELi8ELc84ELc67ELc76ELb0ELb0EddPKPKdPKPdEviT_T9_T10_S7_lS9_S7_lS8_T11_S7_li.num_vgpr, 54
	.set _ZL29rocblas_internal_gemmt_kernelIlLi16ELi32ELi8ELc84ELc67ELc76ELb0ELb0EddPKPKdPKPdEviT_T9_T10_S7_lS9_S7_lS8_T11_S7_li.num_agpr, 0
	.set _ZL29rocblas_internal_gemmt_kernelIlLi16ELi32ELi8ELc84ELc67ELc76ELb0ELb0EddPKPKdPKPdEviT_T9_T10_S7_lS9_S7_lS8_T11_S7_li.numbered_sgpr, 36
	.set _ZL29rocblas_internal_gemmt_kernelIlLi16ELi32ELi8ELc84ELc67ELc76ELb0ELb0EddPKPKdPKPdEviT_T9_T10_S7_lS9_S7_lS8_T11_S7_li.num_named_barrier, 0
	.set _ZL29rocblas_internal_gemmt_kernelIlLi16ELi32ELi8ELc84ELc67ELc76ELb0ELb0EddPKPKdPKPdEviT_T9_T10_S7_lS9_S7_lS8_T11_S7_li.private_seg_size, 0
	.set _ZL29rocblas_internal_gemmt_kernelIlLi16ELi32ELi8ELc84ELc67ELc76ELb0ELb0EddPKPKdPKPdEviT_T9_T10_S7_lS9_S7_lS8_T11_S7_li.uses_vcc, 1
	.set _ZL29rocblas_internal_gemmt_kernelIlLi16ELi32ELi8ELc84ELc67ELc76ELb0ELb0EddPKPKdPKPdEviT_T9_T10_S7_lS9_S7_lS8_T11_S7_li.uses_flat_scratch, 0
	.set _ZL29rocblas_internal_gemmt_kernelIlLi16ELi32ELi8ELc84ELc67ELc76ELb0ELb0EddPKPKdPKPdEviT_T9_T10_S7_lS9_S7_lS8_T11_S7_li.has_dyn_sized_stack, 0
	.set _ZL29rocblas_internal_gemmt_kernelIlLi16ELi32ELi8ELc84ELc67ELc76ELb0ELb0EddPKPKdPKPdEviT_T9_T10_S7_lS9_S7_lS8_T11_S7_li.has_recursion, 0
	.set _ZL29rocblas_internal_gemmt_kernelIlLi16ELi32ELi8ELc84ELc67ELc76ELb0ELb0EddPKPKdPKPdEviT_T9_T10_S7_lS9_S7_lS8_T11_S7_li.has_indirect_call, 0
	.section	.AMDGPU.csdata,"",@progbits
; Kernel info:
; codeLenInByte = 1328
; TotalNumSgprs: 42
; NumVgprs: 54
; NumAgprs: 0
; TotalNumVgprs: 54
; ScratchSize: 0
; MemoryBound: 0
; FloatMode: 240
; IeeeMode: 1
; LDSByteSize: 4096 bytes/workgroup (compile time only)
; SGPRBlocks: 5
; VGPRBlocks: 6
; NumSGPRsForWavesPerEU: 42
; NumVGPRsForWavesPerEU: 54
; AccumOffset: 56
; Occupancy: 8
; WaveLimiterHint : 1
; COMPUTE_PGM_RSRC2:SCRATCH_EN: 0
; COMPUTE_PGM_RSRC2:USER_SGPR: 2
; COMPUTE_PGM_RSRC2:TRAP_HANDLER: 0
; COMPUTE_PGM_RSRC2:TGID_X_EN: 1
; COMPUTE_PGM_RSRC2:TGID_Y_EN: 1
; COMPUTE_PGM_RSRC2:TGID_Z_EN: 1
; COMPUTE_PGM_RSRC2:TIDIG_COMP_CNT: 1
; COMPUTE_PGM_RSRC3_GFX90A:ACCUM_OFFSET: 13
; COMPUTE_PGM_RSRC3_GFX90A:TG_SPLIT: 0
	.section	.text._ZL29rocblas_internal_gemmt_kernelIlLi16ELi32ELi8ELc67ELc78ELc76ELb0ELb0EddPKPKdPKPdEviT_T9_T10_S7_lS9_S7_lS8_T11_S7_li,"axG",@progbits,_ZL29rocblas_internal_gemmt_kernelIlLi16ELi32ELi8ELc67ELc78ELc76ELb0ELb0EddPKPKdPKPdEviT_T9_T10_S7_lS9_S7_lS8_T11_S7_li,comdat
	.globl	_ZL29rocblas_internal_gemmt_kernelIlLi16ELi32ELi8ELc67ELc78ELc76ELb0ELb0EddPKPKdPKPdEviT_T9_T10_S7_lS9_S7_lS8_T11_S7_li ; -- Begin function _ZL29rocblas_internal_gemmt_kernelIlLi16ELi32ELi8ELc67ELc78ELc76ELb0ELb0EddPKPKdPKPdEviT_T9_T10_S7_lS9_S7_lS8_T11_S7_li
	.p2align	8
	.type	_ZL29rocblas_internal_gemmt_kernelIlLi16ELi32ELi8ELc67ELc78ELc76ELb0ELb0EddPKPKdPKPdEviT_T9_T10_S7_lS9_S7_lS8_T11_S7_li,@function
_ZL29rocblas_internal_gemmt_kernelIlLi16ELi32ELi8ELc67ELc78ELc76ELb0ELb0EddPKPKdPKPdEviT_T9_T10_S7_lS9_S7_lS8_T11_S7_li: ; @_ZL29rocblas_internal_gemmt_kernelIlLi16ELi32ELi8ELc67ELc78ELc76ELb0ELb0EddPKPKdPKPdEviT_T9_T10_S7_lS9_S7_lS8_T11_S7_li
; %bb.0:
	s_load_dwordx8 s[24:31], s[0:1], 0x48
	s_load_dwordx16 s[8:23], s[0:1], 0x8
	s_waitcnt lgkmcnt(0)
	v_cmp_neq_f64_e64 s[6:7], s[24:25], 1.0
	s_and_b64 vcc, exec, s[6:7]
	s_cbranch_vccnz .LBB501_2
; %bb.1:
	s_cmp_lg_u64 s[8:9], 0
	s_cselect_b64 s[6:7], -1, 0
	v_cmp_neq_f64_e64 s[34:35], s[10:11], 0
	s_and_b64 s[6:7], s[6:7], s[34:35]
.LBB501_2:
	s_andn2_b64 vcc, exec, s[6:7]
	s_cbranch_vccnz .LBB501_28
; %bb.3:
	s_mov_b32 s5, 0
	s_load_dword s33, s[0:1], 0x0
	s_lshl_b64 s[0:1], s[4:5], 3
	s_add_u32 s4, s26, s0
	s_addc_u32 s5, s27, s1
	s_load_dwordx2 s[4:5], s[4:5], 0x0
	s_lshl_b32 s26, s2, 5
	s_lshl_b32 s27, s3, 5
	v_cmp_eq_f64_e64 s[2:3], s[10:11], 0
	v_cmp_lt_i64_e64 s[6:7], s[8:9], 1
	s_or_b64 s[2:3], s[2:3], s[6:7]
	v_and_b32_e32 v9, 0x3ff, v0
	v_bfe_u32 v11, v0, 10, 10
	v_mov_b64_e32 v[6:7], 0
	s_and_b64 vcc, exec, s[2:3]
	v_mov_b64_e32 v[4:5], 0
	v_mov_b64_e32 v[2:3], 0
	;; [unrolled: 1-line block ×3, first 2 shown]
	s_cbranch_vccnz .LBB501_12
; %bb.4:
	s_add_u32 s2, s18, s0
	s_addc_u32 s3, s19, s1
	s_load_dwordx2 s[2:3], s[2:3], 0x0
	s_lshl_b64 s[6:7], s[22:23], 3
	v_lshl_add_u32 v0, v11, 4, v9
	v_lshrrev_b32_e32 v10, 5, v0
	v_lshrrev_b32_e32 v2, 3, v0
	s_waitcnt lgkmcnt(0)
	s_add_u32 s6, s2, s6
	s_addc_u32 s7, s3, s7
	s_add_u32 s0, s12, s0
	s_addc_u32 s1, s13, s1
	s_load_dwordx2 s[0:1], s[0:1], 0x0
	v_and_b32_e32 v0, 31, v0
	s_lshl_b64 s[2:3], s[16:17], 3
	v_or_b32_e32 v1, s26, v0
	v_lshlrev_b32_e32 v0, 3, v0
	s_waitcnt lgkmcnt(0)
	s_add_u32 s2, s0, s2
	s_addc_u32 s3, s1, s3
	v_cmp_gt_i32_e64 s[0:1], s33, v1
	v_lshl_or_b32 v18, v10, 8, v0
	s_ashr_i32 s16, s26, 31
	v_mul_lo_u32 v4, s15, v1
	v_mad_u64_u32 v[0:1], s[12:13], s14, v1, 0
	s_mul_i32 s12, s14, s16
	v_and_b32_e32 v8, 7, v9
	v_add3_u32 v1, v1, s12, v4
	v_lshl_add_u64 v[12:13], v[0:1], 3, s[2:3]
	v_lshlrev_b32_e32 v0, 3, v8
	v_add_u32_e32 v3, s27, v2
	v_lshl_or_b32 v0, v2, 6, v0
	v_add_u32_e32 v19, 0x800, v0
	v_ashrrev_i32_e32 v0, 31, v3
	v_mul_lo_u32 v2, s20, v0
	v_mul_lo_u32 v4, s21, v3
	v_mad_u64_u32 v[0:1], s[12:13], s20, v3, 0
	v_add3_u32 v1, v1, v2, v4
	v_lshl_add_u64 v[14:15], v[0:1], 3, s[6:7]
	v_mov_b32_e32 v0, 0x800
	v_cmp_gt_i32_e64 s[2:3], s33, v3
	v_lshlrev_b32_e32 v20, 3, v9
	v_lshl_add_u32 v21, v11, 6, v0
	v_mov_b32_e32 v17, 0
	v_mov_b64_e32 v[0:1], 0
	s_mov_b64 s[6:7], 0
	v_mov_b64_e32 v[2:3], 0
	v_mov_b64_e32 v[4:5], 0
	;; [unrolled: 1-line block ×3, first 2 shown]
	s_branch .LBB501_6
.LBB501_5:                              ;   in Loop: Header=BB501_6 Depth=1
	s_or_b64 exec, exec, s[12:13]
	s_waitcnt vmcnt(0) lgkmcnt(0)
	ds_write_b64 v19, v[22:23]
	s_waitcnt lgkmcnt(0)
	s_barrier
	ds_read2_b64 v[22:25], v20 offset1:16
	ds_read_b128 v[26:29], v21
	ds_read_b128 v[30:33], v21 offset:16
	ds_read_b128 v[34:37], v21 offset:32
	;; [unrolled: 1-line block ×4, first 2 shown]
	ds_read2_b64 v[46:49], v20 offset0:32 offset1:48
	s_waitcnt lgkmcnt(5)
	v_fmac_f64_e32 v[6:7], v[22:23], v[26:27]
	v_fmac_f64_e32 v[4:5], v[24:25], v[26:27]
	ds_read_b128 v[50:53], v21 offset:1040
	s_waitcnt lgkmcnt(2)
	v_fmac_f64_e32 v[2:3], v[22:23], v[42:43]
	v_fmac_f64_e32 v[0:1], v[24:25], v[42:43]
	ds_read2_b64 v[22:25], v20 offset0:64 offset1:80
	s_waitcnt lgkmcnt(2)
	v_fmac_f64_e32 v[6:7], v[46:47], v[28:29]
	v_fmac_f64_e32 v[4:5], v[48:49], v[28:29]
	ds_read2_b64 v[26:29], v20 offset0:96 offset1:112
	v_fmac_f64_e32 v[2:3], v[46:47], v[44:45]
	v_fmac_f64_e32 v[0:1], v[48:49], v[44:45]
	s_waitcnt lgkmcnt(1)
	v_fmac_f64_e32 v[6:7], v[22:23], v[30:31]
	v_fmac_f64_e32 v[4:5], v[24:25], v[30:31]
	ds_read_b128 v[42:45], v21 offset:1072
	v_fmac_f64_e32 v[2:3], v[22:23], v[50:51]
	v_fmac_f64_e32 v[0:1], v[24:25], v[50:51]
	s_waitcnt lgkmcnt(1)
	v_fmac_f64_e32 v[6:7], v[26:27], v[32:33]
	ds_read2_b64 v[22:25], v20 offset0:128 offset1:144
	v_fmac_f64_e32 v[4:5], v[28:29], v[32:33]
	v_fmac_f64_e32 v[2:3], v[26:27], v[52:53]
	;; [unrolled: 1-line block ×3, first 2 shown]
	ds_read_b128 v[26:29], v21 offset:1056
	ds_read2_b64 v[30:33], v20 offset0:160 offset1:176
	s_waitcnt lgkmcnt(2)
	v_fmac_f64_e32 v[6:7], v[22:23], v[34:35]
	v_fmac_f64_e32 v[4:5], v[24:25], v[34:35]
	s_add_u32 s6, s6, 8
	s_waitcnt lgkmcnt(1)
	v_fmac_f64_e32 v[2:3], v[22:23], v[26:27]
	v_fmac_f64_e32 v[0:1], v[24:25], v[26:27]
	ds_read2_b64 v[22:25], v20 offset0:192 offset1:208
	s_waitcnt lgkmcnt(1)
	v_fmac_f64_e32 v[2:3], v[30:31], v[28:29]
	v_fmac_f64_e32 v[0:1], v[32:33], v[28:29]
	ds_read2_b64 v[26:29], v20 offset0:224 offset1:240
	v_fmac_f64_e32 v[6:7], v[30:31], v[36:37]
	s_addc_u32 s7, s7, 0
	v_fmac_f64_e32 v[4:5], v[32:33], v[36:37]
	s_waitcnt lgkmcnt(1)
	v_fmac_f64_e32 v[6:7], v[22:23], v[38:39]
	v_fmac_f64_e32 v[2:3], v[22:23], v[42:43]
	v_mov_b64_e32 v[22:23], s[6:7]
	v_fmac_f64_e32 v[4:5], v[24:25], v[38:39]
	v_fmac_f64_e32 v[0:1], v[24:25], v[42:43]
	v_cmp_gt_i64_e32 vcc, s[8:9], v[22:23]
	s_waitcnt lgkmcnt(0)
	v_fmac_f64_e32 v[6:7], v[26:27], v[40:41]
	v_fmac_f64_e32 v[4:5], v[28:29], v[40:41]
	;; [unrolled: 1-line block ×4, first 2 shown]
	s_barrier
	s_cbranch_vccz .LBB501_12
.LBB501_6:                              ; =>This Inner Loop Header: Depth=1
	v_mov_b64_e32 v[22:23], 0
	s_and_saveexec_b64 s[12:13], s[0:1]
	s_cbranch_execz .LBB501_10
; %bb.7:                                ;   in Loop: Header=BB501_6 Depth=1
	v_add_u32_e32 v16, s6, v10
	v_cmp_gt_u64_e32 vcc, s[8:9], v[16:17]
	v_mov_b64_e32 v[22:23], 0
	s_and_saveexec_b64 s[14:15], vcc
	s_cbranch_execz .LBB501_9
; %bb.8:                                ;   in Loop: Header=BB501_6 Depth=1
	v_lshl_add_u64 v[22:23], v[16:17], 3, v[12:13]
	flat_load_dwordx2 v[22:23], v[22:23]
.LBB501_9:                              ;   in Loop: Header=BB501_6 Depth=1
	s_or_b64 exec, exec, s[14:15]
.LBB501_10:                             ;   in Loop: Header=BB501_6 Depth=1
	s_or_b64 exec, exec, s[12:13]
	v_add_u32_e32 v16, s6, v8
	v_cmp_gt_u64_e32 vcc, s[8:9], v[16:17]
	s_waitcnt vmcnt(0) lgkmcnt(0)
	ds_write_b64 v18, v[22:23]
	s_and_b64 s[14:15], vcc, s[2:3]
	v_mov_b64_e32 v[22:23], 0
	s_and_saveexec_b64 s[12:13], s[14:15]
	s_cbranch_execz .LBB501_5
; %bb.11:                               ;   in Loop: Header=BB501_6 Depth=1
	v_lshl_add_u64 v[22:23], v[16:17], 3, v[14:15]
	flat_load_dwordx2 v[22:23], v[22:23]
	s_branch .LBB501_5
.LBB501_12:
	s_lshl_b64 s[0:1], s[30:31], 3
	s_waitcnt lgkmcnt(0)
	s_add_u32 s6, s4, s0
	v_add_u32_e32 v14, s27, v11
	s_addc_u32 s7, s5, s1
	v_add_u32_e32 v8, s26, v9
	v_ashrrev_i32_e32 v9, 31, v14
	v_mad_u64_u32 v[10:11], s[0:1], s28, v14, 0
	v_mul_lo_u32 v9, s28, v9
	v_mul_lo_u32 v12, s29, v14
	v_cmp_neq_f64_e64 s[0:1], s[24:25], 0
	v_add3_u32 v11, v11, v9, v12
	v_cmp_le_i32_e32 vcc, v14, v8
	v_cmp_gt_i32_e64 s[2:3], s33, v8
	v_cndmask_b32_e64 v12, 0, 1, s[0:1]
	v_lshl_add_u64 v[10:11], v[10:11], 3, s[6:7]
	s_and_b64 s[8:9], vcc, s[2:3]
	v_ashrrev_i32_e32 v9, 31, v8
	v_cmp_ne_u32_e64 s[0:1], 1, v12
	s_and_saveexec_b64 s[4:5], s[8:9]
	s_cbranch_execz .LBB501_16
; %bb.13:
	v_mul_f64 v[6:7], s[10:11], v[6:7]
	s_and_b64 vcc, exec, s[0:1]
	v_lshl_add_u64 v[12:13], v[8:9], 3, v[10:11]
	s_cbranch_vccnz .LBB501_15
; %bb.14:
	flat_load_dwordx2 v[16:17], v[12:13]
	s_waitcnt vmcnt(0) lgkmcnt(0)
	v_fmac_f64_e32 v[6:7], s[24:25], v[16:17]
.LBB501_15:
	flat_store_dwordx2 v[12:13], v[6:7]
.LBB501_16:
	s_or_b64 exec, exec, s[4:5]
	v_add_u32_e32 v6, 16, v8
	v_cmp_le_i32_e32 vcc, v14, v6
	v_cmp_gt_i32_e64 s[4:5], s33, v6
	s_and_b64 s[12:13], vcc, s[4:5]
	v_ashrrev_i32_e32 v7, 31, v6
	s_and_saveexec_b64 s[8:9], s[12:13]
	s_cbranch_execz .LBB501_20
; %bb.17:
	v_mul_f64 v[4:5], s[10:11], v[4:5]
	s_and_b64 vcc, exec, s[0:1]
	v_lshl_add_u64 v[10:11], v[6:7], 3, v[10:11]
	s_cbranch_vccnz .LBB501_19
; %bb.18:
	flat_load_dwordx2 v[12:13], v[10:11]
	s_waitcnt vmcnt(0) lgkmcnt(0)
	v_fmac_f64_e32 v[4:5], s[24:25], v[12:13]
.LBB501_19:
	flat_store_dwordx2 v[10:11], v[4:5]
.LBB501_20:
	s_or_b64 exec, exec, s[8:9]
	v_add_u32_e32 v10, 16, v14
	v_ashrrev_i32_e32 v4, 31, v10
	v_mul_lo_u32 v11, s28, v4
	v_mul_lo_u32 v12, s29, v10
	v_mad_u64_u32 v[4:5], s[8:9], s28, v10, 0
	v_add3_u32 v5, v5, v11, v12
	v_cmp_le_i32_e32 vcc, v10, v8
	v_lshl_add_u64 v[4:5], v[4:5], 3, s[6:7]
	s_and_b64 s[6:7], vcc, s[2:3]
	s_and_saveexec_b64 s[2:3], s[6:7]
	s_cbranch_execz .LBB501_24
; %bb.21:
	v_mul_f64 v[2:3], s[10:11], v[2:3]
	s_and_b64 vcc, exec, s[0:1]
	v_lshl_add_u64 v[8:9], v[8:9], 3, v[4:5]
	s_cbranch_vccnz .LBB501_23
; %bb.22:
	flat_load_dwordx2 v[12:13], v[8:9]
	s_waitcnt vmcnt(0) lgkmcnt(0)
	v_fmac_f64_e32 v[2:3], s[24:25], v[12:13]
.LBB501_23:
	flat_store_dwordx2 v[8:9], v[2:3]
.LBB501_24:
	s_or_b64 exec, exec, s[2:3]
	v_cmp_le_i32_e32 vcc, v10, v6
	s_and_b64 s[2:3], vcc, s[4:5]
	s_and_saveexec_b64 s[4:5], s[2:3]
	s_cbranch_execz .LBB501_28
; %bb.25:
	v_mul_f64 v[0:1], s[10:11], v[0:1]
	s_and_b64 vcc, exec, s[0:1]
	v_lshl_add_u64 v[2:3], v[6:7], 3, v[4:5]
	s_cbranch_vccnz .LBB501_27
; %bb.26:
	flat_load_dwordx2 v[4:5], v[2:3]
	s_waitcnt vmcnt(0) lgkmcnt(0)
	v_fmac_f64_e32 v[0:1], s[24:25], v[4:5]
.LBB501_27:
	flat_store_dwordx2 v[2:3], v[0:1]
.LBB501_28:
	s_endpgm
	.section	.rodata,"a",@progbits
	.p2align	6, 0x0
	.amdhsa_kernel _ZL29rocblas_internal_gemmt_kernelIlLi16ELi32ELi8ELc67ELc78ELc76ELb0ELb0EddPKPKdPKPdEviT_T9_T10_S7_lS9_S7_lS8_T11_S7_li
		.amdhsa_group_segment_fixed_size 4096
		.amdhsa_private_segment_fixed_size 0
		.amdhsa_kernarg_size 108
		.amdhsa_user_sgpr_count 2
		.amdhsa_user_sgpr_dispatch_ptr 0
		.amdhsa_user_sgpr_queue_ptr 0
		.amdhsa_user_sgpr_kernarg_segment_ptr 1
		.amdhsa_user_sgpr_dispatch_id 0
		.amdhsa_user_sgpr_kernarg_preload_length 0
		.amdhsa_user_sgpr_kernarg_preload_offset 0
		.amdhsa_user_sgpr_private_segment_size 0
		.amdhsa_uses_dynamic_stack 0
		.amdhsa_enable_private_segment 0
		.amdhsa_system_sgpr_workgroup_id_x 1
		.amdhsa_system_sgpr_workgroup_id_y 1
		.amdhsa_system_sgpr_workgroup_id_z 1
		.amdhsa_system_sgpr_workgroup_info 0
		.amdhsa_system_vgpr_workitem_id 1
		.amdhsa_next_free_vgpr 54
		.amdhsa_next_free_sgpr 36
		.amdhsa_accum_offset 56
		.amdhsa_reserve_vcc 1
		.amdhsa_float_round_mode_32 0
		.amdhsa_float_round_mode_16_64 0
		.amdhsa_float_denorm_mode_32 3
		.amdhsa_float_denorm_mode_16_64 3
		.amdhsa_dx10_clamp 1
		.amdhsa_ieee_mode 1
		.amdhsa_fp16_overflow 0
		.amdhsa_tg_split 0
		.amdhsa_exception_fp_ieee_invalid_op 0
		.amdhsa_exception_fp_denorm_src 0
		.amdhsa_exception_fp_ieee_div_zero 0
		.amdhsa_exception_fp_ieee_overflow 0
		.amdhsa_exception_fp_ieee_underflow 0
		.amdhsa_exception_fp_ieee_inexact 0
		.amdhsa_exception_int_div_zero 0
	.end_amdhsa_kernel
	.section	.text._ZL29rocblas_internal_gemmt_kernelIlLi16ELi32ELi8ELc67ELc78ELc76ELb0ELb0EddPKPKdPKPdEviT_T9_T10_S7_lS9_S7_lS8_T11_S7_li,"axG",@progbits,_ZL29rocblas_internal_gemmt_kernelIlLi16ELi32ELi8ELc67ELc78ELc76ELb0ELb0EddPKPKdPKPdEviT_T9_T10_S7_lS9_S7_lS8_T11_S7_li,comdat
.Lfunc_end501:
	.size	_ZL29rocblas_internal_gemmt_kernelIlLi16ELi32ELi8ELc67ELc78ELc76ELb0ELb0EddPKPKdPKPdEviT_T9_T10_S7_lS9_S7_lS8_T11_S7_li, .Lfunc_end501-_ZL29rocblas_internal_gemmt_kernelIlLi16ELi32ELi8ELc67ELc78ELc76ELb0ELb0EddPKPKdPKPdEviT_T9_T10_S7_lS9_S7_lS8_T11_S7_li
                                        ; -- End function
	.set _ZL29rocblas_internal_gemmt_kernelIlLi16ELi32ELi8ELc67ELc78ELc76ELb0ELb0EddPKPKdPKPdEviT_T9_T10_S7_lS9_S7_lS8_T11_S7_li.num_vgpr, 54
	.set _ZL29rocblas_internal_gemmt_kernelIlLi16ELi32ELi8ELc67ELc78ELc76ELb0ELb0EddPKPKdPKPdEviT_T9_T10_S7_lS9_S7_lS8_T11_S7_li.num_agpr, 0
	.set _ZL29rocblas_internal_gemmt_kernelIlLi16ELi32ELi8ELc67ELc78ELc76ELb0ELb0EddPKPKdPKPdEviT_T9_T10_S7_lS9_S7_lS8_T11_S7_li.numbered_sgpr, 36
	.set _ZL29rocblas_internal_gemmt_kernelIlLi16ELi32ELi8ELc67ELc78ELc76ELb0ELb0EddPKPKdPKPdEviT_T9_T10_S7_lS9_S7_lS8_T11_S7_li.num_named_barrier, 0
	.set _ZL29rocblas_internal_gemmt_kernelIlLi16ELi32ELi8ELc67ELc78ELc76ELb0ELb0EddPKPKdPKPdEviT_T9_T10_S7_lS9_S7_lS8_T11_S7_li.private_seg_size, 0
	.set _ZL29rocblas_internal_gemmt_kernelIlLi16ELi32ELi8ELc67ELc78ELc76ELb0ELb0EddPKPKdPKPdEviT_T9_T10_S7_lS9_S7_lS8_T11_S7_li.uses_vcc, 1
	.set _ZL29rocblas_internal_gemmt_kernelIlLi16ELi32ELi8ELc67ELc78ELc76ELb0ELb0EddPKPKdPKPdEviT_T9_T10_S7_lS9_S7_lS8_T11_S7_li.uses_flat_scratch, 0
	.set _ZL29rocblas_internal_gemmt_kernelIlLi16ELi32ELi8ELc67ELc78ELc76ELb0ELb0EddPKPKdPKPdEviT_T9_T10_S7_lS9_S7_lS8_T11_S7_li.has_dyn_sized_stack, 0
	.set _ZL29rocblas_internal_gemmt_kernelIlLi16ELi32ELi8ELc67ELc78ELc76ELb0ELb0EddPKPKdPKPdEviT_T9_T10_S7_lS9_S7_lS8_T11_S7_li.has_recursion, 0
	.set _ZL29rocblas_internal_gemmt_kernelIlLi16ELi32ELi8ELc67ELc78ELc76ELb0ELb0EddPKPKdPKPdEviT_T9_T10_S7_lS9_S7_lS8_T11_S7_li.has_indirect_call, 0
	.section	.AMDGPU.csdata,"",@progbits
; Kernel info:
; codeLenInByte = 1336
; TotalNumSgprs: 42
; NumVgprs: 54
; NumAgprs: 0
; TotalNumVgprs: 54
; ScratchSize: 0
; MemoryBound: 0
; FloatMode: 240
; IeeeMode: 1
; LDSByteSize: 4096 bytes/workgroup (compile time only)
; SGPRBlocks: 5
; VGPRBlocks: 6
; NumSGPRsForWavesPerEU: 42
; NumVGPRsForWavesPerEU: 54
; AccumOffset: 56
; Occupancy: 8
; WaveLimiterHint : 1
; COMPUTE_PGM_RSRC2:SCRATCH_EN: 0
; COMPUTE_PGM_RSRC2:USER_SGPR: 2
; COMPUTE_PGM_RSRC2:TRAP_HANDLER: 0
; COMPUTE_PGM_RSRC2:TGID_X_EN: 1
; COMPUTE_PGM_RSRC2:TGID_Y_EN: 1
; COMPUTE_PGM_RSRC2:TGID_Z_EN: 1
; COMPUTE_PGM_RSRC2:TIDIG_COMP_CNT: 1
; COMPUTE_PGM_RSRC3_GFX90A:ACCUM_OFFSET: 13
; COMPUTE_PGM_RSRC3_GFX90A:TG_SPLIT: 0
	.section	.text._ZL29rocblas_internal_gemmt_kernelIlLi16ELi32ELi8ELc67ELc84ELc76ELb0ELb0EddPKPKdPKPdEviT_T9_T10_S7_lS9_S7_lS8_T11_S7_li,"axG",@progbits,_ZL29rocblas_internal_gemmt_kernelIlLi16ELi32ELi8ELc67ELc84ELc76ELb0ELb0EddPKPKdPKPdEviT_T9_T10_S7_lS9_S7_lS8_T11_S7_li,comdat
	.globl	_ZL29rocblas_internal_gemmt_kernelIlLi16ELi32ELi8ELc67ELc84ELc76ELb0ELb0EddPKPKdPKPdEviT_T9_T10_S7_lS9_S7_lS8_T11_S7_li ; -- Begin function _ZL29rocblas_internal_gemmt_kernelIlLi16ELi32ELi8ELc67ELc84ELc76ELb0ELb0EddPKPKdPKPdEviT_T9_T10_S7_lS9_S7_lS8_T11_S7_li
	.p2align	8
	.type	_ZL29rocblas_internal_gemmt_kernelIlLi16ELi32ELi8ELc67ELc84ELc76ELb0ELb0EddPKPKdPKPdEviT_T9_T10_S7_lS9_S7_lS8_T11_S7_li,@function
_ZL29rocblas_internal_gemmt_kernelIlLi16ELi32ELi8ELc67ELc84ELc76ELb0ELb0EddPKPKdPKPdEviT_T9_T10_S7_lS9_S7_lS8_T11_S7_li: ; @_ZL29rocblas_internal_gemmt_kernelIlLi16ELi32ELi8ELc67ELc84ELc76ELb0ELb0EddPKPKdPKPdEviT_T9_T10_S7_lS9_S7_lS8_T11_S7_li
; %bb.0:
	s_load_dwordx8 s[24:31], s[0:1], 0x48
	s_load_dwordx16 s[8:23], s[0:1], 0x8
	s_waitcnt lgkmcnt(0)
	v_cmp_neq_f64_e64 s[6:7], s[24:25], 1.0
	s_and_b64 vcc, exec, s[6:7]
	s_cbranch_vccnz .LBB502_2
; %bb.1:
	s_cmp_lg_u64 s[8:9], 0
	s_cselect_b64 s[6:7], -1, 0
	v_cmp_neq_f64_e64 s[34:35], s[10:11], 0
	s_and_b64 s[6:7], s[6:7], s[34:35]
.LBB502_2:
	s_andn2_b64 vcc, exec, s[6:7]
	s_cbranch_vccnz .LBB502_28
; %bb.3:
	s_mov_b32 s5, 0
	s_load_dword s33, s[0:1], 0x0
	s_lshl_b64 s[0:1], s[4:5], 3
	s_add_u32 s4, s26, s0
	s_addc_u32 s5, s27, s1
	s_load_dwordx2 s[4:5], s[4:5], 0x0
	s_lshl_b32 s26, s2, 5
	s_lshl_b32 s27, s3, 5
	v_cmp_eq_f64_e64 s[2:3], s[10:11], 0
	v_cmp_lt_i64_e64 s[6:7], s[8:9], 1
	s_or_b64 s[2:3], s[2:3], s[6:7]
	v_and_b32_e32 v9, 0x3ff, v0
	v_bfe_u32 v11, v0, 10, 10
	v_mov_b64_e32 v[6:7], 0
	s_and_b64 vcc, exec, s[2:3]
	v_mov_b64_e32 v[4:5], 0
	v_mov_b64_e32 v[2:3], 0
	;; [unrolled: 1-line block ×3, first 2 shown]
	s_cbranch_vccnz .LBB502_12
; %bb.4:
	s_add_u32 s2, s18, s0
	s_addc_u32 s3, s19, s1
	s_load_dwordx2 s[2:3], s[2:3], 0x0
	s_lshl_b64 s[6:7], s[22:23], 3
	v_lshl_add_u32 v1, v11, 4, v9
	v_lshrrev_b32_e32 v10, 5, v1
	v_lshrrev_b32_e32 v4, 3, v1
	s_waitcnt lgkmcnt(0)
	s_add_u32 s6, s2, s6
	s_addc_u32 s7, s3, s7
	s_add_u32 s0, s12, s0
	s_addc_u32 s1, s13, s1
	s_load_dwordx2 s[0:1], s[0:1], 0x0
	v_and_b32_e32 v1, 31, v1
	s_lshl_b64 s[2:3], s[16:17], 3
	v_or_b32_e32 v2, s26, v1
	v_lshlrev_b32_e32 v1, 3, v1
	s_waitcnt lgkmcnt(0)
	s_add_u32 s2, s0, s2
	s_addc_u32 s3, s1, s3
	v_cmp_gt_i32_e64 s[0:1], s33, v2
	v_lshl_or_b32 v18, v10, 8, v1
	s_ashr_i32 s16, s26, 31
	v_mul_lo_u32 v1, s15, v2
	v_mad_u64_u32 v[2:3], s[12:13], s14, v2, 0
	v_and_b32_e32 v8, 7, v9
	s_mul_i32 s12, s14, s16
	v_add3_u32 v3, v3, s12, v1
	v_lshlrev_b32_e32 v1, 3, v8
	v_add_u32_e32 v0, s27, v4
	v_lshl_or_b32 v1, v4, 6, v1
	v_add_u32_e32 v19, 0x800, v1
	v_ashrrev_i32_e32 v1, 31, v0
	v_lshl_add_u64 v[12:13], v[2:3], 3, s[2:3]
	v_cmp_gt_i32_e64 s[2:3], s33, v0
	v_lshl_add_u64 v[14:15], v[0:1], 3, s[6:7]
	v_mov_b32_e32 v0, 0x800
	v_lshlrev_b32_e32 v20, 3, v9
	v_lshl_add_u32 v21, v11, 6, v0
	v_mov_b32_e32 v17, 0
	v_mov_b64_e32 v[0:1], 0
	s_mov_b64 s[6:7], 0
	v_mov_b64_e32 v[2:3], 0
	v_mov_b64_e32 v[4:5], 0
	;; [unrolled: 1-line block ×3, first 2 shown]
	s_branch .LBB502_6
.LBB502_5:                              ;   in Loop: Header=BB502_6 Depth=1
	s_or_b64 exec, exec, s[12:13]
	s_waitcnt vmcnt(0) lgkmcnt(0)
	ds_write_b64 v19, v[22:23]
	s_waitcnt lgkmcnt(0)
	s_barrier
	ds_read2_b64 v[22:25], v20 offset1:16
	ds_read_b128 v[26:29], v21
	ds_read_b128 v[30:33], v21 offset:16
	ds_read_b128 v[34:37], v21 offset:32
	;; [unrolled: 1-line block ×4, first 2 shown]
	ds_read2_b64 v[46:49], v20 offset0:32 offset1:48
	s_waitcnt lgkmcnt(5)
	v_fmac_f64_e32 v[6:7], v[22:23], v[26:27]
	v_fmac_f64_e32 v[4:5], v[24:25], v[26:27]
	ds_read_b128 v[50:53], v21 offset:1040
	s_waitcnt lgkmcnt(2)
	v_fmac_f64_e32 v[2:3], v[22:23], v[42:43]
	v_fmac_f64_e32 v[0:1], v[24:25], v[42:43]
	ds_read2_b64 v[22:25], v20 offset0:64 offset1:80
	s_waitcnt lgkmcnt(2)
	v_fmac_f64_e32 v[6:7], v[46:47], v[28:29]
	v_fmac_f64_e32 v[4:5], v[48:49], v[28:29]
	ds_read2_b64 v[26:29], v20 offset0:96 offset1:112
	v_fmac_f64_e32 v[2:3], v[46:47], v[44:45]
	v_fmac_f64_e32 v[0:1], v[48:49], v[44:45]
	s_waitcnt lgkmcnt(1)
	v_fmac_f64_e32 v[6:7], v[22:23], v[30:31]
	v_fmac_f64_e32 v[4:5], v[24:25], v[30:31]
	ds_read_b128 v[42:45], v21 offset:1072
	v_fmac_f64_e32 v[2:3], v[22:23], v[50:51]
	v_fmac_f64_e32 v[0:1], v[24:25], v[50:51]
	s_waitcnt lgkmcnt(1)
	v_fmac_f64_e32 v[6:7], v[26:27], v[32:33]
	ds_read2_b64 v[22:25], v20 offset0:128 offset1:144
	v_fmac_f64_e32 v[4:5], v[28:29], v[32:33]
	v_fmac_f64_e32 v[2:3], v[26:27], v[52:53]
	;; [unrolled: 1-line block ×3, first 2 shown]
	ds_read_b128 v[26:29], v21 offset:1056
	ds_read2_b64 v[30:33], v20 offset0:160 offset1:176
	s_waitcnt lgkmcnt(2)
	v_fmac_f64_e32 v[6:7], v[22:23], v[34:35]
	v_fmac_f64_e32 v[4:5], v[24:25], v[34:35]
	s_add_u32 s6, s6, 8
	s_waitcnt lgkmcnt(1)
	v_fmac_f64_e32 v[2:3], v[22:23], v[26:27]
	v_fmac_f64_e32 v[0:1], v[24:25], v[26:27]
	ds_read2_b64 v[22:25], v20 offset0:192 offset1:208
	s_waitcnt lgkmcnt(1)
	v_fmac_f64_e32 v[2:3], v[30:31], v[28:29]
	v_fmac_f64_e32 v[0:1], v[32:33], v[28:29]
	ds_read2_b64 v[26:29], v20 offset0:224 offset1:240
	v_fmac_f64_e32 v[6:7], v[30:31], v[36:37]
	s_addc_u32 s7, s7, 0
	v_fmac_f64_e32 v[4:5], v[32:33], v[36:37]
	s_waitcnt lgkmcnt(1)
	v_fmac_f64_e32 v[6:7], v[22:23], v[38:39]
	v_fmac_f64_e32 v[2:3], v[22:23], v[42:43]
	v_mov_b64_e32 v[22:23], s[6:7]
	v_fmac_f64_e32 v[4:5], v[24:25], v[38:39]
	v_fmac_f64_e32 v[0:1], v[24:25], v[42:43]
	v_cmp_gt_i64_e32 vcc, s[8:9], v[22:23]
	s_waitcnt lgkmcnt(0)
	v_fmac_f64_e32 v[6:7], v[26:27], v[40:41]
	v_fmac_f64_e32 v[4:5], v[28:29], v[40:41]
	;; [unrolled: 1-line block ×4, first 2 shown]
	s_barrier
	s_cbranch_vccz .LBB502_12
.LBB502_6:                              ; =>This Inner Loop Header: Depth=1
	v_mov_b64_e32 v[22:23], 0
	s_and_saveexec_b64 s[12:13], s[0:1]
	s_cbranch_execz .LBB502_10
; %bb.7:                                ;   in Loop: Header=BB502_6 Depth=1
	v_add_u32_e32 v16, s6, v10
	v_cmp_gt_u64_e32 vcc, s[8:9], v[16:17]
	v_mov_b64_e32 v[22:23], 0
	s_and_saveexec_b64 s[14:15], vcc
	s_cbranch_execz .LBB502_9
; %bb.8:                                ;   in Loop: Header=BB502_6 Depth=1
	v_lshl_add_u64 v[22:23], v[16:17], 3, v[12:13]
	flat_load_dwordx2 v[22:23], v[22:23]
.LBB502_9:                              ;   in Loop: Header=BB502_6 Depth=1
	s_or_b64 exec, exec, s[14:15]
.LBB502_10:                             ;   in Loop: Header=BB502_6 Depth=1
	s_or_b64 exec, exec, s[12:13]
	v_add_u32_e32 v16, s6, v8
	v_cmp_gt_u64_e32 vcc, s[8:9], v[16:17]
	s_waitcnt vmcnt(0) lgkmcnt(0)
	ds_write_b64 v18, v[22:23]
	s_and_b64 s[14:15], vcc, s[2:3]
	v_mov_b64_e32 v[22:23], 0
	s_and_saveexec_b64 s[12:13], s[14:15]
	s_cbranch_execz .LBB502_5
; %bb.11:                               ;   in Loop: Header=BB502_6 Depth=1
	v_mad_u64_u32 v[22:23], s[14:15], s20, v16, 0
	v_mov_b32_e32 v24, v23
	v_mad_u64_u32 v[24:25], s[14:15], s21, v16, v[24:25]
	v_mov_b32_e32 v23, v24
	v_lshl_add_u64 v[22:23], v[22:23], 3, v[14:15]
	flat_load_dwordx2 v[22:23], v[22:23]
	s_branch .LBB502_5
.LBB502_12:
	s_lshl_b64 s[0:1], s[30:31], 3
	s_waitcnt lgkmcnt(0)
	s_add_u32 s6, s4, s0
	v_add_u32_e32 v14, s27, v11
	s_addc_u32 s7, s5, s1
	v_add_u32_e32 v8, s26, v9
	v_ashrrev_i32_e32 v9, 31, v14
	v_mad_u64_u32 v[10:11], s[0:1], s28, v14, 0
	v_mul_lo_u32 v9, s28, v9
	v_mul_lo_u32 v12, s29, v14
	v_cmp_neq_f64_e64 s[0:1], s[24:25], 0
	v_add3_u32 v11, v11, v9, v12
	v_cmp_le_i32_e32 vcc, v14, v8
	v_cmp_gt_i32_e64 s[2:3], s33, v8
	v_cndmask_b32_e64 v12, 0, 1, s[0:1]
	v_lshl_add_u64 v[10:11], v[10:11], 3, s[6:7]
	s_and_b64 s[8:9], vcc, s[2:3]
	v_ashrrev_i32_e32 v9, 31, v8
	v_cmp_ne_u32_e64 s[0:1], 1, v12
	s_and_saveexec_b64 s[4:5], s[8:9]
	s_cbranch_execz .LBB502_16
; %bb.13:
	v_mul_f64 v[6:7], s[10:11], v[6:7]
	s_and_b64 vcc, exec, s[0:1]
	v_lshl_add_u64 v[12:13], v[8:9], 3, v[10:11]
	s_cbranch_vccnz .LBB502_15
; %bb.14:
	flat_load_dwordx2 v[16:17], v[12:13]
	s_waitcnt vmcnt(0) lgkmcnt(0)
	v_fmac_f64_e32 v[6:7], s[24:25], v[16:17]
.LBB502_15:
	flat_store_dwordx2 v[12:13], v[6:7]
.LBB502_16:
	s_or_b64 exec, exec, s[4:5]
	v_add_u32_e32 v6, 16, v8
	v_cmp_le_i32_e32 vcc, v14, v6
	v_cmp_gt_i32_e64 s[4:5], s33, v6
	s_and_b64 s[12:13], vcc, s[4:5]
	v_ashrrev_i32_e32 v7, 31, v6
	s_and_saveexec_b64 s[8:9], s[12:13]
	s_cbranch_execz .LBB502_20
; %bb.17:
	v_mul_f64 v[4:5], s[10:11], v[4:5]
	s_and_b64 vcc, exec, s[0:1]
	v_lshl_add_u64 v[10:11], v[6:7], 3, v[10:11]
	s_cbranch_vccnz .LBB502_19
; %bb.18:
	flat_load_dwordx2 v[12:13], v[10:11]
	s_waitcnt vmcnt(0) lgkmcnt(0)
	v_fmac_f64_e32 v[4:5], s[24:25], v[12:13]
.LBB502_19:
	flat_store_dwordx2 v[10:11], v[4:5]
.LBB502_20:
	s_or_b64 exec, exec, s[8:9]
	v_add_u32_e32 v10, 16, v14
	v_ashrrev_i32_e32 v4, 31, v10
	v_mul_lo_u32 v11, s28, v4
	v_mul_lo_u32 v12, s29, v10
	v_mad_u64_u32 v[4:5], s[8:9], s28, v10, 0
	v_add3_u32 v5, v5, v11, v12
	v_cmp_le_i32_e32 vcc, v10, v8
	v_lshl_add_u64 v[4:5], v[4:5], 3, s[6:7]
	s_and_b64 s[6:7], vcc, s[2:3]
	s_and_saveexec_b64 s[2:3], s[6:7]
	s_cbranch_execz .LBB502_24
; %bb.21:
	v_mul_f64 v[2:3], s[10:11], v[2:3]
	s_and_b64 vcc, exec, s[0:1]
	v_lshl_add_u64 v[8:9], v[8:9], 3, v[4:5]
	s_cbranch_vccnz .LBB502_23
; %bb.22:
	flat_load_dwordx2 v[12:13], v[8:9]
	s_waitcnt vmcnt(0) lgkmcnt(0)
	v_fmac_f64_e32 v[2:3], s[24:25], v[12:13]
.LBB502_23:
	flat_store_dwordx2 v[8:9], v[2:3]
.LBB502_24:
	s_or_b64 exec, exec, s[2:3]
	v_cmp_le_i32_e32 vcc, v10, v6
	s_and_b64 s[2:3], vcc, s[4:5]
	s_and_saveexec_b64 s[4:5], s[2:3]
	s_cbranch_execz .LBB502_28
; %bb.25:
	v_mul_f64 v[0:1], s[10:11], v[0:1]
	s_and_b64 vcc, exec, s[0:1]
	v_lshl_add_u64 v[2:3], v[6:7], 3, v[4:5]
	s_cbranch_vccnz .LBB502_27
; %bb.26:
	flat_load_dwordx2 v[4:5], v[2:3]
	s_waitcnt vmcnt(0) lgkmcnt(0)
	v_fmac_f64_e32 v[0:1], s[24:25], v[4:5]
.LBB502_27:
	flat_store_dwordx2 v[2:3], v[0:1]
.LBB502_28:
	s_endpgm
	.section	.rodata,"a",@progbits
	.p2align	6, 0x0
	.amdhsa_kernel _ZL29rocblas_internal_gemmt_kernelIlLi16ELi32ELi8ELc67ELc84ELc76ELb0ELb0EddPKPKdPKPdEviT_T9_T10_S7_lS9_S7_lS8_T11_S7_li
		.amdhsa_group_segment_fixed_size 4096
		.amdhsa_private_segment_fixed_size 0
		.amdhsa_kernarg_size 108
		.amdhsa_user_sgpr_count 2
		.amdhsa_user_sgpr_dispatch_ptr 0
		.amdhsa_user_sgpr_queue_ptr 0
		.amdhsa_user_sgpr_kernarg_segment_ptr 1
		.amdhsa_user_sgpr_dispatch_id 0
		.amdhsa_user_sgpr_kernarg_preload_length 0
		.amdhsa_user_sgpr_kernarg_preload_offset 0
		.amdhsa_user_sgpr_private_segment_size 0
		.amdhsa_uses_dynamic_stack 0
		.amdhsa_enable_private_segment 0
		.amdhsa_system_sgpr_workgroup_id_x 1
		.amdhsa_system_sgpr_workgroup_id_y 1
		.amdhsa_system_sgpr_workgroup_id_z 1
		.amdhsa_system_sgpr_workgroup_info 0
		.amdhsa_system_vgpr_workitem_id 1
		.amdhsa_next_free_vgpr 54
		.amdhsa_next_free_sgpr 36
		.amdhsa_accum_offset 56
		.amdhsa_reserve_vcc 1
		.amdhsa_float_round_mode_32 0
		.amdhsa_float_round_mode_16_64 0
		.amdhsa_float_denorm_mode_32 3
		.amdhsa_float_denorm_mode_16_64 3
		.amdhsa_dx10_clamp 1
		.amdhsa_ieee_mode 1
		.amdhsa_fp16_overflow 0
		.amdhsa_tg_split 0
		.amdhsa_exception_fp_ieee_invalid_op 0
		.amdhsa_exception_fp_denorm_src 0
		.amdhsa_exception_fp_ieee_div_zero 0
		.amdhsa_exception_fp_ieee_overflow 0
		.amdhsa_exception_fp_ieee_underflow 0
		.amdhsa_exception_fp_ieee_inexact 0
		.amdhsa_exception_int_div_zero 0
	.end_amdhsa_kernel
	.section	.text._ZL29rocblas_internal_gemmt_kernelIlLi16ELi32ELi8ELc67ELc84ELc76ELb0ELb0EddPKPKdPKPdEviT_T9_T10_S7_lS9_S7_lS8_T11_S7_li,"axG",@progbits,_ZL29rocblas_internal_gemmt_kernelIlLi16ELi32ELi8ELc67ELc84ELc76ELb0ELb0EddPKPKdPKPdEviT_T9_T10_S7_lS9_S7_lS8_T11_S7_li,comdat
.Lfunc_end502:
	.size	_ZL29rocblas_internal_gemmt_kernelIlLi16ELi32ELi8ELc67ELc84ELc76ELb0ELb0EddPKPKdPKPdEviT_T9_T10_S7_lS9_S7_lS8_T11_S7_li, .Lfunc_end502-_ZL29rocblas_internal_gemmt_kernelIlLi16ELi32ELi8ELc67ELc84ELc76ELb0ELb0EddPKPKdPKPdEviT_T9_T10_S7_lS9_S7_lS8_T11_S7_li
                                        ; -- End function
	.set _ZL29rocblas_internal_gemmt_kernelIlLi16ELi32ELi8ELc67ELc84ELc76ELb0ELb0EddPKPKdPKPdEviT_T9_T10_S7_lS9_S7_lS8_T11_S7_li.num_vgpr, 54
	.set _ZL29rocblas_internal_gemmt_kernelIlLi16ELi32ELi8ELc67ELc84ELc76ELb0ELb0EddPKPKdPKPdEviT_T9_T10_S7_lS9_S7_lS8_T11_S7_li.num_agpr, 0
	.set _ZL29rocblas_internal_gemmt_kernelIlLi16ELi32ELi8ELc67ELc84ELc76ELb0ELb0EddPKPKdPKPdEviT_T9_T10_S7_lS9_S7_lS8_T11_S7_li.numbered_sgpr, 36
	.set _ZL29rocblas_internal_gemmt_kernelIlLi16ELi32ELi8ELc67ELc84ELc76ELb0ELb0EddPKPKdPKPdEviT_T9_T10_S7_lS9_S7_lS8_T11_S7_li.num_named_barrier, 0
	.set _ZL29rocblas_internal_gemmt_kernelIlLi16ELi32ELi8ELc67ELc84ELc76ELb0ELb0EddPKPKdPKPdEviT_T9_T10_S7_lS9_S7_lS8_T11_S7_li.private_seg_size, 0
	.set _ZL29rocblas_internal_gemmt_kernelIlLi16ELi32ELi8ELc67ELc84ELc76ELb0ELb0EddPKPKdPKPdEviT_T9_T10_S7_lS9_S7_lS8_T11_S7_li.uses_vcc, 1
	.set _ZL29rocblas_internal_gemmt_kernelIlLi16ELi32ELi8ELc67ELc84ELc76ELb0ELb0EddPKPKdPKPdEviT_T9_T10_S7_lS9_S7_lS8_T11_S7_li.uses_flat_scratch, 0
	.set _ZL29rocblas_internal_gemmt_kernelIlLi16ELi32ELi8ELc67ELc84ELc76ELb0ELb0EddPKPKdPKPdEviT_T9_T10_S7_lS9_S7_lS8_T11_S7_li.has_dyn_sized_stack, 0
	.set _ZL29rocblas_internal_gemmt_kernelIlLi16ELi32ELi8ELc67ELc84ELc76ELb0ELb0EddPKPKdPKPdEviT_T9_T10_S7_lS9_S7_lS8_T11_S7_li.has_recursion, 0
	.set _ZL29rocblas_internal_gemmt_kernelIlLi16ELi32ELi8ELc67ELc84ELc76ELb0ELb0EddPKPKdPKPdEviT_T9_T10_S7_lS9_S7_lS8_T11_S7_li.has_indirect_call, 0
	.section	.AMDGPU.csdata,"",@progbits
; Kernel info:
; codeLenInByte = 1328
; TotalNumSgprs: 42
; NumVgprs: 54
; NumAgprs: 0
; TotalNumVgprs: 54
; ScratchSize: 0
; MemoryBound: 0
; FloatMode: 240
; IeeeMode: 1
; LDSByteSize: 4096 bytes/workgroup (compile time only)
; SGPRBlocks: 5
; VGPRBlocks: 6
; NumSGPRsForWavesPerEU: 42
; NumVGPRsForWavesPerEU: 54
; AccumOffset: 56
; Occupancy: 8
; WaveLimiterHint : 1
; COMPUTE_PGM_RSRC2:SCRATCH_EN: 0
; COMPUTE_PGM_RSRC2:USER_SGPR: 2
; COMPUTE_PGM_RSRC2:TRAP_HANDLER: 0
; COMPUTE_PGM_RSRC2:TGID_X_EN: 1
; COMPUTE_PGM_RSRC2:TGID_Y_EN: 1
; COMPUTE_PGM_RSRC2:TGID_Z_EN: 1
; COMPUTE_PGM_RSRC2:TIDIG_COMP_CNT: 1
; COMPUTE_PGM_RSRC3_GFX90A:ACCUM_OFFSET: 13
; COMPUTE_PGM_RSRC3_GFX90A:TG_SPLIT: 0
	.section	.text._ZL29rocblas_internal_gemmt_kernelIlLi16ELi32ELi8ELc67ELc67ELc76ELb0ELb0EddPKPKdPKPdEviT_T9_T10_S7_lS9_S7_lS8_T11_S7_li,"axG",@progbits,_ZL29rocblas_internal_gemmt_kernelIlLi16ELi32ELi8ELc67ELc67ELc76ELb0ELb0EddPKPKdPKPdEviT_T9_T10_S7_lS9_S7_lS8_T11_S7_li,comdat
	.globl	_ZL29rocblas_internal_gemmt_kernelIlLi16ELi32ELi8ELc67ELc67ELc76ELb0ELb0EddPKPKdPKPdEviT_T9_T10_S7_lS9_S7_lS8_T11_S7_li ; -- Begin function _ZL29rocblas_internal_gemmt_kernelIlLi16ELi32ELi8ELc67ELc67ELc76ELb0ELb0EddPKPKdPKPdEviT_T9_T10_S7_lS9_S7_lS8_T11_S7_li
	.p2align	8
	.type	_ZL29rocblas_internal_gemmt_kernelIlLi16ELi32ELi8ELc67ELc67ELc76ELb0ELb0EddPKPKdPKPdEviT_T9_T10_S7_lS9_S7_lS8_T11_S7_li,@function
_ZL29rocblas_internal_gemmt_kernelIlLi16ELi32ELi8ELc67ELc67ELc76ELb0ELb0EddPKPKdPKPdEviT_T9_T10_S7_lS9_S7_lS8_T11_S7_li: ; @_ZL29rocblas_internal_gemmt_kernelIlLi16ELi32ELi8ELc67ELc67ELc76ELb0ELb0EddPKPKdPKPdEviT_T9_T10_S7_lS9_S7_lS8_T11_S7_li
; %bb.0:
	s_load_dwordx8 s[24:31], s[0:1], 0x48
	s_load_dwordx16 s[8:23], s[0:1], 0x8
	s_waitcnt lgkmcnt(0)
	v_cmp_neq_f64_e64 s[6:7], s[24:25], 1.0
	s_and_b64 vcc, exec, s[6:7]
	s_cbranch_vccnz .LBB503_2
; %bb.1:
	s_cmp_lg_u64 s[8:9], 0
	s_cselect_b64 s[6:7], -1, 0
	v_cmp_neq_f64_e64 s[34:35], s[10:11], 0
	s_and_b64 s[6:7], s[6:7], s[34:35]
.LBB503_2:
	s_andn2_b64 vcc, exec, s[6:7]
	s_cbranch_vccnz .LBB503_28
; %bb.3:
	s_mov_b32 s5, 0
	s_load_dword s33, s[0:1], 0x0
	s_lshl_b64 s[0:1], s[4:5], 3
	s_add_u32 s4, s26, s0
	s_addc_u32 s5, s27, s1
	s_load_dwordx2 s[4:5], s[4:5], 0x0
	s_lshl_b32 s26, s2, 5
	s_lshl_b32 s27, s3, 5
	v_cmp_eq_f64_e64 s[2:3], s[10:11], 0
	v_cmp_lt_i64_e64 s[6:7], s[8:9], 1
	s_or_b64 s[2:3], s[2:3], s[6:7]
	v_and_b32_e32 v9, 0x3ff, v0
	v_bfe_u32 v11, v0, 10, 10
	v_mov_b64_e32 v[6:7], 0
	s_and_b64 vcc, exec, s[2:3]
	v_mov_b64_e32 v[4:5], 0
	v_mov_b64_e32 v[2:3], 0
	v_mov_b64_e32 v[0:1], 0
	s_cbranch_vccnz .LBB503_12
; %bb.4:
	s_add_u32 s2, s18, s0
	s_addc_u32 s3, s19, s1
	s_load_dwordx2 s[2:3], s[2:3], 0x0
	s_lshl_b64 s[6:7], s[22:23], 3
	v_lshl_add_u32 v1, v11, 4, v9
	v_lshrrev_b32_e32 v10, 5, v1
	v_lshrrev_b32_e32 v4, 3, v1
	s_waitcnt lgkmcnt(0)
	s_add_u32 s6, s2, s6
	s_addc_u32 s7, s3, s7
	s_add_u32 s0, s12, s0
	s_addc_u32 s1, s13, s1
	s_load_dwordx2 s[0:1], s[0:1], 0x0
	v_and_b32_e32 v1, 31, v1
	s_lshl_b64 s[2:3], s[16:17], 3
	v_or_b32_e32 v2, s26, v1
	v_lshlrev_b32_e32 v1, 3, v1
	s_waitcnt lgkmcnt(0)
	s_add_u32 s2, s0, s2
	s_addc_u32 s3, s1, s3
	v_cmp_gt_i32_e64 s[0:1], s33, v2
	v_lshl_or_b32 v18, v10, 8, v1
	s_ashr_i32 s16, s26, 31
	v_mul_lo_u32 v1, s15, v2
	v_mad_u64_u32 v[2:3], s[12:13], s14, v2, 0
	v_and_b32_e32 v8, 7, v9
	s_mul_i32 s12, s14, s16
	v_add3_u32 v3, v3, s12, v1
	v_lshlrev_b32_e32 v1, 3, v8
	v_add_u32_e32 v0, s27, v4
	v_lshl_or_b32 v1, v4, 6, v1
	v_add_u32_e32 v19, 0x800, v1
	v_ashrrev_i32_e32 v1, 31, v0
	v_lshl_add_u64 v[12:13], v[2:3], 3, s[2:3]
	v_cmp_gt_i32_e64 s[2:3], s33, v0
	v_lshl_add_u64 v[14:15], v[0:1], 3, s[6:7]
	v_mov_b32_e32 v0, 0x800
	v_lshlrev_b32_e32 v20, 3, v9
	v_lshl_add_u32 v21, v11, 6, v0
	v_mov_b32_e32 v17, 0
	v_mov_b64_e32 v[0:1], 0
	s_mov_b64 s[6:7], 0
	v_mov_b64_e32 v[2:3], 0
	v_mov_b64_e32 v[4:5], 0
	;; [unrolled: 1-line block ×3, first 2 shown]
	s_branch .LBB503_6
.LBB503_5:                              ;   in Loop: Header=BB503_6 Depth=1
	s_or_b64 exec, exec, s[12:13]
	s_waitcnt vmcnt(0) lgkmcnt(0)
	ds_write_b64 v19, v[22:23]
	s_waitcnt lgkmcnt(0)
	s_barrier
	ds_read2_b64 v[22:25], v20 offset1:16
	ds_read_b128 v[26:29], v21
	ds_read_b128 v[30:33], v21 offset:16
	ds_read_b128 v[34:37], v21 offset:32
	;; [unrolled: 1-line block ×4, first 2 shown]
	ds_read2_b64 v[46:49], v20 offset0:32 offset1:48
	s_waitcnt lgkmcnt(5)
	v_fmac_f64_e32 v[6:7], v[22:23], v[26:27]
	v_fmac_f64_e32 v[4:5], v[24:25], v[26:27]
	ds_read_b128 v[50:53], v21 offset:1040
	s_waitcnt lgkmcnt(2)
	v_fmac_f64_e32 v[2:3], v[22:23], v[42:43]
	v_fmac_f64_e32 v[0:1], v[24:25], v[42:43]
	ds_read2_b64 v[22:25], v20 offset0:64 offset1:80
	s_waitcnt lgkmcnt(2)
	v_fmac_f64_e32 v[6:7], v[46:47], v[28:29]
	v_fmac_f64_e32 v[4:5], v[48:49], v[28:29]
	ds_read2_b64 v[26:29], v20 offset0:96 offset1:112
	v_fmac_f64_e32 v[2:3], v[46:47], v[44:45]
	v_fmac_f64_e32 v[0:1], v[48:49], v[44:45]
	s_waitcnt lgkmcnt(1)
	v_fmac_f64_e32 v[6:7], v[22:23], v[30:31]
	v_fmac_f64_e32 v[4:5], v[24:25], v[30:31]
	ds_read_b128 v[42:45], v21 offset:1072
	v_fmac_f64_e32 v[2:3], v[22:23], v[50:51]
	v_fmac_f64_e32 v[0:1], v[24:25], v[50:51]
	s_waitcnt lgkmcnt(1)
	v_fmac_f64_e32 v[6:7], v[26:27], v[32:33]
	ds_read2_b64 v[22:25], v20 offset0:128 offset1:144
	v_fmac_f64_e32 v[4:5], v[28:29], v[32:33]
	v_fmac_f64_e32 v[2:3], v[26:27], v[52:53]
	;; [unrolled: 1-line block ×3, first 2 shown]
	ds_read_b128 v[26:29], v21 offset:1056
	ds_read2_b64 v[30:33], v20 offset0:160 offset1:176
	s_waitcnt lgkmcnt(2)
	v_fmac_f64_e32 v[6:7], v[22:23], v[34:35]
	v_fmac_f64_e32 v[4:5], v[24:25], v[34:35]
	s_add_u32 s6, s6, 8
	s_waitcnt lgkmcnt(1)
	v_fmac_f64_e32 v[2:3], v[22:23], v[26:27]
	v_fmac_f64_e32 v[0:1], v[24:25], v[26:27]
	ds_read2_b64 v[22:25], v20 offset0:192 offset1:208
	s_waitcnt lgkmcnt(1)
	v_fmac_f64_e32 v[2:3], v[30:31], v[28:29]
	v_fmac_f64_e32 v[0:1], v[32:33], v[28:29]
	ds_read2_b64 v[26:29], v20 offset0:224 offset1:240
	v_fmac_f64_e32 v[6:7], v[30:31], v[36:37]
	s_addc_u32 s7, s7, 0
	v_fmac_f64_e32 v[4:5], v[32:33], v[36:37]
	s_waitcnt lgkmcnt(1)
	v_fmac_f64_e32 v[6:7], v[22:23], v[38:39]
	v_fmac_f64_e32 v[2:3], v[22:23], v[42:43]
	v_mov_b64_e32 v[22:23], s[6:7]
	v_fmac_f64_e32 v[4:5], v[24:25], v[38:39]
	v_fmac_f64_e32 v[0:1], v[24:25], v[42:43]
	v_cmp_gt_i64_e32 vcc, s[8:9], v[22:23]
	s_waitcnt lgkmcnt(0)
	v_fmac_f64_e32 v[6:7], v[26:27], v[40:41]
	v_fmac_f64_e32 v[4:5], v[28:29], v[40:41]
	;; [unrolled: 1-line block ×4, first 2 shown]
	s_barrier
	s_cbranch_vccz .LBB503_12
.LBB503_6:                              ; =>This Inner Loop Header: Depth=1
	v_mov_b64_e32 v[22:23], 0
	s_and_saveexec_b64 s[12:13], s[0:1]
	s_cbranch_execz .LBB503_10
; %bb.7:                                ;   in Loop: Header=BB503_6 Depth=1
	v_add_u32_e32 v16, s6, v10
	v_cmp_gt_u64_e32 vcc, s[8:9], v[16:17]
	v_mov_b64_e32 v[22:23], 0
	s_and_saveexec_b64 s[14:15], vcc
	s_cbranch_execz .LBB503_9
; %bb.8:                                ;   in Loop: Header=BB503_6 Depth=1
	v_lshl_add_u64 v[22:23], v[16:17], 3, v[12:13]
	flat_load_dwordx2 v[22:23], v[22:23]
.LBB503_9:                              ;   in Loop: Header=BB503_6 Depth=1
	s_or_b64 exec, exec, s[14:15]
.LBB503_10:                             ;   in Loop: Header=BB503_6 Depth=1
	s_or_b64 exec, exec, s[12:13]
	v_add_u32_e32 v16, s6, v8
	v_cmp_gt_u64_e32 vcc, s[8:9], v[16:17]
	s_waitcnt vmcnt(0) lgkmcnt(0)
	ds_write_b64 v18, v[22:23]
	s_and_b64 s[14:15], vcc, s[2:3]
	v_mov_b64_e32 v[22:23], 0
	s_and_saveexec_b64 s[12:13], s[14:15]
	s_cbranch_execz .LBB503_5
; %bb.11:                               ;   in Loop: Header=BB503_6 Depth=1
	v_mad_u64_u32 v[22:23], s[14:15], s20, v16, 0
	v_mov_b32_e32 v24, v23
	v_mad_u64_u32 v[24:25], s[14:15], s21, v16, v[24:25]
	v_mov_b32_e32 v23, v24
	v_lshl_add_u64 v[22:23], v[22:23], 3, v[14:15]
	flat_load_dwordx2 v[22:23], v[22:23]
	s_branch .LBB503_5
.LBB503_12:
	s_lshl_b64 s[0:1], s[30:31], 3
	s_waitcnt lgkmcnt(0)
	s_add_u32 s6, s4, s0
	v_add_u32_e32 v14, s27, v11
	s_addc_u32 s7, s5, s1
	v_add_u32_e32 v8, s26, v9
	v_ashrrev_i32_e32 v9, 31, v14
	v_mad_u64_u32 v[10:11], s[0:1], s28, v14, 0
	v_mul_lo_u32 v9, s28, v9
	v_mul_lo_u32 v12, s29, v14
	v_cmp_neq_f64_e64 s[0:1], s[24:25], 0
	v_add3_u32 v11, v11, v9, v12
	v_cmp_le_i32_e32 vcc, v14, v8
	v_cmp_gt_i32_e64 s[2:3], s33, v8
	v_cndmask_b32_e64 v12, 0, 1, s[0:1]
	v_lshl_add_u64 v[10:11], v[10:11], 3, s[6:7]
	s_and_b64 s[8:9], vcc, s[2:3]
	v_ashrrev_i32_e32 v9, 31, v8
	v_cmp_ne_u32_e64 s[0:1], 1, v12
	s_and_saveexec_b64 s[4:5], s[8:9]
	s_cbranch_execz .LBB503_16
; %bb.13:
	v_mul_f64 v[6:7], s[10:11], v[6:7]
	s_and_b64 vcc, exec, s[0:1]
	v_lshl_add_u64 v[12:13], v[8:9], 3, v[10:11]
	s_cbranch_vccnz .LBB503_15
; %bb.14:
	flat_load_dwordx2 v[16:17], v[12:13]
	s_waitcnt vmcnt(0) lgkmcnt(0)
	v_fmac_f64_e32 v[6:7], s[24:25], v[16:17]
.LBB503_15:
	flat_store_dwordx2 v[12:13], v[6:7]
.LBB503_16:
	s_or_b64 exec, exec, s[4:5]
	v_add_u32_e32 v6, 16, v8
	v_cmp_le_i32_e32 vcc, v14, v6
	v_cmp_gt_i32_e64 s[4:5], s33, v6
	s_and_b64 s[12:13], vcc, s[4:5]
	v_ashrrev_i32_e32 v7, 31, v6
	s_and_saveexec_b64 s[8:9], s[12:13]
	s_cbranch_execz .LBB503_20
; %bb.17:
	v_mul_f64 v[4:5], s[10:11], v[4:5]
	s_and_b64 vcc, exec, s[0:1]
	v_lshl_add_u64 v[10:11], v[6:7], 3, v[10:11]
	s_cbranch_vccnz .LBB503_19
; %bb.18:
	flat_load_dwordx2 v[12:13], v[10:11]
	s_waitcnt vmcnt(0) lgkmcnt(0)
	v_fmac_f64_e32 v[4:5], s[24:25], v[12:13]
.LBB503_19:
	flat_store_dwordx2 v[10:11], v[4:5]
.LBB503_20:
	s_or_b64 exec, exec, s[8:9]
	v_add_u32_e32 v10, 16, v14
	v_ashrrev_i32_e32 v4, 31, v10
	v_mul_lo_u32 v11, s28, v4
	v_mul_lo_u32 v12, s29, v10
	v_mad_u64_u32 v[4:5], s[8:9], s28, v10, 0
	v_add3_u32 v5, v5, v11, v12
	v_cmp_le_i32_e32 vcc, v10, v8
	v_lshl_add_u64 v[4:5], v[4:5], 3, s[6:7]
	s_and_b64 s[6:7], vcc, s[2:3]
	s_and_saveexec_b64 s[2:3], s[6:7]
	s_cbranch_execz .LBB503_24
; %bb.21:
	v_mul_f64 v[2:3], s[10:11], v[2:3]
	s_and_b64 vcc, exec, s[0:1]
	v_lshl_add_u64 v[8:9], v[8:9], 3, v[4:5]
	s_cbranch_vccnz .LBB503_23
; %bb.22:
	flat_load_dwordx2 v[12:13], v[8:9]
	s_waitcnt vmcnt(0) lgkmcnt(0)
	v_fmac_f64_e32 v[2:3], s[24:25], v[12:13]
.LBB503_23:
	flat_store_dwordx2 v[8:9], v[2:3]
.LBB503_24:
	s_or_b64 exec, exec, s[2:3]
	v_cmp_le_i32_e32 vcc, v10, v6
	s_and_b64 s[2:3], vcc, s[4:5]
	s_and_saveexec_b64 s[4:5], s[2:3]
	s_cbranch_execz .LBB503_28
; %bb.25:
	v_mul_f64 v[0:1], s[10:11], v[0:1]
	s_and_b64 vcc, exec, s[0:1]
	v_lshl_add_u64 v[2:3], v[6:7], 3, v[4:5]
	s_cbranch_vccnz .LBB503_27
; %bb.26:
	flat_load_dwordx2 v[4:5], v[2:3]
	s_waitcnt vmcnt(0) lgkmcnt(0)
	v_fmac_f64_e32 v[0:1], s[24:25], v[4:5]
.LBB503_27:
	flat_store_dwordx2 v[2:3], v[0:1]
.LBB503_28:
	s_endpgm
	.section	.rodata,"a",@progbits
	.p2align	6, 0x0
	.amdhsa_kernel _ZL29rocblas_internal_gemmt_kernelIlLi16ELi32ELi8ELc67ELc67ELc76ELb0ELb0EddPKPKdPKPdEviT_T9_T10_S7_lS9_S7_lS8_T11_S7_li
		.amdhsa_group_segment_fixed_size 4096
		.amdhsa_private_segment_fixed_size 0
		.amdhsa_kernarg_size 108
		.amdhsa_user_sgpr_count 2
		.amdhsa_user_sgpr_dispatch_ptr 0
		.amdhsa_user_sgpr_queue_ptr 0
		.amdhsa_user_sgpr_kernarg_segment_ptr 1
		.amdhsa_user_sgpr_dispatch_id 0
		.amdhsa_user_sgpr_kernarg_preload_length 0
		.amdhsa_user_sgpr_kernarg_preload_offset 0
		.amdhsa_user_sgpr_private_segment_size 0
		.amdhsa_uses_dynamic_stack 0
		.amdhsa_enable_private_segment 0
		.amdhsa_system_sgpr_workgroup_id_x 1
		.amdhsa_system_sgpr_workgroup_id_y 1
		.amdhsa_system_sgpr_workgroup_id_z 1
		.amdhsa_system_sgpr_workgroup_info 0
		.amdhsa_system_vgpr_workitem_id 1
		.amdhsa_next_free_vgpr 54
		.amdhsa_next_free_sgpr 36
		.amdhsa_accum_offset 56
		.amdhsa_reserve_vcc 1
		.amdhsa_float_round_mode_32 0
		.amdhsa_float_round_mode_16_64 0
		.amdhsa_float_denorm_mode_32 3
		.amdhsa_float_denorm_mode_16_64 3
		.amdhsa_dx10_clamp 1
		.amdhsa_ieee_mode 1
		.amdhsa_fp16_overflow 0
		.amdhsa_tg_split 0
		.amdhsa_exception_fp_ieee_invalid_op 0
		.amdhsa_exception_fp_denorm_src 0
		.amdhsa_exception_fp_ieee_div_zero 0
		.amdhsa_exception_fp_ieee_overflow 0
		.amdhsa_exception_fp_ieee_underflow 0
		.amdhsa_exception_fp_ieee_inexact 0
		.amdhsa_exception_int_div_zero 0
	.end_amdhsa_kernel
	.section	.text._ZL29rocblas_internal_gemmt_kernelIlLi16ELi32ELi8ELc67ELc67ELc76ELb0ELb0EddPKPKdPKPdEviT_T9_T10_S7_lS9_S7_lS8_T11_S7_li,"axG",@progbits,_ZL29rocblas_internal_gemmt_kernelIlLi16ELi32ELi8ELc67ELc67ELc76ELb0ELb0EddPKPKdPKPdEviT_T9_T10_S7_lS9_S7_lS8_T11_S7_li,comdat
.Lfunc_end503:
	.size	_ZL29rocblas_internal_gemmt_kernelIlLi16ELi32ELi8ELc67ELc67ELc76ELb0ELb0EddPKPKdPKPdEviT_T9_T10_S7_lS9_S7_lS8_T11_S7_li, .Lfunc_end503-_ZL29rocblas_internal_gemmt_kernelIlLi16ELi32ELi8ELc67ELc67ELc76ELb0ELb0EddPKPKdPKPdEviT_T9_T10_S7_lS9_S7_lS8_T11_S7_li
                                        ; -- End function
	.set _ZL29rocblas_internal_gemmt_kernelIlLi16ELi32ELi8ELc67ELc67ELc76ELb0ELb0EddPKPKdPKPdEviT_T9_T10_S7_lS9_S7_lS8_T11_S7_li.num_vgpr, 54
	.set _ZL29rocblas_internal_gemmt_kernelIlLi16ELi32ELi8ELc67ELc67ELc76ELb0ELb0EddPKPKdPKPdEviT_T9_T10_S7_lS9_S7_lS8_T11_S7_li.num_agpr, 0
	.set _ZL29rocblas_internal_gemmt_kernelIlLi16ELi32ELi8ELc67ELc67ELc76ELb0ELb0EddPKPKdPKPdEviT_T9_T10_S7_lS9_S7_lS8_T11_S7_li.numbered_sgpr, 36
	.set _ZL29rocblas_internal_gemmt_kernelIlLi16ELi32ELi8ELc67ELc67ELc76ELb0ELb0EddPKPKdPKPdEviT_T9_T10_S7_lS9_S7_lS8_T11_S7_li.num_named_barrier, 0
	.set _ZL29rocblas_internal_gemmt_kernelIlLi16ELi32ELi8ELc67ELc67ELc76ELb0ELb0EddPKPKdPKPdEviT_T9_T10_S7_lS9_S7_lS8_T11_S7_li.private_seg_size, 0
	.set _ZL29rocblas_internal_gemmt_kernelIlLi16ELi32ELi8ELc67ELc67ELc76ELb0ELb0EddPKPKdPKPdEviT_T9_T10_S7_lS9_S7_lS8_T11_S7_li.uses_vcc, 1
	.set _ZL29rocblas_internal_gemmt_kernelIlLi16ELi32ELi8ELc67ELc67ELc76ELb0ELb0EddPKPKdPKPdEviT_T9_T10_S7_lS9_S7_lS8_T11_S7_li.uses_flat_scratch, 0
	.set _ZL29rocblas_internal_gemmt_kernelIlLi16ELi32ELi8ELc67ELc67ELc76ELb0ELb0EddPKPKdPKPdEviT_T9_T10_S7_lS9_S7_lS8_T11_S7_li.has_dyn_sized_stack, 0
	.set _ZL29rocblas_internal_gemmt_kernelIlLi16ELi32ELi8ELc67ELc67ELc76ELb0ELb0EddPKPKdPKPdEviT_T9_T10_S7_lS9_S7_lS8_T11_S7_li.has_recursion, 0
	.set _ZL29rocblas_internal_gemmt_kernelIlLi16ELi32ELi8ELc67ELc67ELc76ELb0ELb0EddPKPKdPKPdEviT_T9_T10_S7_lS9_S7_lS8_T11_S7_li.has_indirect_call, 0
	.section	.AMDGPU.csdata,"",@progbits
; Kernel info:
; codeLenInByte = 1328
; TotalNumSgprs: 42
; NumVgprs: 54
; NumAgprs: 0
; TotalNumVgprs: 54
; ScratchSize: 0
; MemoryBound: 0
; FloatMode: 240
; IeeeMode: 1
; LDSByteSize: 4096 bytes/workgroup (compile time only)
; SGPRBlocks: 5
; VGPRBlocks: 6
; NumSGPRsForWavesPerEU: 42
; NumVGPRsForWavesPerEU: 54
; AccumOffset: 56
; Occupancy: 8
; WaveLimiterHint : 1
; COMPUTE_PGM_RSRC2:SCRATCH_EN: 0
; COMPUTE_PGM_RSRC2:USER_SGPR: 2
; COMPUTE_PGM_RSRC2:TRAP_HANDLER: 0
; COMPUTE_PGM_RSRC2:TGID_X_EN: 1
; COMPUTE_PGM_RSRC2:TGID_Y_EN: 1
; COMPUTE_PGM_RSRC2:TGID_Z_EN: 1
; COMPUTE_PGM_RSRC2:TIDIG_COMP_CNT: 1
; COMPUTE_PGM_RSRC3_GFX90A:ACCUM_OFFSET: 13
; COMPUTE_PGM_RSRC3_GFX90A:TG_SPLIT: 0
	.section	.text._ZL29rocblas_internal_gemmt_kernelIlLi16ELi32ELi8ELc78ELc78ELc85ELb0ELb0E19rocblas_complex_numIfEPKS1_PKS3_PKPS1_EviT_T9_T10_S9_lSB_S9_lSA_T11_S9_li,"axG",@progbits,_ZL29rocblas_internal_gemmt_kernelIlLi16ELi32ELi8ELc78ELc78ELc85ELb0ELb0E19rocblas_complex_numIfEPKS1_PKS3_PKPS1_EviT_T9_T10_S9_lSB_S9_lSA_T11_S9_li,comdat
	.globl	_ZL29rocblas_internal_gemmt_kernelIlLi16ELi32ELi8ELc78ELc78ELc85ELb0ELb0E19rocblas_complex_numIfEPKS1_PKS3_PKPS1_EviT_T9_T10_S9_lSB_S9_lSA_T11_S9_li ; -- Begin function _ZL29rocblas_internal_gemmt_kernelIlLi16ELi32ELi8ELc78ELc78ELc85ELb0ELb0E19rocblas_complex_numIfEPKS1_PKS3_PKPS1_EviT_T9_T10_S9_lSB_S9_lSA_T11_S9_li
	.p2align	8
	.type	_ZL29rocblas_internal_gemmt_kernelIlLi16ELi32ELi8ELc78ELc78ELc85ELb0ELb0E19rocblas_complex_numIfEPKS1_PKS3_PKPS1_EviT_T9_T10_S9_lSB_S9_lSA_T11_S9_li,@function
_ZL29rocblas_internal_gemmt_kernelIlLi16ELi32ELi8ELc78ELc78ELc85ELb0ELb0E19rocblas_complex_numIfEPKS1_PKS3_PKPS1_EviT_T9_T10_S9_lSB_S9_lSA_T11_S9_li: ; @_ZL29rocblas_internal_gemmt_kernelIlLi16ELi32ELi8ELc78ELc78ELc85ELb0ELb0E19rocblas_complex_numIfEPKS1_PKS3_PKPS1_EviT_T9_T10_S9_lSB_S9_lSA_T11_S9_li
; %bb.0:
	s_load_dwordx8 s[24:31], s[0:1], 0x48
	s_load_dwordx16 s[8:23], s[0:1], 0x8
	s_waitcnt lgkmcnt(0)
	s_load_dwordx2 s[6:7], s[24:25], 0x0
	s_load_dwordx2 s[34:35], s[10:11], 0x0
	s_waitcnt lgkmcnt(0)
	s_and_b32 s5, s7, 0x7fffffff
	s_cmp_eq_u32 s5, 0
	v_cmp_eq_f32_e64 s[24:25], s6, 1.0
	s_cselect_b64 s[10:11], -1, 0
	s_and_b64 s[24:25], s[24:25], s[10:11]
	s_and_b64 vcc, exec, s[24:25]
	s_cbranch_vccnz .LBB504_2
; %bb.1:
	s_mov_b64 s[24:25], -1
	s_cbranch_execz .LBB504_3
	s_branch .LBB504_4
.LBB504_2:
	s_mov_b64 s[24:25], 0
.LBB504_3:
	s_cmp_lg_u64 s[8:9], 0
	v_cmp_neq_f32_e64 s[36:37], s34, 0
	v_cmp_neq_f32_e64 s[38:39], s35, 0
	s_cselect_b64 s[24:25], -1, 0
	s_or_b64 s[36:37], s[36:37], s[38:39]
	s_and_b64 s[24:25], s[24:25], s[36:37]
.LBB504_4:
	s_andn2_b64 vcc, exec, s[24:25]
	s_cbranch_vccnz .LBB504_30
; %bb.5:
	s_mov_b32 s5, 0
	s_load_dword s24, s[0:1], 0x0
	s_lshl_b64 s[0:1], s[4:5], 3
	s_add_u32 s4, s26, s0
	s_addc_u32 s5, s27, s1
	s_load_dwordx2 s[4:5], s[4:5], 0x0
	s_lshl_b32 s25, s2, 5
	s_lshl_b32 s26, s3, 5
	v_cmp_eq_f32_e64 s[2:3], s34, 0
	v_cmp_eq_f32_e64 s[36:37], s35, 0
	s_and_b64 s[2:3], s[2:3], s[36:37]
	v_cmp_lt_i64_e64 s[36:37], s[8:9], 1
	s_or_b64 s[2:3], s[2:3], s[36:37]
	v_and_b32_e32 v9, 0x3ff, v0
	v_bfe_u32 v11, v0, 10, 10
	v_mov_b32_e32 v30, 0
	s_and_b64 vcc, exec, s[2:3]
	v_mov_b32_e32 v32, 0
	v_mov_b32_e32 v26, 0
	;; [unrolled: 1-line block ×7, first 2 shown]
	s_cbranch_vccnz .LBB504_14
; %bb.6:
	s_add_u32 s2, s18, s0
	s_addc_u32 s3, s19, s1
	s_load_dwordx2 s[2:3], s[2:3], 0x0
	s_lshl_b64 s[18:19], s[22:23], 3
	v_lshl_add_u32 v0, v11, 4, v9
	v_and_b32_e32 v1, 31, v0
	v_lshrrev_b32_e32 v10, 5, v0
	s_waitcnt lgkmcnt(0)
	s_add_u32 s18, s2, s18
	s_addc_u32 s19, s3, s19
	s_add_u32 s0, s12, s0
	s_addc_u32 s1, s13, s1
	s_load_dwordx2 s[0:1], s[0:1], 0x0
	s_lshl_b64 s[2:3], s[16:17], 3
	v_lshrrev_b32_e32 v2, 3, v0
	v_or_b32_e32 v0, s25, v1
	v_lshlrev_b32_e32 v1, 3, v1
	s_waitcnt lgkmcnt(0)
	s_add_u32 s2, s0, s2
	v_and_b32_e32 v8, 7, v9
	s_addc_u32 s3, s1, s3
	v_lshl_or_b32 v19, v10, 8, v1
	v_ashrrev_i32_e32 v1, 31, v0
	v_cmp_gt_i32_e64 s[0:1], s24, v0
	v_lshl_add_u64 v[12:13], v[0:1], 3, s[2:3]
	v_lshlrev_b32_e32 v0, 3, v8
	v_add_u32_e32 v3, s26, v2
	v_lshl_or_b32 v0, v2, 6, v0
	v_add_u32_e32 v21, 0x800, v0
	v_ashrrev_i32_e32 v0, 31, v3
	v_mul_lo_u32 v2, s20, v0
	v_mul_lo_u32 v4, s21, v3
	v_mad_u64_u32 v[0:1], s[12:13], s20, v3, 0
	v_add3_u32 v1, v1, v2, v4
	v_lshl_add_u64 v[14:15], v[0:1], 3, s[18:19]
	v_mov_b32_e32 v0, 0x800
	v_cmp_gt_i32_e64 s[2:3], s24, v3
	v_lshlrev_b32_e32 v23, 3, v9
	v_lshl_add_u32 v25, v11, 6, v0
	v_mov_b32_e32 v17, 0
	s_mov_b64 s[12:13], 0
	v_mov_b32_e32 v20, 0
	v_mov_b32_e32 v18, 0
	;; [unrolled: 1-line block ×8, first 2 shown]
	s_branch .LBB504_8
.LBB504_7:                              ;   in Loop: Header=BB504_8 Depth=1
	s_or_b64 exec, exec, s[16:17]
	s_waitcnt vmcnt(0) lgkmcnt(0)
	ds_write_b64 v21, v[0:1]
	s_waitcnt lgkmcnt(0)
	s_barrier
	ds_read2_b64 v[34:37], v23 offset1:16
	ds_read_b128 v[38:41], v25
	ds_read_b128 v[42:45], v25 offset:16
	ds_read_b128 v[4:7], v25 offset:32
	;; [unrolled: 1-line block ×3, first 2 shown]
	s_add_u32 s12, s12, 8
	s_waitcnt lgkmcnt(3)
	v_mul_f32_e32 v16, v39, v35
	v_mul_f32_e32 v27, v38, v35
	v_fma_f32 v16, v38, v34, -v16
	v_fmac_f32_e32 v27, v39, v34
	v_add_f32_e32 v16, v30, v16
	v_add_f32_e32 v50, v32, v27
	ds_read_b128 v[30:33], v25 offset:1024
	v_mul_f32_e32 v27, v39, v37
	v_mul_f32_e32 v29, v38, v37
	v_fma_f32 v27, v38, v36, -v27
	v_fmac_f32_e32 v29, v39, v36
	v_add_f32_e32 v38, v26, v27
	v_add_f32_e32 v39, v28, v29
	ds_read_b128 v[26:29], v25 offset:1040
	s_waitcnt lgkmcnt(1)
	v_mul_f32_e32 v46, v31, v35
	v_fma_f32 v46, v30, v34, -v46
	v_add_f32_e32 v22, v22, v46
	ds_read2_b64 v[46:49], v23 offset0:32 offset1:48
	v_mul_f32_e32 v35, v30, v35
	v_fmac_f32_e32 v35, v31, v34
	v_mul_f32_e32 v34, v31, v37
	v_fma_f32 v34, v30, v36, -v34
	v_mul_f32_e32 v30, v30, v37
	v_fmac_f32_e32 v30, v31, v36
	v_add_f32_e32 v20, v20, v30
	s_waitcnt lgkmcnt(0)
	v_mul_f32_e32 v30, v41, v47
	v_mul_f32_e32 v31, v40, v47
	v_fma_f32 v30, v40, v46, -v30
	v_fmac_f32_e32 v31, v41, v46
	v_add_f32_e32 v18, v18, v34
	v_add_f32_e32 v16, v16, v30
	;; [unrolled: 1-line block ×3, first 2 shown]
	v_mul_f32_e32 v31, v41, v49
	v_mul_f32_e32 v34, v40, v49
	v_fma_f32 v31, v40, v48, -v31
	v_fmac_f32_e32 v34, v41, v48
	v_add_f32_e32 v31, v38, v31
	v_add_f32_e32 v38, v39, v34
	v_mul_f32_e32 v34, v33, v47
	v_add_f32_e32 v24, v24, v35
	v_fma_f32 v34, v32, v46, -v34
	v_mul_f32_e32 v35, v32, v47
	v_fmac_f32_e32 v35, v33, v46
	v_add_f32_e32 v22, v22, v34
	v_mul_f32_e32 v34, v33, v49
	v_add_f32_e32 v24, v24, v35
	v_fma_f32 v39, v32, v48, -v34
	ds_read2_b64 v[34:37], v23 offset0:64 offset1:80
	v_mul_f32_e32 v32, v32, v49
	v_fmac_f32_e32 v32, v33, v48
	v_add_f32_e32 v18, v18, v39
	v_add_f32_e32 v20, v20, v32
	s_waitcnt lgkmcnt(0)
	v_mul_f32_e32 v33, v42, v35
	v_fmac_f32_e32 v33, v43, v34
	v_add_f32_e32 v39, v30, v33
	v_mul_f32_e32 v30, v43, v37
	v_mul_f32_e32 v32, v43, v35
	v_fma_f32 v30, v42, v36, -v30
	v_fma_f32 v32, v42, v34, -v32
	v_add_f32_e32 v40, v31, v30
	v_mul_f32_e32 v30, v27, v35
	v_add_f32_e32 v16, v16, v32
	v_mul_f32_e32 v32, v42, v37
	v_fma_f32 v30, v26, v34, -v30
	v_mul_f32_e32 v31, v26, v35
	v_fmac_f32_e32 v32, v43, v36
	v_fmac_f32_e32 v31, v27, v34
	v_add_f32_e32 v22, v22, v30
	v_mul_f32_e32 v30, v27, v37
	v_add_f32_e32 v38, v38, v32
	v_add_f32_e32 v24, v24, v31
	v_fma_f32 v34, v26, v36, -v30
	ds_read2_b64 v[30:33], v23 offset0:96 offset1:112
	v_mul_f32_e32 v26, v26, v37
	v_fmac_f32_e32 v26, v27, v36
	v_add_f32_e32 v20, v20, v26
	v_add_f32_e32 v18, v18, v34
	s_waitcnt lgkmcnt(0)
	v_mul_f32_e32 v26, v45, v31
	v_mul_f32_e32 v27, v44, v31
	v_fma_f32 v26, v44, v30, -v26
	v_fmac_f32_e32 v27, v45, v30
	v_add_f32_e32 v16, v16, v26
	v_add_f32_e32 v26, v39, v27
	v_mul_f32_e32 v27, v45, v33
	v_mul_f32_e32 v34, v44, v33
	v_fma_f32 v27, v44, v32, -v27
	v_fmac_f32_e32 v34, v45, v32
	v_add_f32_e32 v39, v40, v27
	v_add_f32_e32 v38, v38, v34
	v_mul_f32_e32 v27, v29, v31
	ds_read2_b64 v[34:37], v23 offset0:128 offset1:144
	v_fma_f32 v27, v28, v30, -v27
	v_add_f32_e32 v22, v22, v27
	v_mul_f32_e32 v27, v29, v33
	v_mul_f32_e32 v31, v28, v31
	v_fma_f32 v27, v28, v32, -v27
	v_mul_f32_e32 v28, v28, v33
	v_fmac_f32_e32 v28, v29, v32
	v_add_f32_e32 v20, v20, v28
	s_waitcnt lgkmcnt(0)
	v_mul_f32_e32 v28, v4, v35
	v_add_f32_e32 v18, v18, v27
	v_mul_f32_e32 v27, v5, v35
	v_fmac_f32_e32 v28, v5, v34
	v_fma_f32 v27, v4, v34, -v27
	v_add_f32_e32 v42, v26, v28
	v_mul_f32_e32 v26, v5, v37
	v_fmac_f32_e32 v31, v29, v30
	v_add_f32_e32 v16, v16, v27
	v_fma_f32 v30, v4, v36, -v26
	ds_read_b128 v[26:29], v25 offset:1056
	v_mul_f32_e32 v4, v4, v37
	v_fmac_f32_e32 v4, v5, v36
	v_add_f32_e32 v5, v39, v30
	v_add_f32_e32 v4, v38, v4
	ds_read_b128 v[38:41], v25 offset:1072
	s_waitcnt lgkmcnt(1)
	v_mul_f32_e32 v30, v27, v35
	v_add_f32_e32 v24, v24, v31
	v_fma_f32 v30, v26, v34, -v30
	v_mul_f32_e32 v31, v26, v35
	v_fmac_f32_e32 v31, v27, v34
	v_add_f32_e32 v22, v22, v30
	v_mul_f32_e32 v30, v27, v37
	v_add_f32_e32 v24, v24, v31
	v_fma_f32 v34, v26, v36, -v30
	ds_read2_b64 v[30:33], v23 offset0:160 offset1:176
	v_mul_f32_e32 v26, v26, v37
	v_fmac_f32_e32 v26, v27, v36
	v_add_f32_e32 v20, v20, v26
	v_add_f32_e32 v18, v18, v34
	s_waitcnt lgkmcnt(0)
	v_mul_f32_e32 v26, v7, v31
	v_mul_f32_e32 v27, v6, v31
	v_fma_f32 v26, v6, v30, -v26
	v_fmac_f32_e32 v27, v7, v30
	v_add_f32_e32 v16, v16, v26
	v_add_f32_e32 v26, v42, v27
	v_mul_f32_e32 v27, v7, v33
	v_fma_f32 v27, v6, v32, -v27
	v_mul_f32_e32 v6, v6, v33
	v_fmac_f32_e32 v6, v7, v32
	v_add_f32_e32 v34, v4, v6
	v_mul_f32_e32 v4, v29, v31
	v_add_f32_e32 v27, v5, v27
	v_fma_f32 v4, v28, v30, -v4
	v_mul_f32_e32 v5, v28, v31
	v_fmac_f32_e32 v5, v29, v30
	v_add_f32_e32 v22, v22, v4
	v_mul_f32_e32 v4, v29, v33
	v_add_f32_e32 v24, v24, v5
	v_fma_f32 v30, v28, v32, -v4
	ds_read2_b64 v[4:7], v23 offset0:192 offset1:208
	v_mul_f32_e32 v28, v28, v33
	v_fmac_f32_e32 v28, v29, v32
	v_add_f32_e32 v20, v20, v28
	v_add_f32_e32 v18, v18, v30
	s_waitcnt lgkmcnt(0)
	v_mul_f32_e32 v28, v1, v5
	v_fma_f32 v28, v0, v4, -v28
	v_add_f32_e32 v16, v16, v28
	v_mul_f32_e32 v28, v1, v7
	v_mul_f32_e32 v29, v0, v5
	v_fma_f32 v28, v0, v6, -v28
	v_mul_f32_e32 v0, v0, v7
	v_fmac_f32_e32 v0, v1, v6
	v_add_f32_e32 v0, v34, v0
	ds_read2_b64 v[34:37], v23 offset0:224 offset1:240
	v_fmac_f32_e32 v29, v1, v4
	v_add_f32_e32 v1, v27, v28
	v_mul_f32_e32 v27, v39, v5
	v_fma_f32 v27, v38, v4, -v27
	v_mul_f32_e32 v5, v38, v5
	v_fmac_f32_e32 v5, v39, v4
	v_add_f32_e32 v4, v22, v27
	v_mul_f32_e32 v22, v39, v7
	v_fma_f32 v22, v38, v6, -v22
	v_mul_f32_e32 v7, v38, v7
	v_fmac_f32_e32 v7, v39, v6
	v_add_f32_e32 v6, v18, v22
	s_waitcnt lgkmcnt(0)
	v_mul_f32_e32 v18, v3, v35
	v_fma_f32 v18, v2, v34, -v18
	v_add_f32_e32 v30, v16, v18
	v_mul_f32_e32 v16, v3, v37
	v_add_f32_e32 v7, v20, v7
	v_mul_f32_e32 v20, v2, v35
	v_fma_f32 v16, v2, v36, -v16
	v_mul_f32_e32 v2, v2, v37
	v_add_f32_e32 v26, v26, v29
	v_fmac_f32_e32 v20, v3, v34
	v_fmac_f32_e32 v2, v3, v36
	v_add_f32_e32 v32, v26, v20
	v_add_f32_e32 v26, v1, v16
	;; [unrolled: 1-line block ×3, first 2 shown]
	v_mul_f32_e32 v0, v41, v35
	v_mul_f32_e32 v1, v40, v35
	v_add_f32_e32 v5, v24, v5
	v_fma_f32 v0, v40, v34, -v0
	v_fmac_f32_e32 v1, v41, v34
	v_add_f32_e32 v22, v4, v0
	v_add_f32_e32 v24, v5, v1
	v_mul_f32_e32 v0, v41, v37
	v_mul_f32_e32 v1, v40, v37
	v_fma_f32 v0, v40, v36, -v0
	v_fmac_f32_e32 v1, v41, v36
	s_addc_u32 s13, s13, 0
	v_add_f32_e32 v18, v6, v0
	v_add_f32_e32 v20, v7, v1
	v_mov_b64_e32 v[0:1], s[12:13]
	v_cmp_gt_i64_e32 vcc, s[8:9], v[0:1]
	s_barrier
	s_cbranch_vccz .LBB504_14
.LBB504_8:                              ; =>This Inner Loop Header: Depth=1
	v_mov_b32_e32 v0, 0
	v_mov_b32_e32 v1, 0
	s_and_saveexec_b64 s[16:17], s[0:1]
	s_cbranch_execz .LBB504_12
; %bb.9:                                ;   in Loop: Header=BB504_8 Depth=1
	v_add_u32_e32 v16, s12, v10
	v_cmp_gt_u64_e32 vcc, s[8:9], v[16:17]
	v_mov_b32_e32 v1, 0
	v_mov_b32_e32 v0, 0
	s_and_saveexec_b64 s[18:19], vcc
	s_cbranch_execz .LBB504_11
; %bb.10:                               ;   in Loop: Header=BB504_8 Depth=1
	v_mad_u64_u32 v[0:1], s[20:21], s14, v16, 0
	v_mov_b32_e32 v2, v1
	v_mad_u64_u32 v[2:3], s[20:21], s15, v16, v[2:3]
	v_mov_b32_e32 v1, v2
	v_lshl_add_u64 v[0:1], v[0:1], 3, v[12:13]
	flat_load_dwordx2 v[0:1], v[0:1]
.LBB504_11:                             ;   in Loop: Header=BB504_8 Depth=1
	s_or_b64 exec, exec, s[18:19]
.LBB504_12:                             ;   in Loop: Header=BB504_8 Depth=1
	s_or_b64 exec, exec, s[16:17]
	v_add_u32_e32 v16, s12, v8
	v_cmp_gt_u64_e32 vcc, s[8:9], v[16:17]
	s_waitcnt vmcnt(0) lgkmcnt(0)
	ds_write_b64 v19, v[0:1]
	s_and_b64 s[18:19], vcc, s[2:3]
	v_mov_b32_e32 v0, 0
	v_mov_b32_e32 v1, 0
	s_and_saveexec_b64 s[16:17], s[18:19]
	s_cbranch_execz .LBB504_7
; %bb.13:                               ;   in Loop: Header=BB504_8 Depth=1
	v_lshl_add_u64 v[0:1], v[16:17], 3, v[14:15]
	flat_load_dwordx2 v[0:1], v[0:1]
	s_branch .LBB504_7
.LBB504_14:
	s_lshl_b64 s[0:1], s[30:31], 3
	v_add_u32_e32 v10, s26, v11
	s_waitcnt lgkmcnt(0)
	s_add_u32 s4, s4, s0
	v_ashrrev_i32_e32 v1, 31, v10
	s_addc_u32 s5, s5, s1
	v_cmp_neq_f32_e64 s[0:1], s6, 0
	s_xor_b64 s[8:9], s[10:11], -1
	v_mul_lo_u32 v1, s28, v1
	v_mul_lo_u32 v4, s29, v10
	v_mad_u64_u32 v[2:3], s[10:11], s28, v10, 0
	v_add_u32_e32 v0, s25, v9
	v_add3_u32 v3, v3, v1, v4
	s_or_b64 s[0:1], s[0:1], s[8:9]
	v_cmp_gt_i32_e64 s[2:3], s24, v10
	v_lshl_add_u64 v[4:5], v[2:3], 3, s[4:5]
	v_cmp_le_i32_e32 vcc, v0, v10
	v_cndmask_b32_e64 v2, 0, 1, s[0:1]
	s_and_b64 s[10:11], s[2:3], vcc
	v_ashrrev_i32_e32 v1, 31, v0
	v_cmp_ne_u32_e64 s[0:1], 1, v2
	s_and_saveexec_b64 s[8:9], s[10:11]
	s_cbranch_execz .LBB504_18
; %bb.15:
	v_pk_mul_f32 v[6:7], v[32:33], s[34:35] op_sel:[0,1] op_sel_hi:[0,0]
	v_pk_fma_f32 v[2:3], v[30:31], s[34:35], v[6:7] op_sel_hi:[0,1,1] neg_lo:[0,0,1] neg_hi:[0,0,1]
	v_pk_fma_f32 v[8:9], v[30:31], s[34:35], v[6:7] op_sel_hi:[0,1,1]
	s_and_b64 vcc, exec, s[0:1]
	v_lshl_add_u64 v[6:7], v[0:1], 3, v[4:5]
	s_cbranch_vccnz .LBB504_17
; %bb.16:
	flat_load_dwordx2 v[12:13], v[6:7]
	s_mov_b32 s10, s7
	v_mov_b32_e32 v3, v9
	s_waitcnt vmcnt(0) lgkmcnt(0)
	v_pk_mul_f32 v[8:9], v[12:13], s[10:11] op_sel:[1,0] op_sel_hi:[0,0]
	v_pk_fma_f32 v[14:15], v[12:13], s[6:7], v[8:9] neg_lo:[0,0,1] neg_hi:[0,0,1]
	v_pk_fma_f32 v[8:9], v[12:13], s[6:7], v[8:9] op_sel_hi:[1,0,1]
	s_nop 0
	v_mov_b32_e32 v15, v9
	v_pk_add_f32 v[2:3], v[2:3], v[14:15]
	s_nop 0
	v_mov_b32_e32 v9, v3
.LBB504_17:
	v_mov_b32_e32 v3, v9
	flat_store_dwordx2 v[6:7], v[2:3]
.LBB504_18:
	s_or_b64 exec, exec, s[8:9]
	v_add_u32_e32 v2, 16, v0
	v_cmp_le_i32_e32 vcc, v2, v10
	s_and_b64 s[8:9], s[2:3], vcc
	v_ashrrev_i32_e32 v3, 31, v2
	s_and_saveexec_b64 s[2:3], s[8:9]
	s_cbranch_execz .LBB504_22
; %bb.19:
	v_pk_mul_f32 v[8:9], v[28:29], s[34:35] op_sel:[0,1] op_sel_hi:[0,0]
	v_pk_fma_f32 v[6:7], v[26:27], s[34:35], v[8:9] op_sel_hi:[0,1,1] neg_lo:[0,0,1] neg_hi:[0,0,1]
	v_pk_fma_f32 v[8:9], v[26:27], s[34:35], v[8:9] op_sel_hi:[0,1,1]
	s_and_b64 vcc, exec, s[0:1]
	v_lshl_add_u64 v[4:5], v[2:3], 3, v[4:5]
	s_cbranch_vccnz .LBB504_21
; %bb.20:
	flat_load_dwordx2 v[12:13], v[4:5]
	s_mov_b32 s8, s7
	v_mov_b32_e32 v7, v9
	s_waitcnt vmcnt(0) lgkmcnt(0)
	v_pk_mul_f32 v[8:9], v[12:13], s[8:9] op_sel:[1,0] op_sel_hi:[0,0]
	v_pk_fma_f32 v[14:15], v[12:13], s[6:7], v[8:9] neg_lo:[0,0,1] neg_hi:[0,0,1]
	v_pk_fma_f32 v[8:9], v[12:13], s[6:7], v[8:9] op_sel_hi:[1,0,1]
	s_nop 0
	v_mov_b32_e32 v15, v9
	v_pk_add_f32 v[6:7], v[6:7], v[14:15]
	s_nop 0
	v_mov_b32_e32 v9, v7
.LBB504_21:
	v_mov_b32_e32 v7, v9
	flat_store_dwordx2 v[4:5], v[6:7]
.LBB504_22:
	s_or_b64 exec, exec, s[2:3]
	v_add_u32_e32 v10, 16, v10
	v_ashrrev_i32_e32 v4, 31, v10
	v_mul_lo_u32 v6, s28, v4
	v_mul_lo_u32 v7, s29, v10
	v_mad_u64_u32 v[4:5], s[8:9], s28, v10, 0
	v_cmp_gt_i32_e64 s[2:3], s24, v10
	v_add3_u32 v5, v5, v6, v7
	v_cmp_le_i32_e32 vcc, v0, v10
	v_lshl_add_u64 v[4:5], v[4:5], 3, s[4:5]
	s_and_b64 s[8:9], s[2:3], vcc
	s_and_saveexec_b64 s[4:5], s[8:9]
	s_cbranch_execz .LBB504_26
; %bb.23:
	v_pk_mul_f32 v[8:9], v[24:25], s[34:35] op_sel:[0,1] op_sel_hi:[0,0]
	v_pk_fma_f32 v[6:7], v[22:23], s[34:35], v[8:9] op_sel_hi:[0,1,1] neg_lo:[0,0,1] neg_hi:[0,0,1]
	v_pk_fma_f32 v[8:9], v[22:23], s[34:35], v[8:9] op_sel_hi:[0,1,1]
	s_and_b64 vcc, exec, s[0:1]
	v_lshl_add_u64 v[0:1], v[0:1], 3, v[4:5]
	s_cbranch_vccnz .LBB504_25
; %bb.24:
	flat_load_dwordx2 v[12:13], v[0:1]
	s_mov_b32 s8, s7
	v_mov_b32_e32 v7, v9
	s_waitcnt vmcnt(0) lgkmcnt(0)
	v_pk_mul_f32 v[8:9], v[12:13], s[8:9] op_sel:[1,0] op_sel_hi:[0,0]
	v_pk_fma_f32 v[14:15], v[12:13], s[6:7], v[8:9] neg_lo:[0,0,1] neg_hi:[0,0,1]
	v_pk_fma_f32 v[8:9], v[12:13], s[6:7], v[8:9] op_sel_hi:[1,0,1]
	s_nop 0
	v_mov_b32_e32 v15, v9
	v_pk_add_f32 v[6:7], v[6:7], v[14:15]
	s_nop 0
	v_mov_b32_e32 v9, v7
.LBB504_25:
	v_mov_b32_e32 v7, v9
	flat_store_dwordx2 v[0:1], v[6:7]
.LBB504_26:
	s_or_b64 exec, exec, s[4:5]
	v_cmp_le_i32_e32 vcc, v2, v10
	s_and_b64 s[2:3], s[2:3], vcc
	s_and_saveexec_b64 s[4:5], s[2:3]
	s_cbranch_execz .LBB504_30
; %bb.27:
	v_pk_mul_f32 v[6:7], v[20:21], s[34:35] op_sel:[0,1] op_sel_hi:[0,0]
	v_pk_fma_f32 v[0:1], v[18:19], s[34:35], v[6:7] op_sel_hi:[0,1,1] neg_lo:[0,0,1] neg_hi:[0,0,1]
	v_pk_fma_f32 v[6:7], v[18:19], s[34:35], v[6:7] op_sel_hi:[0,1,1]
	s_and_b64 vcc, exec, s[0:1]
	v_lshl_add_u64 v[2:3], v[2:3], 3, v[4:5]
	s_cbranch_vccnz .LBB504_29
; %bb.28:
	flat_load_dwordx2 v[4:5], v[2:3]
	s_mov_b32 s0, s7
	v_mov_b32_e32 v1, v7
	s_waitcnt vmcnt(0) lgkmcnt(0)
	v_pk_mul_f32 v[6:7], v[4:5], s[0:1] op_sel:[1,0] op_sel_hi:[0,0]
	v_pk_fma_f32 v[8:9], v[4:5], s[6:7], v[6:7] neg_lo:[0,0,1] neg_hi:[0,0,1]
	v_pk_fma_f32 v[4:5], v[4:5], s[6:7], v[6:7] op_sel_hi:[1,0,1]
	s_nop 0
	v_mov_b32_e32 v9, v5
	v_pk_add_f32 v[0:1], v[0:1], v[8:9]
	s_nop 0
	v_mov_b32_e32 v7, v1
.LBB504_29:
	v_mov_b32_e32 v1, v7
	flat_store_dwordx2 v[2:3], v[0:1]
.LBB504_30:
	s_endpgm
	.section	.rodata,"a",@progbits
	.p2align	6, 0x0
	.amdhsa_kernel _ZL29rocblas_internal_gemmt_kernelIlLi16ELi32ELi8ELc78ELc78ELc85ELb0ELb0E19rocblas_complex_numIfEPKS1_PKS3_PKPS1_EviT_T9_T10_S9_lSB_S9_lSA_T11_S9_li
		.amdhsa_group_segment_fixed_size 4096
		.amdhsa_private_segment_fixed_size 0
		.amdhsa_kernarg_size 108
		.amdhsa_user_sgpr_count 2
		.amdhsa_user_sgpr_dispatch_ptr 0
		.amdhsa_user_sgpr_queue_ptr 0
		.amdhsa_user_sgpr_kernarg_segment_ptr 1
		.amdhsa_user_sgpr_dispatch_id 0
		.amdhsa_user_sgpr_kernarg_preload_length 0
		.amdhsa_user_sgpr_kernarg_preload_offset 0
		.amdhsa_user_sgpr_private_segment_size 0
		.amdhsa_uses_dynamic_stack 0
		.amdhsa_enable_private_segment 0
		.amdhsa_system_sgpr_workgroup_id_x 1
		.amdhsa_system_sgpr_workgroup_id_y 1
		.amdhsa_system_sgpr_workgroup_id_z 1
		.amdhsa_system_sgpr_workgroup_info 0
		.amdhsa_system_vgpr_workitem_id 1
		.amdhsa_next_free_vgpr 51
		.amdhsa_next_free_sgpr 40
		.amdhsa_accum_offset 52
		.amdhsa_reserve_vcc 1
		.amdhsa_float_round_mode_32 0
		.amdhsa_float_round_mode_16_64 0
		.amdhsa_float_denorm_mode_32 3
		.amdhsa_float_denorm_mode_16_64 3
		.amdhsa_dx10_clamp 1
		.amdhsa_ieee_mode 1
		.amdhsa_fp16_overflow 0
		.amdhsa_tg_split 0
		.amdhsa_exception_fp_ieee_invalid_op 0
		.amdhsa_exception_fp_denorm_src 0
		.amdhsa_exception_fp_ieee_div_zero 0
		.amdhsa_exception_fp_ieee_overflow 0
		.amdhsa_exception_fp_ieee_underflow 0
		.amdhsa_exception_fp_ieee_inexact 0
		.amdhsa_exception_int_div_zero 0
	.end_amdhsa_kernel
	.section	.text._ZL29rocblas_internal_gemmt_kernelIlLi16ELi32ELi8ELc78ELc78ELc85ELb0ELb0E19rocblas_complex_numIfEPKS1_PKS3_PKPS1_EviT_T9_T10_S9_lSB_S9_lSA_T11_S9_li,"axG",@progbits,_ZL29rocblas_internal_gemmt_kernelIlLi16ELi32ELi8ELc78ELc78ELc85ELb0ELb0E19rocblas_complex_numIfEPKS1_PKS3_PKPS1_EviT_T9_T10_S9_lSB_S9_lSA_T11_S9_li,comdat
.Lfunc_end504:
	.size	_ZL29rocblas_internal_gemmt_kernelIlLi16ELi32ELi8ELc78ELc78ELc85ELb0ELb0E19rocblas_complex_numIfEPKS1_PKS3_PKPS1_EviT_T9_T10_S9_lSB_S9_lSA_T11_S9_li, .Lfunc_end504-_ZL29rocblas_internal_gemmt_kernelIlLi16ELi32ELi8ELc78ELc78ELc85ELb0ELb0E19rocblas_complex_numIfEPKS1_PKS3_PKPS1_EviT_T9_T10_S9_lSB_S9_lSA_T11_S9_li
                                        ; -- End function
	.set _ZL29rocblas_internal_gemmt_kernelIlLi16ELi32ELi8ELc78ELc78ELc85ELb0ELb0E19rocblas_complex_numIfEPKS1_PKS3_PKPS1_EviT_T9_T10_S9_lSB_S9_lSA_T11_S9_li.num_vgpr, 51
	.set _ZL29rocblas_internal_gemmt_kernelIlLi16ELi32ELi8ELc78ELc78ELc85ELb0ELb0E19rocblas_complex_numIfEPKS1_PKS3_PKPS1_EviT_T9_T10_S9_lSB_S9_lSA_T11_S9_li.num_agpr, 0
	.set _ZL29rocblas_internal_gemmt_kernelIlLi16ELi32ELi8ELc78ELc78ELc85ELb0ELb0E19rocblas_complex_numIfEPKS1_PKS3_PKPS1_EviT_T9_T10_S9_lSB_S9_lSA_T11_S9_li.numbered_sgpr, 40
	.set _ZL29rocblas_internal_gemmt_kernelIlLi16ELi32ELi8ELc78ELc78ELc85ELb0ELb0E19rocblas_complex_numIfEPKS1_PKS3_PKPS1_EviT_T9_T10_S9_lSB_S9_lSA_T11_S9_li.num_named_barrier, 0
	.set _ZL29rocblas_internal_gemmt_kernelIlLi16ELi32ELi8ELc78ELc78ELc85ELb0ELb0E19rocblas_complex_numIfEPKS1_PKS3_PKPS1_EviT_T9_T10_S9_lSB_S9_lSA_T11_S9_li.private_seg_size, 0
	.set _ZL29rocblas_internal_gemmt_kernelIlLi16ELi32ELi8ELc78ELc78ELc85ELb0ELb0E19rocblas_complex_numIfEPKS1_PKS3_PKPS1_EviT_T9_T10_S9_lSB_S9_lSA_T11_S9_li.uses_vcc, 1
	.set _ZL29rocblas_internal_gemmt_kernelIlLi16ELi32ELi8ELc78ELc78ELc85ELb0ELb0E19rocblas_complex_numIfEPKS1_PKS3_PKPS1_EviT_T9_T10_S9_lSB_S9_lSA_T11_S9_li.uses_flat_scratch, 0
	.set _ZL29rocblas_internal_gemmt_kernelIlLi16ELi32ELi8ELc78ELc78ELc85ELb0ELb0E19rocblas_complex_numIfEPKS1_PKS3_PKPS1_EviT_T9_T10_S9_lSB_S9_lSA_T11_S9_li.has_dyn_sized_stack, 0
	.set _ZL29rocblas_internal_gemmt_kernelIlLi16ELi32ELi8ELc78ELc78ELc85ELb0ELb0E19rocblas_complex_numIfEPKS1_PKS3_PKPS1_EviT_T9_T10_S9_lSB_S9_lSA_T11_S9_li.has_recursion, 0
	.set _ZL29rocblas_internal_gemmt_kernelIlLi16ELi32ELi8ELc78ELc78ELc85ELb0ELb0E19rocblas_complex_numIfEPKS1_PKS3_PKPS1_EviT_T9_T10_S9_lSB_S9_lSA_T11_S9_li.has_indirect_call, 0
	.section	.AMDGPU.csdata,"",@progbits
; Kernel info:
; codeLenInByte = 2520
; TotalNumSgprs: 46
; NumVgprs: 51
; NumAgprs: 0
; TotalNumVgprs: 51
; ScratchSize: 0
; MemoryBound: 0
; FloatMode: 240
; IeeeMode: 1
; LDSByteSize: 4096 bytes/workgroup (compile time only)
; SGPRBlocks: 5
; VGPRBlocks: 6
; NumSGPRsForWavesPerEU: 46
; NumVGPRsForWavesPerEU: 51
; AccumOffset: 52
; Occupancy: 8
; WaveLimiterHint : 1
; COMPUTE_PGM_RSRC2:SCRATCH_EN: 0
; COMPUTE_PGM_RSRC2:USER_SGPR: 2
; COMPUTE_PGM_RSRC2:TRAP_HANDLER: 0
; COMPUTE_PGM_RSRC2:TGID_X_EN: 1
; COMPUTE_PGM_RSRC2:TGID_Y_EN: 1
; COMPUTE_PGM_RSRC2:TGID_Z_EN: 1
; COMPUTE_PGM_RSRC2:TIDIG_COMP_CNT: 1
; COMPUTE_PGM_RSRC3_GFX90A:ACCUM_OFFSET: 12
; COMPUTE_PGM_RSRC3_GFX90A:TG_SPLIT: 0
	.section	.text._ZL29rocblas_internal_gemmt_kernelIlLi16ELi32ELi8ELc78ELc84ELc85ELb0ELb0E19rocblas_complex_numIfEPKS1_PKS3_PKPS1_EviT_T9_T10_S9_lSB_S9_lSA_T11_S9_li,"axG",@progbits,_ZL29rocblas_internal_gemmt_kernelIlLi16ELi32ELi8ELc78ELc84ELc85ELb0ELb0E19rocblas_complex_numIfEPKS1_PKS3_PKPS1_EviT_T9_T10_S9_lSB_S9_lSA_T11_S9_li,comdat
	.globl	_ZL29rocblas_internal_gemmt_kernelIlLi16ELi32ELi8ELc78ELc84ELc85ELb0ELb0E19rocblas_complex_numIfEPKS1_PKS3_PKPS1_EviT_T9_T10_S9_lSB_S9_lSA_T11_S9_li ; -- Begin function _ZL29rocblas_internal_gemmt_kernelIlLi16ELi32ELi8ELc78ELc84ELc85ELb0ELb0E19rocblas_complex_numIfEPKS1_PKS3_PKPS1_EviT_T9_T10_S9_lSB_S9_lSA_T11_S9_li
	.p2align	8
	.type	_ZL29rocblas_internal_gemmt_kernelIlLi16ELi32ELi8ELc78ELc84ELc85ELb0ELb0E19rocblas_complex_numIfEPKS1_PKS3_PKPS1_EviT_T9_T10_S9_lSB_S9_lSA_T11_S9_li,@function
_ZL29rocblas_internal_gemmt_kernelIlLi16ELi32ELi8ELc78ELc84ELc85ELb0ELb0E19rocblas_complex_numIfEPKS1_PKS3_PKPS1_EviT_T9_T10_S9_lSB_S9_lSA_T11_S9_li: ; @_ZL29rocblas_internal_gemmt_kernelIlLi16ELi32ELi8ELc78ELc84ELc85ELb0ELb0E19rocblas_complex_numIfEPKS1_PKS3_PKPS1_EviT_T9_T10_S9_lSB_S9_lSA_T11_S9_li
; %bb.0:
	s_load_dwordx8 s[24:31], s[0:1], 0x48
	s_load_dwordx16 s[8:23], s[0:1], 0x8
	s_waitcnt lgkmcnt(0)
	s_load_dwordx2 s[6:7], s[24:25], 0x0
	s_load_dwordx2 s[34:35], s[10:11], 0x0
	s_waitcnt lgkmcnt(0)
	s_and_b32 s5, s7, 0x7fffffff
	s_cmp_eq_u32 s5, 0
	v_cmp_eq_f32_e64 s[24:25], s6, 1.0
	s_cselect_b64 s[10:11], -1, 0
	s_and_b64 s[24:25], s[24:25], s[10:11]
	s_and_b64 vcc, exec, s[24:25]
	s_cbranch_vccnz .LBB505_2
; %bb.1:
	s_mov_b64 s[24:25], -1
	s_cbranch_execz .LBB505_3
	s_branch .LBB505_4
.LBB505_2:
	s_mov_b64 s[24:25], 0
.LBB505_3:
	s_cmp_lg_u64 s[8:9], 0
	v_cmp_neq_f32_e64 s[36:37], s34, 0
	v_cmp_neq_f32_e64 s[38:39], s35, 0
	s_cselect_b64 s[24:25], -1, 0
	s_or_b64 s[36:37], s[36:37], s[38:39]
	s_and_b64 s[24:25], s[24:25], s[36:37]
.LBB505_4:
	s_andn2_b64 vcc, exec, s[24:25]
	s_cbranch_vccnz .LBB505_30
; %bb.5:
	s_mov_b32 s5, 0
	s_load_dword s24, s[0:1], 0x0
	s_lshl_b64 s[0:1], s[4:5], 3
	s_add_u32 s4, s26, s0
	s_addc_u32 s5, s27, s1
	s_load_dwordx2 s[4:5], s[4:5], 0x0
	s_lshl_b32 s25, s2, 5
	s_lshl_b32 s26, s3, 5
	v_cmp_eq_f32_e64 s[2:3], s34, 0
	v_cmp_eq_f32_e64 s[36:37], s35, 0
	s_and_b64 s[2:3], s[2:3], s[36:37]
	v_cmp_lt_i64_e64 s[36:37], s[8:9], 1
	s_or_b64 s[2:3], s[2:3], s[36:37]
	v_and_b32_e32 v9, 0x3ff, v0
	v_bfe_u32 v11, v0, 10, 10
	v_mov_b32_e32 v30, 0
	s_and_b64 vcc, exec, s[2:3]
	v_mov_b32_e32 v32, 0
	v_mov_b32_e32 v26, 0
	;; [unrolled: 1-line block ×7, first 2 shown]
	s_cbranch_vccnz .LBB505_14
; %bb.6:
	s_add_u32 s2, s18, s0
	s_addc_u32 s3, s19, s1
	s_load_dwordx2 s[2:3], s[2:3], 0x0
	s_lshl_b64 s[18:19], s[22:23], 3
	v_lshl_add_u32 v1, v11, 4, v9
	v_lshrrev_b32_e32 v10, 5, v1
	v_lshrrev_b32_e32 v4, 3, v1
	s_waitcnt lgkmcnt(0)
	s_add_u32 s18, s2, s18
	s_addc_u32 s19, s3, s19
	s_add_u32 s0, s12, s0
	s_addc_u32 s1, s13, s1
	s_load_dwordx2 s[0:1], s[0:1], 0x0
	v_and_b32_e32 v1, 31, v1
	v_and_b32_e32 v8, 7, v9
	v_or_b32_e32 v2, s25, v1
	v_lshlrev_b32_e32 v1, 3, v1
	s_lshl_b64 s[2:3], s[16:17], 3
	v_lshl_or_b32 v19, v10, 8, v1
	v_lshlrev_b32_e32 v1, 3, v8
	v_add_u32_e32 v0, s26, v4
	s_waitcnt lgkmcnt(0)
	s_add_u32 s2, s0, s2
	v_lshl_or_b32 v1, v4, 6, v1
	s_addc_u32 s3, s1, s3
	v_ashrrev_i32_e32 v3, 31, v2
	v_add_u32_e32 v21, 0x800, v1
	v_ashrrev_i32_e32 v1, 31, v0
	v_lshl_add_u64 v[12:13], v[2:3], 3, s[2:3]
	v_cmp_gt_i32_e64 s[2:3], s24, v0
	v_lshl_add_u64 v[14:15], v[0:1], 3, s[18:19]
	v_mov_b32_e32 v0, 0x800
	v_cmp_gt_i32_e64 s[0:1], s24, v2
	v_lshlrev_b32_e32 v23, 3, v9
	v_lshl_add_u32 v25, v11, 6, v0
	v_mov_b32_e32 v17, 0
	s_mov_b64 s[12:13], 0
	v_mov_b32_e32 v20, 0
	v_mov_b32_e32 v18, 0
	;; [unrolled: 1-line block ×8, first 2 shown]
	s_branch .LBB505_8
.LBB505_7:                              ;   in Loop: Header=BB505_8 Depth=1
	s_or_b64 exec, exec, s[16:17]
	s_waitcnt vmcnt(0) lgkmcnt(0)
	ds_write_b64 v21, v[0:1]
	s_waitcnt lgkmcnt(0)
	s_barrier
	ds_read2_b64 v[34:37], v23 offset1:16
	ds_read_b128 v[38:41], v25
	ds_read_b128 v[42:45], v25 offset:16
	ds_read_b128 v[4:7], v25 offset:32
	;; [unrolled: 1-line block ×3, first 2 shown]
	s_add_u32 s12, s12, 8
	s_waitcnt lgkmcnt(3)
	v_mul_f32_e32 v16, v39, v35
	v_mul_f32_e32 v27, v38, v35
	v_fma_f32 v16, v38, v34, -v16
	v_fmac_f32_e32 v27, v39, v34
	v_add_f32_e32 v16, v30, v16
	v_add_f32_e32 v50, v32, v27
	ds_read_b128 v[30:33], v25 offset:1024
	v_mul_f32_e32 v27, v39, v37
	v_mul_f32_e32 v29, v38, v37
	v_fma_f32 v27, v38, v36, -v27
	v_fmac_f32_e32 v29, v39, v36
	v_add_f32_e32 v38, v26, v27
	v_add_f32_e32 v39, v28, v29
	ds_read_b128 v[26:29], v25 offset:1040
	s_waitcnt lgkmcnt(1)
	v_mul_f32_e32 v46, v31, v35
	v_fma_f32 v46, v30, v34, -v46
	v_add_f32_e32 v22, v22, v46
	ds_read2_b64 v[46:49], v23 offset0:32 offset1:48
	v_mul_f32_e32 v35, v30, v35
	v_fmac_f32_e32 v35, v31, v34
	v_mul_f32_e32 v34, v31, v37
	v_fma_f32 v34, v30, v36, -v34
	v_mul_f32_e32 v30, v30, v37
	v_fmac_f32_e32 v30, v31, v36
	v_add_f32_e32 v20, v20, v30
	s_waitcnt lgkmcnt(0)
	v_mul_f32_e32 v30, v41, v47
	v_mul_f32_e32 v31, v40, v47
	v_fma_f32 v30, v40, v46, -v30
	v_fmac_f32_e32 v31, v41, v46
	v_add_f32_e32 v18, v18, v34
	v_add_f32_e32 v16, v16, v30
	;; [unrolled: 1-line block ×3, first 2 shown]
	v_mul_f32_e32 v31, v41, v49
	v_mul_f32_e32 v34, v40, v49
	v_fma_f32 v31, v40, v48, -v31
	v_fmac_f32_e32 v34, v41, v48
	v_add_f32_e32 v31, v38, v31
	v_add_f32_e32 v38, v39, v34
	v_mul_f32_e32 v34, v33, v47
	v_add_f32_e32 v24, v24, v35
	v_fma_f32 v34, v32, v46, -v34
	v_mul_f32_e32 v35, v32, v47
	v_fmac_f32_e32 v35, v33, v46
	v_add_f32_e32 v22, v22, v34
	v_mul_f32_e32 v34, v33, v49
	v_add_f32_e32 v24, v24, v35
	v_fma_f32 v39, v32, v48, -v34
	ds_read2_b64 v[34:37], v23 offset0:64 offset1:80
	v_mul_f32_e32 v32, v32, v49
	v_fmac_f32_e32 v32, v33, v48
	v_add_f32_e32 v18, v18, v39
	v_add_f32_e32 v20, v20, v32
	s_waitcnt lgkmcnt(0)
	v_mul_f32_e32 v33, v42, v35
	v_fmac_f32_e32 v33, v43, v34
	v_add_f32_e32 v39, v30, v33
	v_mul_f32_e32 v30, v43, v37
	v_mul_f32_e32 v32, v43, v35
	v_fma_f32 v30, v42, v36, -v30
	v_fma_f32 v32, v42, v34, -v32
	v_add_f32_e32 v40, v31, v30
	v_mul_f32_e32 v30, v27, v35
	v_add_f32_e32 v16, v16, v32
	v_mul_f32_e32 v32, v42, v37
	v_fma_f32 v30, v26, v34, -v30
	v_mul_f32_e32 v31, v26, v35
	v_fmac_f32_e32 v32, v43, v36
	v_fmac_f32_e32 v31, v27, v34
	v_add_f32_e32 v22, v22, v30
	v_mul_f32_e32 v30, v27, v37
	v_add_f32_e32 v38, v38, v32
	v_add_f32_e32 v24, v24, v31
	v_fma_f32 v34, v26, v36, -v30
	ds_read2_b64 v[30:33], v23 offset0:96 offset1:112
	v_mul_f32_e32 v26, v26, v37
	v_fmac_f32_e32 v26, v27, v36
	v_add_f32_e32 v20, v20, v26
	v_add_f32_e32 v18, v18, v34
	s_waitcnt lgkmcnt(0)
	v_mul_f32_e32 v26, v45, v31
	v_mul_f32_e32 v27, v44, v31
	v_fma_f32 v26, v44, v30, -v26
	v_fmac_f32_e32 v27, v45, v30
	v_add_f32_e32 v16, v16, v26
	v_add_f32_e32 v26, v39, v27
	v_mul_f32_e32 v27, v45, v33
	v_mul_f32_e32 v34, v44, v33
	v_fma_f32 v27, v44, v32, -v27
	v_fmac_f32_e32 v34, v45, v32
	v_add_f32_e32 v39, v40, v27
	v_add_f32_e32 v38, v38, v34
	v_mul_f32_e32 v27, v29, v31
	ds_read2_b64 v[34:37], v23 offset0:128 offset1:144
	v_fma_f32 v27, v28, v30, -v27
	v_add_f32_e32 v22, v22, v27
	v_mul_f32_e32 v27, v29, v33
	v_mul_f32_e32 v31, v28, v31
	v_fma_f32 v27, v28, v32, -v27
	v_mul_f32_e32 v28, v28, v33
	v_fmac_f32_e32 v28, v29, v32
	v_add_f32_e32 v20, v20, v28
	s_waitcnt lgkmcnt(0)
	v_mul_f32_e32 v28, v4, v35
	v_add_f32_e32 v18, v18, v27
	v_mul_f32_e32 v27, v5, v35
	v_fmac_f32_e32 v28, v5, v34
	v_fma_f32 v27, v4, v34, -v27
	v_add_f32_e32 v42, v26, v28
	v_mul_f32_e32 v26, v5, v37
	v_fmac_f32_e32 v31, v29, v30
	v_add_f32_e32 v16, v16, v27
	v_fma_f32 v30, v4, v36, -v26
	ds_read_b128 v[26:29], v25 offset:1056
	v_mul_f32_e32 v4, v4, v37
	v_fmac_f32_e32 v4, v5, v36
	v_add_f32_e32 v5, v39, v30
	v_add_f32_e32 v4, v38, v4
	ds_read_b128 v[38:41], v25 offset:1072
	s_waitcnt lgkmcnt(1)
	v_mul_f32_e32 v30, v27, v35
	v_add_f32_e32 v24, v24, v31
	v_fma_f32 v30, v26, v34, -v30
	v_mul_f32_e32 v31, v26, v35
	v_fmac_f32_e32 v31, v27, v34
	v_add_f32_e32 v22, v22, v30
	v_mul_f32_e32 v30, v27, v37
	v_add_f32_e32 v24, v24, v31
	v_fma_f32 v34, v26, v36, -v30
	ds_read2_b64 v[30:33], v23 offset0:160 offset1:176
	v_mul_f32_e32 v26, v26, v37
	v_fmac_f32_e32 v26, v27, v36
	v_add_f32_e32 v20, v20, v26
	v_add_f32_e32 v18, v18, v34
	s_waitcnt lgkmcnt(0)
	v_mul_f32_e32 v26, v7, v31
	v_mul_f32_e32 v27, v6, v31
	v_fma_f32 v26, v6, v30, -v26
	v_fmac_f32_e32 v27, v7, v30
	v_add_f32_e32 v16, v16, v26
	v_add_f32_e32 v26, v42, v27
	v_mul_f32_e32 v27, v7, v33
	v_fma_f32 v27, v6, v32, -v27
	v_mul_f32_e32 v6, v6, v33
	v_fmac_f32_e32 v6, v7, v32
	v_add_f32_e32 v34, v4, v6
	v_mul_f32_e32 v4, v29, v31
	v_add_f32_e32 v27, v5, v27
	v_fma_f32 v4, v28, v30, -v4
	v_mul_f32_e32 v5, v28, v31
	v_fmac_f32_e32 v5, v29, v30
	v_add_f32_e32 v22, v22, v4
	v_mul_f32_e32 v4, v29, v33
	v_add_f32_e32 v24, v24, v5
	v_fma_f32 v30, v28, v32, -v4
	ds_read2_b64 v[4:7], v23 offset0:192 offset1:208
	v_mul_f32_e32 v28, v28, v33
	v_fmac_f32_e32 v28, v29, v32
	v_add_f32_e32 v20, v20, v28
	v_add_f32_e32 v18, v18, v30
	s_waitcnt lgkmcnt(0)
	v_mul_f32_e32 v28, v1, v5
	v_fma_f32 v28, v0, v4, -v28
	v_add_f32_e32 v16, v16, v28
	v_mul_f32_e32 v28, v1, v7
	v_mul_f32_e32 v29, v0, v5
	v_fma_f32 v28, v0, v6, -v28
	v_mul_f32_e32 v0, v0, v7
	v_fmac_f32_e32 v0, v1, v6
	v_add_f32_e32 v0, v34, v0
	ds_read2_b64 v[34:37], v23 offset0:224 offset1:240
	v_fmac_f32_e32 v29, v1, v4
	v_add_f32_e32 v1, v27, v28
	v_mul_f32_e32 v27, v39, v5
	v_fma_f32 v27, v38, v4, -v27
	v_mul_f32_e32 v5, v38, v5
	v_fmac_f32_e32 v5, v39, v4
	v_add_f32_e32 v4, v22, v27
	v_mul_f32_e32 v22, v39, v7
	v_fma_f32 v22, v38, v6, -v22
	v_mul_f32_e32 v7, v38, v7
	v_fmac_f32_e32 v7, v39, v6
	v_add_f32_e32 v6, v18, v22
	s_waitcnt lgkmcnt(0)
	v_mul_f32_e32 v18, v3, v35
	v_fma_f32 v18, v2, v34, -v18
	v_add_f32_e32 v30, v16, v18
	v_mul_f32_e32 v16, v3, v37
	v_add_f32_e32 v7, v20, v7
	v_mul_f32_e32 v20, v2, v35
	v_fma_f32 v16, v2, v36, -v16
	v_mul_f32_e32 v2, v2, v37
	v_add_f32_e32 v26, v26, v29
	v_fmac_f32_e32 v20, v3, v34
	v_fmac_f32_e32 v2, v3, v36
	v_add_f32_e32 v32, v26, v20
	v_add_f32_e32 v26, v1, v16
	;; [unrolled: 1-line block ×3, first 2 shown]
	v_mul_f32_e32 v0, v41, v35
	v_mul_f32_e32 v1, v40, v35
	v_add_f32_e32 v5, v24, v5
	v_fma_f32 v0, v40, v34, -v0
	v_fmac_f32_e32 v1, v41, v34
	v_add_f32_e32 v22, v4, v0
	v_add_f32_e32 v24, v5, v1
	v_mul_f32_e32 v0, v41, v37
	v_mul_f32_e32 v1, v40, v37
	v_fma_f32 v0, v40, v36, -v0
	v_fmac_f32_e32 v1, v41, v36
	s_addc_u32 s13, s13, 0
	v_add_f32_e32 v18, v6, v0
	v_add_f32_e32 v20, v7, v1
	v_mov_b64_e32 v[0:1], s[12:13]
	v_cmp_gt_i64_e32 vcc, s[8:9], v[0:1]
	s_barrier
	s_cbranch_vccz .LBB505_14
.LBB505_8:                              ; =>This Inner Loop Header: Depth=1
	v_mov_b32_e32 v0, 0
	v_mov_b32_e32 v1, 0
	s_and_saveexec_b64 s[16:17], s[0:1]
	s_cbranch_execz .LBB505_12
; %bb.9:                                ;   in Loop: Header=BB505_8 Depth=1
	v_add_u32_e32 v16, s12, v10
	v_cmp_gt_u64_e32 vcc, s[8:9], v[16:17]
	v_mov_b32_e32 v1, 0
	v_mov_b32_e32 v0, 0
	s_and_saveexec_b64 s[18:19], vcc
	s_cbranch_execz .LBB505_11
; %bb.10:                               ;   in Loop: Header=BB505_8 Depth=1
	v_mad_u64_u32 v[0:1], s[22:23], s14, v16, 0
	v_mov_b32_e32 v2, v1
	v_mad_u64_u32 v[2:3], s[22:23], s15, v16, v[2:3]
	v_mov_b32_e32 v1, v2
	v_lshl_add_u64 v[0:1], v[0:1], 3, v[12:13]
	flat_load_dwordx2 v[0:1], v[0:1]
.LBB505_11:                             ;   in Loop: Header=BB505_8 Depth=1
	s_or_b64 exec, exec, s[18:19]
.LBB505_12:                             ;   in Loop: Header=BB505_8 Depth=1
	s_or_b64 exec, exec, s[16:17]
	v_add_u32_e32 v16, s12, v8
	v_cmp_gt_u64_e32 vcc, s[8:9], v[16:17]
	s_waitcnt vmcnt(0) lgkmcnt(0)
	ds_write_b64 v19, v[0:1]
	s_and_b64 s[18:19], vcc, s[2:3]
	v_mov_b32_e32 v0, 0
	v_mov_b32_e32 v1, 0
	s_and_saveexec_b64 s[16:17], s[18:19]
	s_cbranch_execz .LBB505_7
; %bb.13:                               ;   in Loop: Header=BB505_8 Depth=1
	v_mad_u64_u32 v[0:1], s[18:19], s20, v16, 0
	v_mov_b32_e32 v2, v1
	v_mad_u64_u32 v[2:3], s[18:19], s21, v16, v[2:3]
	v_mov_b32_e32 v1, v2
	v_lshl_add_u64 v[0:1], v[0:1], 3, v[14:15]
	flat_load_dwordx2 v[0:1], v[0:1]
	s_branch .LBB505_7
.LBB505_14:
	s_lshl_b64 s[0:1], s[30:31], 3
	v_add_u32_e32 v10, s26, v11
	s_waitcnt lgkmcnt(0)
	s_add_u32 s4, s4, s0
	v_ashrrev_i32_e32 v1, 31, v10
	s_addc_u32 s5, s5, s1
	v_cmp_neq_f32_e64 s[0:1], s6, 0
	s_xor_b64 s[8:9], s[10:11], -1
	v_mul_lo_u32 v1, s28, v1
	v_mul_lo_u32 v4, s29, v10
	v_mad_u64_u32 v[2:3], s[10:11], s28, v10, 0
	v_add_u32_e32 v0, s25, v9
	v_add3_u32 v3, v3, v1, v4
	s_or_b64 s[0:1], s[0:1], s[8:9]
	v_cmp_gt_i32_e64 s[2:3], s24, v10
	v_lshl_add_u64 v[4:5], v[2:3], 3, s[4:5]
	v_cmp_le_i32_e32 vcc, v0, v10
	v_cndmask_b32_e64 v2, 0, 1, s[0:1]
	s_and_b64 s[10:11], s[2:3], vcc
	v_ashrrev_i32_e32 v1, 31, v0
	v_cmp_ne_u32_e64 s[0:1], 1, v2
	s_and_saveexec_b64 s[8:9], s[10:11]
	s_cbranch_execz .LBB505_18
; %bb.15:
	v_pk_mul_f32 v[6:7], v[32:33], s[34:35] op_sel:[0,1] op_sel_hi:[0,0]
	v_pk_fma_f32 v[2:3], v[30:31], s[34:35], v[6:7] op_sel_hi:[0,1,1] neg_lo:[0,0,1] neg_hi:[0,0,1]
	v_pk_fma_f32 v[8:9], v[30:31], s[34:35], v[6:7] op_sel_hi:[0,1,1]
	s_and_b64 vcc, exec, s[0:1]
	v_lshl_add_u64 v[6:7], v[0:1], 3, v[4:5]
	s_cbranch_vccnz .LBB505_17
; %bb.16:
	flat_load_dwordx2 v[12:13], v[6:7]
	s_mov_b32 s10, s7
	v_mov_b32_e32 v3, v9
	s_waitcnt vmcnt(0) lgkmcnt(0)
	v_pk_mul_f32 v[8:9], v[12:13], s[10:11] op_sel:[1,0] op_sel_hi:[0,0]
	v_pk_fma_f32 v[14:15], v[12:13], s[6:7], v[8:9] neg_lo:[0,0,1] neg_hi:[0,0,1]
	v_pk_fma_f32 v[8:9], v[12:13], s[6:7], v[8:9] op_sel_hi:[1,0,1]
	s_nop 0
	v_mov_b32_e32 v15, v9
	v_pk_add_f32 v[2:3], v[2:3], v[14:15]
	s_nop 0
	v_mov_b32_e32 v9, v3
.LBB505_17:
	v_mov_b32_e32 v3, v9
	flat_store_dwordx2 v[6:7], v[2:3]
.LBB505_18:
	s_or_b64 exec, exec, s[8:9]
	v_add_u32_e32 v2, 16, v0
	v_cmp_le_i32_e32 vcc, v2, v10
	s_and_b64 s[8:9], s[2:3], vcc
	v_ashrrev_i32_e32 v3, 31, v2
	s_and_saveexec_b64 s[2:3], s[8:9]
	s_cbranch_execz .LBB505_22
; %bb.19:
	v_pk_mul_f32 v[8:9], v[28:29], s[34:35] op_sel:[0,1] op_sel_hi:[0,0]
	v_pk_fma_f32 v[6:7], v[26:27], s[34:35], v[8:9] op_sel_hi:[0,1,1] neg_lo:[0,0,1] neg_hi:[0,0,1]
	v_pk_fma_f32 v[8:9], v[26:27], s[34:35], v[8:9] op_sel_hi:[0,1,1]
	s_and_b64 vcc, exec, s[0:1]
	v_lshl_add_u64 v[4:5], v[2:3], 3, v[4:5]
	s_cbranch_vccnz .LBB505_21
; %bb.20:
	flat_load_dwordx2 v[12:13], v[4:5]
	s_mov_b32 s8, s7
	v_mov_b32_e32 v7, v9
	s_waitcnt vmcnt(0) lgkmcnt(0)
	v_pk_mul_f32 v[8:9], v[12:13], s[8:9] op_sel:[1,0] op_sel_hi:[0,0]
	v_pk_fma_f32 v[14:15], v[12:13], s[6:7], v[8:9] neg_lo:[0,0,1] neg_hi:[0,0,1]
	v_pk_fma_f32 v[8:9], v[12:13], s[6:7], v[8:9] op_sel_hi:[1,0,1]
	s_nop 0
	v_mov_b32_e32 v15, v9
	v_pk_add_f32 v[6:7], v[6:7], v[14:15]
	s_nop 0
	v_mov_b32_e32 v9, v7
.LBB505_21:
	v_mov_b32_e32 v7, v9
	flat_store_dwordx2 v[4:5], v[6:7]
.LBB505_22:
	s_or_b64 exec, exec, s[2:3]
	v_add_u32_e32 v10, 16, v10
	v_ashrrev_i32_e32 v4, 31, v10
	v_mul_lo_u32 v6, s28, v4
	v_mul_lo_u32 v7, s29, v10
	v_mad_u64_u32 v[4:5], s[8:9], s28, v10, 0
	v_cmp_gt_i32_e64 s[2:3], s24, v10
	v_add3_u32 v5, v5, v6, v7
	v_cmp_le_i32_e32 vcc, v0, v10
	v_lshl_add_u64 v[4:5], v[4:5], 3, s[4:5]
	s_and_b64 s[8:9], s[2:3], vcc
	s_and_saveexec_b64 s[4:5], s[8:9]
	s_cbranch_execz .LBB505_26
; %bb.23:
	v_pk_mul_f32 v[8:9], v[24:25], s[34:35] op_sel:[0,1] op_sel_hi:[0,0]
	v_pk_fma_f32 v[6:7], v[22:23], s[34:35], v[8:9] op_sel_hi:[0,1,1] neg_lo:[0,0,1] neg_hi:[0,0,1]
	v_pk_fma_f32 v[8:9], v[22:23], s[34:35], v[8:9] op_sel_hi:[0,1,1]
	s_and_b64 vcc, exec, s[0:1]
	v_lshl_add_u64 v[0:1], v[0:1], 3, v[4:5]
	s_cbranch_vccnz .LBB505_25
; %bb.24:
	flat_load_dwordx2 v[12:13], v[0:1]
	s_mov_b32 s8, s7
	v_mov_b32_e32 v7, v9
	s_waitcnt vmcnt(0) lgkmcnt(0)
	v_pk_mul_f32 v[8:9], v[12:13], s[8:9] op_sel:[1,0] op_sel_hi:[0,0]
	v_pk_fma_f32 v[14:15], v[12:13], s[6:7], v[8:9] neg_lo:[0,0,1] neg_hi:[0,0,1]
	v_pk_fma_f32 v[8:9], v[12:13], s[6:7], v[8:9] op_sel_hi:[1,0,1]
	s_nop 0
	v_mov_b32_e32 v15, v9
	v_pk_add_f32 v[6:7], v[6:7], v[14:15]
	s_nop 0
	v_mov_b32_e32 v9, v7
.LBB505_25:
	v_mov_b32_e32 v7, v9
	flat_store_dwordx2 v[0:1], v[6:7]
.LBB505_26:
	s_or_b64 exec, exec, s[4:5]
	v_cmp_le_i32_e32 vcc, v2, v10
	s_and_b64 s[2:3], s[2:3], vcc
	s_and_saveexec_b64 s[4:5], s[2:3]
	s_cbranch_execz .LBB505_30
; %bb.27:
	v_pk_mul_f32 v[6:7], v[20:21], s[34:35] op_sel:[0,1] op_sel_hi:[0,0]
	v_pk_fma_f32 v[0:1], v[18:19], s[34:35], v[6:7] op_sel_hi:[0,1,1] neg_lo:[0,0,1] neg_hi:[0,0,1]
	v_pk_fma_f32 v[6:7], v[18:19], s[34:35], v[6:7] op_sel_hi:[0,1,1]
	s_and_b64 vcc, exec, s[0:1]
	v_lshl_add_u64 v[2:3], v[2:3], 3, v[4:5]
	s_cbranch_vccnz .LBB505_29
; %bb.28:
	flat_load_dwordx2 v[4:5], v[2:3]
	s_mov_b32 s0, s7
	v_mov_b32_e32 v1, v7
	s_waitcnt vmcnt(0) lgkmcnt(0)
	v_pk_mul_f32 v[6:7], v[4:5], s[0:1] op_sel:[1,0] op_sel_hi:[0,0]
	v_pk_fma_f32 v[8:9], v[4:5], s[6:7], v[6:7] neg_lo:[0,0,1] neg_hi:[0,0,1]
	v_pk_fma_f32 v[4:5], v[4:5], s[6:7], v[6:7] op_sel_hi:[1,0,1]
	s_nop 0
	v_mov_b32_e32 v9, v5
	v_pk_add_f32 v[0:1], v[0:1], v[8:9]
	s_nop 0
	v_mov_b32_e32 v7, v1
.LBB505_29:
	v_mov_b32_e32 v1, v7
	flat_store_dwordx2 v[2:3], v[0:1]
.LBB505_30:
	s_endpgm
	.section	.rodata,"a",@progbits
	.p2align	6, 0x0
	.amdhsa_kernel _ZL29rocblas_internal_gemmt_kernelIlLi16ELi32ELi8ELc78ELc84ELc85ELb0ELb0E19rocblas_complex_numIfEPKS1_PKS3_PKPS1_EviT_T9_T10_S9_lSB_S9_lSA_T11_S9_li
		.amdhsa_group_segment_fixed_size 4096
		.amdhsa_private_segment_fixed_size 0
		.amdhsa_kernarg_size 108
		.amdhsa_user_sgpr_count 2
		.amdhsa_user_sgpr_dispatch_ptr 0
		.amdhsa_user_sgpr_queue_ptr 0
		.amdhsa_user_sgpr_kernarg_segment_ptr 1
		.amdhsa_user_sgpr_dispatch_id 0
		.amdhsa_user_sgpr_kernarg_preload_length 0
		.amdhsa_user_sgpr_kernarg_preload_offset 0
		.amdhsa_user_sgpr_private_segment_size 0
		.amdhsa_uses_dynamic_stack 0
		.amdhsa_enable_private_segment 0
		.amdhsa_system_sgpr_workgroup_id_x 1
		.amdhsa_system_sgpr_workgroup_id_y 1
		.amdhsa_system_sgpr_workgroup_id_z 1
		.amdhsa_system_sgpr_workgroup_info 0
		.amdhsa_system_vgpr_workitem_id 1
		.amdhsa_next_free_vgpr 51
		.amdhsa_next_free_sgpr 40
		.amdhsa_accum_offset 52
		.amdhsa_reserve_vcc 1
		.amdhsa_float_round_mode_32 0
		.amdhsa_float_round_mode_16_64 0
		.amdhsa_float_denorm_mode_32 3
		.amdhsa_float_denorm_mode_16_64 3
		.amdhsa_dx10_clamp 1
		.amdhsa_ieee_mode 1
		.amdhsa_fp16_overflow 0
		.amdhsa_tg_split 0
		.amdhsa_exception_fp_ieee_invalid_op 0
		.amdhsa_exception_fp_denorm_src 0
		.amdhsa_exception_fp_ieee_div_zero 0
		.amdhsa_exception_fp_ieee_overflow 0
		.amdhsa_exception_fp_ieee_underflow 0
		.amdhsa_exception_fp_ieee_inexact 0
		.amdhsa_exception_int_div_zero 0
	.end_amdhsa_kernel
	.section	.text._ZL29rocblas_internal_gemmt_kernelIlLi16ELi32ELi8ELc78ELc84ELc85ELb0ELb0E19rocblas_complex_numIfEPKS1_PKS3_PKPS1_EviT_T9_T10_S9_lSB_S9_lSA_T11_S9_li,"axG",@progbits,_ZL29rocblas_internal_gemmt_kernelIlLi16ELi32ELi8ELc78ELc84ELc85ELb0ELb0E19rocblas_complex_numIfEPKS1_PKS3_PKPS1_EviT_T9_T10_S9_lSB_S9_lSA_T11_S9_li,comdat
.Lfunc_end505:
	.size	_ZL29rocblas_internal_gemmt_kernelIlLi16ELi32ELi8ELc78ELc84ELc85ELb0ELb0E19rocblas_complex_numIfEPKS1_PKS3_PKPS1_EviT_T9_T10_S9_lSB_S9_lSA_T11_S9_li, .Lfunc_end505-_ZL29rocblas_internal_gemmt_kernelIlLi16ELi32ELi8ELc78ELc84ELc85ELb0ELb0E19rocblas_complex_numIfEPKS1_PKS3_PKPS1_EviT_T9_T10_S9_lSB_S9_lSA_T11_S9_li
                                        ; -- End function
	.set _ZL29rocblas_internal_gemmt_kernelIlLi16ELi32ELi8ELc78ELc84ELc85ELb0ELb0E19rocblas_complex_numIfEPKS1_PKS3_PKPS1_EviT_T9_T10_S9_lSB_S9_lSA_T11_S9_li.num_vgpr, 51
	.set _ZL29rocblas_internal_gemmt_kernelIlLi16ELi32ELi8ELc78ELc84ELc85ELb0ELb0E19rocblas_complex_numIfEPKS1_PKS3_PKPS1_EviT_T9_T10_S9_lSB_S9_lSA_T11_S9_li.num_agpr, 0
	.set _ZL29rocblas_internal_gemmt_kernelIlLi16ELi32ELi8ELc78ELc84ELc85ELb0ELb0E19rocblas_complex_numIfEPKS1_PKS3_PKPS1_EviT_T9_T10_S9_lSB_S9_lSA_T11_S9_li.numbered_sgpr, 40
	.set _ZL29rocblas_internal_gemmt_kernelIlLi16ELi32ELi8ELc78ELc84ELc85ELb0ELb0E19rocblas_complex_numIfEPKS1_PKS3_PKPS1_EviT_T9_T10_S9_lSB_S9_lSA_T11_S9_li.num_named_barrier, 0
	.set _ZL29rocblas_internal_gemmt_kernelIlLi16ELi32ELi8ELc78ELc84ELc85ELb0ELb0E19rocblas_complex_numIfEPKS1_PKS3_PKPS1_EviT_T9_T10_S9_lSB_S9_lSA_T11_S9_li.private_seg_size, 0
	.set _ZL29rocblas_internal_gemmt_kernelIlLi16ELi32ELi8ELc78ELc84ELc85ELb0ELb0E19rocblas_complex_numIfEPKS1_PKS3_PKPS1_EviT_T9_T10_S9_lSB_S9_lSA_T11_S9_li.uses_vcc, 1
	.set _ZL29rocblas_internal_gemmt_kernelIlLi16ELi32ELi8ELc78ELc84ELc85ELb0ELb0E19rocblas_complex_numIfEPKS1_PKS3_PKPS1_EviT_T9_T10_S9_lSB_S9_lSA_T11_S9_li.uses_flat_scratch, 0
	.set _ZL29rocblas_internal_gemmt_kernelIlLi16ELi32ELi8ELc78ELc84ELc85ELb0ELb0E19rocblas_complex_numIfEPKS1_PKS3_PKPS1_EviT_T9_T10_S9_lSB_S9_lSA_T11_S9_li.has_dyn_sized_stack, 0
	.set _ZL29rocblas_internal_gemmt_kernelIlLi16ELi32ELi8ELc78ELc84ELc85ELb0ELb0E19rocblas_complex_numIfEPKS1_PKS3_PKPS1_EviT_T9_T10_S9_lSB_S9_lSA_T11_S9_li.has_recursion, 0
	.set _ZL29rocblas_internal_gemmt_kernelIlLi16ELi32ELi8ELc78ELc84ELc85ELb0ELb0E19rocblas_complex_numIfEPKS1_PKS3_PKPS1_EviT_T9_T10_S9_lSB_S9_lSA_T11_S9_li.has_indirect_call, 0
	.section	.AMDGPU.csdata,"",@progbits
; Kernel info:
; codeLenInByte = 2512
; TotalNumSgprs: 46
; NumVgprs: 51
; NumAgprs: 0
; TotalNumVgprs: 51
; ScratchSize: 0
; MemoryBound: 0
; FloatMode: 240
; IeeeMode: 1
; LDSByteSize: 4096 bytes/workgroup (compile time only)
; SGPRBlocks: 5
; VGPRBlocks: 6
; NumSGPRsForWavesPerEU: 46
; NumVGPRsForWavesPerEU: 51
; AccumOffset: 52
; Occupancy: 8
; WaveLimiterHint : 1
; COMPUTE_PGM_RSRC2:SCRATCH_EN: 0
; COMPUTE_PGM_RSRC2:USER_SGPR: 2
; COMPUTE_PGM_RSRC2:TRAP_HANDLER: 0
; COMPUTE_PGM_RSRC2:TGID_X_EN: 1
; COMPUTE_PGM_RSRC2:TGID_Y_EN: 1
; COMPUTE_PGM_RSRC2:TGID_Z_EN: 1
; COMPUTE_PGM_RSRC2:TIDIG_COMP_CNT: 1
; COMPUTE_PGM_RSRC3_GFX90A:ACCUM_OFFSET: 12
; COMPUTE_PGM_RSRC3_GFX90A:TG_SPLIT: 0
	.section	.text._ZL29rocblas_internal_gemmt_kernelIlLi16ELi32ELi8ELc78ELc67ELc85ELb0ELb1E19rocblas_complex_numIfEPKS1_PKS3_PKPS1_EviT_T9_T10_S9_lSB_S9_lSA_T11_S9_li,"axG",@progbits,_ZL29rocblas_internal_gemmt_kernelIlLi16ELi32ELi8ELc78ELc67ELc85ELb0ELb1E19rocblas_complex_numIfEPKS1_PKS3_PKPS1_EviT_T9_T10_S9_lSB_S9_lSA_T11_S9_li,comdat
	.globl	_ZL29rocblas_internal_gemmt_kernelIlLi16ELi32ELi8ELc78ELc67ELc85ELb0ELb1E19rocblas_complex_numIfEPKS1_PKS3_PKPS1_EviT_T9_T10_S9_lSB_S9_lSA_T11_S9_li ; -- Begin function _ZL29rocblas_internal_gemmt_kernelIlLi16ELi32ELi8ELc78ELc67ELc85ELb0ELb1E19rocblas_complex_numIfEPKS1_PKS3_PKPS1_EviT_T9_T10_S9_lSB_S9_lSA_T11_S9_li
	.p2align	8
	.type	_ZL29rocblas_internal_gemmt_kernelIlLi16ELi32ELi8ELc78ELc67ELc85ELb0ELb1E19rocblas_complex_numIfEPKS1_PKS3_PKPS1_EviT_T9_T10_S9_lSB_S9_lSA_T11_S9_li,@function
_ZL29rocblas_internal_gemmt_kernelIlLi16ELi32ELi8ELc78ELc67ELc85ELb0ELb1E19rocblas_complex_numIfEPKS1_PKS3_PKPS1_EviT_T9_T10_S9_lSB_S9_lSA_T11_S9_li: ; @_ZL29rocblas_internal_gemmt_kernelIlLi16ELi32ELi8ELc78ELc67ELc85ELb0ELb1E19rocblas_complex_numIfEPKS1_PKS3_PKPS1_EviT_T9_T10_S9_lSB_S9_lSA_T11_S9_li
; %bb.0:
	s_load_dwordx8 s[24:31], s[0:1], 0x48
	s_load_dwordx16 s[8:23], s[0:1], 0x8
	s_waitcnt lgkmcnt(0)
	s_load_dwordx2 s[6:7], s[24:25], 0x0
	s_load_dwordx2 s[34:35], s[10:11], 0x0
	s_waitcnt lgkmcnt(0)
	s_and_b32 s5, s7, 0x7fffffff
	s_cmp_eq_u32 s5, 0
	v_cmp_eq_f32_e64 s[24:25], s6, 1.0
	s_cselect_b64 s[10:11], -1, 0
	s_and_b64 s[24:25], s[24:25], s[10:11]
	s_and_b64 vcc, exec, s[24:25]
	s_cbranch_vccnz .LBB506_2
; %bb.1:
	s_mov_b64 s[24:25], -1
	s_cbranch_execz .LBB506_3
	s_branch .LBB506_4
.LBB506_2:
	s_mov_b64 s[24:25], 0
.LBB506_3:
	s_cmp_lg_u64 s[8:9], 0
	v_cmp_neq_f32_e64 s[36:37], s34, 0
	v_cmp_neq_f32_e64 s[38:39], s35, 0
	s_cselect_b64 s[24:25], -1, 0
	s_or_b64 s[36:37], s[36:37], s[38:39]
	s_and_b64 s[24:25], s[24:25], s[36:37]
.LBB506_4:
	s_andn2_b64 vcc, exec, s[24:25]
	s_cbranch_vccnz .LBB506_32
; %bb.5:
	s_mov_b32 s5, 0
	s_load_dword s24, s[0:1], 0x0
	s_lshl_b64 s[0:1], s[4:5], 3
	s_add_u32 s4, s26, s0
	s_addc_u32 s5, s27, s1
	s_load_dwordx2 s[4:5], s[4:5], 0x0
	s_lshl_b32 s25, s2, 5
	s_lshl_b32 s26, s3, 5
	v_cmp_eq_f32_e64 s[2:3], s34, 0
	v_cmp_eq_f32_e64 s[36:37], s35, 0
	s_and_b64 s[2:3], s[2:3], s[36:37]
	v_cmp_lt_i64_e64 s[36:37], s[8:9], 1
	s_or_b64 s[2:3], s[2:3], s[36:37]
	v_and_b32_e32 v9, 0x3ff, v0
	v_bfe_u32 v11, v0, 10, 10
	v_mov_b32_e32 v30, 0
	s_and_b64 vcc, exec, s[2:3]
	v_mov_b32_e32 v32, 0
	v_mov_b32_e32 v26, 0
	;; [unrolled: 1-line block ×7, first 2 shown]
	s_cbranch_vccnz .LBB506_16
; %bb.6:
	s_add_u32 s2, s18, s0
	s_addc_u32 s3, s19, s1
	s_load_dwordx2 s[2:3], s[2:3], 0x0
	s_lshl_b64 s[18:19], s[22:23], 3
	v_lshl_add_u32 v1, v11, 4, v9
	v_lshrrev_b32_e32 v10, 5, v1
	v_lshrrev_b32_e32 v4, 3, v1
	s_waitcnt lgkmcnt(0)
	s_add_u32 s2, s2, s18
	s_addc_u32 s3, s3, s19
	s_add_u32 s0, s12, s0
	s_addc_u32 s1, s13, s1
	s_load_dwordx2 s[0:1], s[0:1], 0x0
	v_and_b32_e32 v1, 31, v1
	v_and_b32_e32 v8, 7, v9
	v_or_b32_e32 v2, s25, v1
	v_lshlrev_b32_e32 v1, 3, v1
	v_lshl_or_b32 v19, v10, 8, v1
	v_lshlrev_b32_e32 v1, 3, v8
	v_add_u32_e32 v0, s26, v4
	s_lshl_b64 s[12:13], s[16:17], 3
	v_lshl_or_b32 v1, v4, 6, v1
	s_waitcnt lgkmcnt(0)
	s_add_u32 s12, s0, s12
	v_add_u32_e32 v21, 0x800, v1
	v_ashrrev_i32_e32 v1, 31, v0
	s_addc_u32 s13, s1, s13
	v_ashrrev_i32_e32 v3, 31, v2
	v_cmp_gt_i32_e32 vcc, s24, v0
	v_lshl_add_u64 v[14:15], v[0:1], 3, s[2:3]
	v_mov_b32_e32 v0, 0x800
	v_cmp_gt_i32_e64 s[0:1], s24, v2
	v_lshl_add_u64 v[12:13], v[2:3], 3, s[12:13]
	v_lshlrev_b32_e32 v23, 3, v9
	v_lshl_add_u32 v25, v11, 6, v0
	v_mov_b32_e32 v17, 0
	s_mov_b64 s[2:3], 0
	s_xor_b64 s[12:13], vcc, -1
	v_mov_b32_e32 v20, 0
	v_mov_b32_e32 v18, 0
	;; [unrolled: 1-line block ×8, first 2 shown]
	s_branch .LBB506_8
.LBB506_7:                              ;   in Loop: Header=BB506_8 Depth=1
	s_or_b64 exec, exec, s[16:17]
	ds_write_b32 v21, v0 offset:4
	s_waitcnt lgkmcnt(0)
	s_barrier
	ds_read2_b64 v[34:37], v23 offset1:16
	ds_read_b128 v[38:41], v25
	ds_read_b128 v[42:45], v25 offset:16
	ds_read_b128 v[4:7], v25 offset:32
	;; [unrolled: 1-line block ×3, first 2 shown]
	s_add_u32 s2, s2, 8
	s_waitcnt lgkmcnt(3)
	v_mul_f32_e32 v16, v39, v35
	v_mul_f32_e32 v27, v38, v35
	v_fma_f32 v16, v38, v34, -v16
	v_fmac_f32_e32 v27, v39, v34
	v_add_f32_e32 v16, v30, v16
	v_add_f32_e32 v50, v32, v27
	ds_read_b128 v[30:33], v25 offset:1024
	v_mul_f32_e32 v27, v39, v37
	v_mul_f32_e32 v29, v38, v37
	v_fma_f32 v27, v38, v36, -v27
	v_fmac_f32_e32 v29, v39, v36
	v_add_f32_e32 v38, v26, v27
	v_add_f32_e32 v39, v28, v29
	ds_read_b128 v[26:29], v25 offset:1040
	s_waitcnt lgkmcnt(1)
	v_mul_f32_e32 v46, v31, v35
	v_fma_f32 v46, v30, v34, -v46
	v_add_f32_e32 v22, v22, v46
	ds_read2_b64 v[46:49], v23 offset0:32 offset1:48
	v_mul_f32_e32 v35, v30, v35
	v_fmac_f32_e32 v35, v31, v34
	v_mul_f32_e32 v34, v31, v37
	v_fma_f32 v34, v30, v36, -v34
	v_mul_f32_e32 v30, v30, v37
	v_fmac_f32_e32 v30, v31, v36
	v_add_f32_e32 v20, v20, v30
	s_waitcnt lgkmcnt(0)
	v_mul_f32_e32 v30, v41, v47
	v_mul_f32_e32 v31, v40, v47
	v_fma_f32 v30, v40, v46, -v30
	v_fmac_f32_e32 v31, v41, v46
	v_add_f32_e32 v18, v18, v34
	v_add_f32_e32 v16, v16, v30
	;; [unrolled: 1-line block ×3, first 2 shown]
	v_mul_f32_e32 v31, v41, v49
	v_mul_f32_e32 v34, v40, v49
	v_fma_f32 v31, v40, v48, -v31
	v_fmac_f32_e32 v34, v41, v48
	v_add_f32_e32 v31, v38, v31
	v_add_f32_e32 v38, v39, v34
	v_mul_f32_e32 v34, v33, v47
	v_add_f32_e32 v24, v24, v35
	v_fma_f32 v34, v32, v46, -v34
	v_mul_f32_e32 v35, v32, v47
	v_fmac_f32_e32 v35, v33, v46
	v_add_f32_e32 v22, v22, v34
	v_mul_f32_e32 v34, v33, v49
	v_add_f32_e32 v24, v24, v35
	v_fma_f32 v39, v32, v48, -v34
	ds_read2_b64 v[34:37], v23 offset0:64 offset1:80
	v_mul_f32_e32 v32, v32, v49
	v_fmac_f32_e32 v32, v33, v48
	v_add_f32_e32 v18, v18, v39
	v_add_f32_e32 v20, v20, v32
	s_waitcnt lgkmcnt(0)
	v_mul_f32_e32 v33, v42, v35
	v_fmac_f32_e32 v33, v43, v34
	v_add_f32_e32 v39, v30, v33
	v_mul_f32_e32 v30, v43, v37
	v_mul_f32_e32 v32, v43, v35
	v_fma_f32 v30, v42, v36, -v30
	v_fma_f32 v32, v42, v34, -v32
	v_add_f32_e32 v40, v31, v30
	v_mul_f32_e32 v30, v27, v35
	v_add_f32_e32 v16, v16, v32
	v_mul_f32_e32 v32, v42, v37
	v_fma_f32 v30, v26, v34, -v30
	v_mul_f32_e32 v31, v26, v35
	v_fmac_f32_e32 v32, v43, v36
	v_fmac_f32_e32 v31, v27, v34
	v_add_f32_e32 v22, v22, v30
	v_mul_f32_e32 v30, v27, v37
	v_add_f32_e32 v38, v38, v32
	v_add_f32_e32 v24, v24, v31
	v_fma_f32 v34, v26, v36, -v30
	ds_read2_b64 v[30:33], v23 offset0:96 offset1:112
	v_mul_f32_e32 v26, v26, v37
	v_fmac_f32_e32 v26, v27, v36
	v_add_f32_e32 v20, v20, v26
	v_add_f32_e32 v18, v18, v34
	s_waitcnt lgkmcnt(0)
	v_mul_f32_e32 v26, v45, v31
	v_mul_f32_e32 v27, v44, v31
	v_fma_f32 v26, v44, v30, -v26
	v_fmac_f32_e32 v27, v45, v30
	v_add_f32_e32 v16, v16, v26
	v_add_f32_e32 v26, v39, v27
	v_mul_f32_e32 v27, v45, v33
	v_mul_f32_e32 v34, v44, v33
	v_fma_f32 v27, v44, v32, -v27
	v_fmac_f32_e32 v34, v45, v32
	v_add_f32_e32 v39, v40, v27
	v_add_f32_e32 v38, v38, v34
	v_mul_f32_e32 v27, v29, v31
	ds_read2_b64 v[34:37], v23 offset0:128 offset1:144
	v_fma_f32 v27, v28, v30, -v27
	v_add_f32_e32 v22, v22, v27
	v_mul_f32_e32 v27, v29, v33
	v_mul_f32_e32 v31, v28, v31
	v_fma_f32 v27, v28, v32, -v27
	v_mul_f32_e32 v28, v28, v33
	v_fmac_f32_e32 v28, v29, v32
	v_add_f32_e32 v20, v20, v28
	s_waitcnt lgkmcnt(0)
	v_mul_f32_e32 v28, v4, v35
	v_add_f32_e32 v18, v18, v27
	v_mul_f32_e32 v27, v5, v35
	v_fmac_f32_e32 v28, v5, v34
	v_fma_f32 v27, v4, v34, -v27
	v_add_f32_e32 v42, v26, v28
	v_mul_f32_e32 v26, v5, v37
	v_fmac_f32_e32 v31, v29, v30
	v_add_f32_e32 v16, v16, v27
	v_fma_f32 v30, v4, v36, -v26
	ds_read_b128 v[26:29], v25 offset:1056
	v_mul_f32_e32 v4, v4, v37
	v_fmac_f32_e32 v4, v5, v36
	v_add_f32_e32 v5, v39, v30
	v_add_f32_e32 v4, v38, v4
	ds_read_b128 v[38:41], v25 offset:1072
	s_waitcnt lgkmcnt(1)
	v_mul_f32_e32 v30, v27, v35
	v_add_f32_e32 v24, v24, v31
	v_fma_f32 v30, v26, v34, -v30
	v_mul_f32_e32 v31, v26, v35
	v_fmac_f32_e32 v31, v27, v34
	v_add_f32_e32 v22, v22, v30
	v_mul_f32_e32 v30, v27, v37
	v_add_f32_e32 v24, v24, v31
	v_fma_f32 v34, v26, v36, -v30
	ds_read2_b64 v[30:33], v23 offset0:160 offset1:176
	v_mul_f32_e32 v26, v26, v37
	v_fmac_f32_e32 v26, v27, v36
	v_add_f32_e32 v20, v20, v26
	v_add_f32_e32 v18, v18, v34
	s_waitcnt lgkmcnt(0)
	v_mul_f32_e32 v26, v7, v31
	v_mul_f32_e32 v27, v6, v31
	v_fma_f32 v26, v6, v30, -v26
	v_fmac_f32_e32 v27, v7, v30
	v_add_f32_e32 v16, v16, v26
	v_add_f32_e32 v26, v42, v27
	v_mul_f32_e32 v27, v7, v33
	v_fma_f32 v27, v6, v32, -v27
	v_mul_f32_e32 v6, v6, v33
	v_fmac_f32_e32 v6, v7, v32
	v_add_f32_e32 v34, v4, v6
	v_mul_f32_e32 v4, v29, v31
	v_add_f32_e32 v27, v5, v27
	v_fma_f32 v4, v28, v30, -v4
	v_mul_f32_e32 v5, v28, v31
	v_fmac_f32_e32 v5, v29, v30
	v_add_f32_e32 v22, v22, v4
	v_mul_f32_e32 v4, v29, v33
	v_add_f32_e32 v24, v24, v5
	v_fma_f32 v30, v28, v32, -v4
	ds_read2_b64 v[4:7], v23 offset0:192 offset1:208
	v_mul_f32_e32 v28, v28, v33
	v_fmac_f32_e32 v28, v29, v32
	v_add_f32_e32 v20, v20, v28
	v_add_f32_e32 v18, v18, v30
	s_waitcnt lgkmcnt(0)
	v_mul_f32_e32 v28, v1, v5
	v_fma_f32 v28, v0, v4, -v28
	v_add_f32_e32 v16, v16, v28
	v_mul_f32_e32 v28, v1, v7
	v_mul_f32_e32 v29, v0, v5
	v_fma_f32 v28, v0, v6, -v28
	v_mul_f32_e32 v0, v0, v7
	v_fmac_f32_e32 v0, v1, v6
	v_add_f32_e32 v0, v34, v0
	ds_read2_b64 v[34:37], v23 offset0:224 offset1:240
	v_fmac_f32_e32 v29, v1, v4
	v_add_f32_e32 v1, v27, v28
	v_mul_f32_e32 v27, v39, v5
	v_fma_f32 v27, v38, v4, -v27
	v_mul_f32_e32 v5, v38, v5
	v_fmac_f32_e32 v5, v39, v4
	v_add_f32_e32 v4, v22, v27
	v_mul_f32_e32 v22, v39, v7
	v_fma_f32 v22, v38, v6, -v22
	v_mul_f32_e32 v7, v38, v7
	v_fmac_f32_e32 v7, v39, v6
	v_add_f32_e32 v6, v18, v22
	s_waitcnt lgkmcnt(0)
	v_mul_f32_e32 v18, v3, v35
	v_fma_f32 v18, v2, v34, -v18
	v_add_f32_e32 v30, v16, v18
	v_mul_f32_e32 v16, v3, v37
	v_add_f32_e32 v7, v20, v7
	v_mul_f32_e32 v20, v2, v35
	v_fma_f32 v16, v2, v36, -v16
	v_mul_f32_e32 v2, v2, v37
	v_add_f32_e32 v26, v26, v29
	v_fmac_f32_e32 v20, v3, v34
	v_fmac_f32_e32 v2, v3, v36
	v_add_f32_e32 v32, v26, v20
	v_add_f32_e32 v26, v1, v16
	;; [unrolled: 1-line block ×3, first 2 shown]
	v_mul_f32_e32 v0, v41, v35
	v_mul_f32_e32 v1, v40, v35
	v_add_f32_e32 v5, v24, v5
	v_fma_f32 v0, v40, v34, -v0
	v_fmac_f32_e32 v1, v41, v34
	v_add_f32_e32 v22, v4, v0
	v_add_f32_e32 v24, v5, v1
	v_mul_f32_e32 v0, v41, v37
	v_mul_f32_e32 v1, v40, v37
	v_fma_f32 v0, v40, v36, -v0
	v_fmac_f32_e32 v1, v41, v36
	s_addc_u32 s3, s3, 0
	v_add_f32_e32 v18, v6, v0
	v_add_f32_e32 v20, v7, v1
	v_mov_b64_e32 v[0:1], s[2:3]
	v_cmp_gt_i64_e32 vcc, s[8:9], v[0:1]
	s_barrier
	s_cbranch_vccz .LBB506_16
.LBB506_8:                              ; =>This Inner Loop Header: Depth=1
	v_mov_b32_e32 v0, 0
	v_mov_b32_e32 v1, 0
	s_and_saveexec_b64 s[16:17], s[0:1]
	s_cbranch_execz .LBB506_12
; %bb.9:                                ;   in Loop: Header=BB506_8 Depth=1
	v_add_u32_e32 v16, s2, v10
	v_cmp_gt_u64_e32 vcc, s[8:9], v[16:17]
	v_mov_b32_e32 v1, 0
	v_mov_b32_e32 v0, 0
	s_and_saveexec_b64 s[18:19], vcc
	s_cbranch_execz .LBB506_11
; %bb.10:                               ;   in Loop: Header=BB506_8 Depth=1
	v_mad_u64_u32 v[0:1], s[22:23], s14, v16, 0
	v_mov_b32_e32 v2, v1
	v_mad_u64_u32 v[2:3], s[22:23], s15, v16, v[2:3]
	v_mov_b32_e32 v1, v2
	v_lshl_add_u64 v[0:1], v[0:1], 3, v[12:13]
	flat_load_dwordx2 v[0:1], v[0:1]
.LBB506_11:                             ;   in Loop: Header=BB506_8 Depth=1
	s_or_b64 exec, exec, s[18:19]
.LBB506_12:                             ;   in Loop: Header=BB506_8 Depth=1
	s_or_b64 exec, exec, s[16:17]
	v_add_u32_e32 v16, s2, v8
	v_cmp_le_u64_e32 vcc, s[8:9], v[16:17]
	s_or_b64 s[16:17], vcc, s[12:13]
	s_waitcnt vmcnt(0) lgkmcnt(0)
	ds_write_b64 v19, v[0:1]
	s_and_saveexec_b64 s[18:19], s[16:17]
	s_xor_b64 s[16:17], exec, s[18:19]
; %bb.13:                               ;   in Loop: Header=BB506_8 Depth=1
	ds_write_b32 v21, v17
; %bb.14:                               ;   in Loop: Header=BB506_8 Depth=1
	s_or_saveexec_b64 s[16:17], s[16:17]
	v_mov_b32_e32 v0, 0
	s_xor_b64 exec, exec, s[16:17]
	s_cbranch_execz .LBB506_7
; %bb.15:                               ;   in Loop: Header=BB506_8 Depth=1
	v_mad_u64_u32 v[0:1], s[18:19], s20, v16, 0
	v_mov_b32_e32 v2, v1
	v_mad_u64_u32 v[2:3], s[18:19], s21, v16, v[2:3]
	v_mov_b32_e32 v1, v2
	v_lshl_add_u64 v[0:1], v[0:1], 3, v[14:15]
	flat_load_dwordx2 v[2:3], v[0:1]
	s_waitcnt vmcnt(0) lgkmcnt(0)
	v_xor_b32_e32 v0, 0x80000000, v3
	ds_write_b32 v21, v2
	s_branch .LBB506_7
.LBB506_16:
	s_lshl_b64 s[0:1], s[30:31], 3
	v_add_u32_e32 v10, s26, v11
	s_waitcnt lgkmcnt(0)
	s_add_u32 s4, s4, s0
	v_ashrrev_i32_e32 v1, 31, v10
	s_addc_u32 s5, s5, s1
	v_cmp_neq_f32_e64 s[0:1], s6, 0
	s_xor_b64 s[8:9], s[10:11], -1
	v_mul_lo_u32 v1, s28, v1
	v_mul_lo_u32 v4, s29, v10
	v_mad_u64_u32 v[2:3], s[10:11], s28, v10, 0
	v_add_u32_e32 v0, s25, v9
	v_add3_u32 v3, v3, v1, v4
	s_or_b64 s[0:1], s[0:1], s[8:9]
	v_cmp_gt_i32_e64 s[2:3], s24, v10
	v_lshl_add_u64 v[4:5], v[2:3], 3, s[4:5]
	v_cmp_le_i32_e32 vcc, v0, v10
	v_cndmask_b32_e64 v2, 0, 1, s[0:1]
	s_and_b64 s[10:11], s[2:3], vcc
	v_ashrrev_i32_e32 v1, 31, v0
	v_cmp_ne_u32_e64 s[0:1], 1, v2
	s_and_saveexec_b64 s[8:9], s[10:11]
	s_cbranch_execz .LBB506_20
; %bb.17:
	v_pk_mul_f32 v[6:7], v[32:33], s[34:35] op_sel:[0,1] op_sel_hi:[0,0]
	v_pk_fma_f32 v[2:3], v[30:31], s[34:35], v[6:7] op_sel_hi:[0,1,1] neg_lo:[0,0,1] neg_hi:[0,0,1]
	v_pk_fma_f32 v[8:9], v[30:31], s[34:35], v[6:7] op_sel_hi:[0,1,1]
	s_and_b64 vcc, exec, s[0:1]
	v_lshl_add_u64 v[6:7], v[0:1], 3, v[4:5]
	s_cbranch_vccnz .LBB506_19
; %bb.18:
	flat_load_dwordx2 v[12:13], v[6:7]
	s_mov_b32 s10, s7
	v_mov_b32_e32 v3, v9
	s_waitcnt vmcnt(0) lgkmcnt(0)
	v_pk_mul_f32 v[8:9], v[12:13], s[10:11] op_sel:[1,0] op_sel_hi:[0,0]
	v_pk_fma_f32 v[14:15], v[12:13], s[6:7], v[8:9] neg_lo:[0,0,1] neg_hi:[0,0,1]
	v_pk_fma_f32 v[8:9], v[12:13], s[6:7], v[8:9] op_sel_hi:[1,0,1]
	s_nop 0
	v_mov_b32_e32 v15, v9
	v_pk_add_f32 v[2:3], v[2:3], v[14:15]
	s_nop 0
	v_mov_b32_e32 v9, v3
.LBB506_19:
	v_mov_b32_e32 v3, v9
	flat_store_dwordx2 v[6:7], v[2:3]
.LBB506_20:
	s_or_b64 exec, exec, s[8:9]
	v_add_u32_e32 v2, 16, v0
	v_cmp_le_i32_e32 vcc, v2, v10
	s_and_b64 s[8:9], s[2:3], vcc
	v_ashrrev_i32_e32 v3, 31, v2
	s_and_saveexec_b64 s[2:3], s[8:9]
	s_cbranch_execz .LBB506_24
; %bb.21:
	v_pk_mul_f32 v[8:9], v[28:29], s[34:35] op_sel:[0,1] op_sel_hi:[0,0]
	v_pk_fma_f32 v[6:7], v[26:27], s[34:35], v[8:9] op_sel_hi:[0,1,1] neg_lo:[0,0,1] neg_hi:[0,0,1]
	v_pk_fma_f32 v[8:9], v[26:27], s[34:35], v[8:9] op_sel_hi:[0,1,1]
	s_and_b64 vcc, exec, s[0:1]
	v_lshl_add_u64 v[4:5], v[2:3], 3, v[4:5]
	s_cbranch_vccnz .LBB506_23
; %bb.22:
	flat_load_dwordx2 v[12:13], v[4:5]
	s_mov_b32 s8, s7
	v_mov_b32_e32 v7, v9
	s_waitcnt vmcnt(0) lgkmcnt(0)
	v_pk_mul_f32 v[8:9], v[12:13], s[8:9] op_sel:[1,0] op_sel_hi:[0,0]
	v_pk_fma_f32 v[14:15], v[12:13], s[6:7], v[8:9] neg_lo:[0,0,1] neg_hi:[0,0,1]
	v_pk_fma_f32 v[8:9], v[12:13], s[6:7], v[8:9] op_sel_hi:[1,0,1]
	s_nop 0
	v_mov_b32_e32 v15, v9
	v_pk_add_f32 v[6:7], v[6:7], v[14:15]
	s_nop 0
	v_mov_b32_e32 v9, v7
.LBB506_23:
	v_mov_b32_e32 v7, v9
	flat_store_dwordx2 v[4:5], v[6:7]
.LBB506_24:
	s_or_b64 exec, exec, s[2:3]
	v_add_u32_e32 v10, 16, v10
	v_ashrrev_i32_e32 v4, 31, v10
	v_mul_lo_u32 v6, s28, v4
	v_mul_lo_u32 v7, s29, v10
	v_mad_u64_u32 v[4:5], s[8:9], s28, v10, 0
	v_cmp_gt_i32_e64 s[2:3], s24, v10
	v_add3_u32 v5, v5, v6, v7
	v_cmp_le_i32_e32 vcc, v0, v10
	v_lshl_add_u64 v[4:5], v[4:5], 3, s[4:5]
	s_and_b64 s[8:9], s[2:3], vcc
	s_and_saveexec_b64 s[4:5], s[8:9]
	s_cbranch_execz .LBB506_28
; %bb.25:
	v_pk_mul_f32 v[8:9], v[24:25], s[34:35] op_sel:[0,1] op_sel_hi:[0,0]
	v_pk_fma_f32 v[6:7], v[22:23], s[34:35], v[8:9] op_sel_hi:[0,1,1] neg_lo:[0,0,1] neg_hi:[0,0,1]
	v_pk_fma_f32 v[8:9], v[22:23], s[34:35], v[8:9] op_sel_hi:[0,1,1]
	s_and_b64 vcc, exec, s[0:1]
	v_lshl_add_u64 v[0:1], v[0:1], 3, v[4:5]
	s_cbranch_vccnz .LBB506_27
; %bb.26:
	flat_load_dwordx2 v[12:13], v[0:1]
	s_mov_b32 s8, s7
	v_mov_b32_e32 v7, v9
	s_waitcnt vmcnt(0) lgkmcnt(0)
	v_pk_mul_f32 v[8:9], v[12:13], s[8:9] op_sel:[1,0] op_sel_hi:[0,0]
	v_pk_fma_f32 v[14:15], v[12:13], s[6:7], v[8:9] neg_lo:[0,0,1] neg_hi:[0,0,1]
	v_pk_fma_f32 v[8:9], v[12:13], s[6:7], v[8:9] op_sel_hi:[1,0,1]
	s_nop 0
	v_mov_b32_e32 v15, v9
	v_pk_add_f32 v[6:7], v[6:7], v[14:15]
	s_nop 0
	v_mov_b32_e32 v9, v7
.LBB506_27:
	v_mov_b32_e32 v7, v9
	flat_store_dwordx2 v[0:1], v[6:7]
.LBB506_28:
	s_or_b64 exec, exec, s[4:5]
	v_cmp_le_i32_e32 vcc, v2, v10
	s_and_b64 s[2:3], s[2:3], vcc
	s_and_saveexec_b64 s[4:5], s[2:3]
	s_cbranch_execz .LBB506_32
; %bb.29:
	v_pk_mul_f32 v[6:7], v[20:21], s[34:35] op_sel:[0,1] op_sel_hi:[0,0]
	v_pk_fma_f32 v[0:1], v[18:19], s[34:35], v[6:7] op_sel_hi:[0,1,1] neg_lo:[0,0,1] neg_hi:[0,0,1]
	v_pk_fma_f32 v[6:7], v[18:19], s[34:35], v[6:7] op_sel_hi:[0,1,1]
	s_and_b64 vcc, exec, s[0:1]
	v_lshl_add_u64 v[2:3], v[2:3], 3, v[4:5]
	s_cbranch_vccnz .LBB506_31
; %bb.30:
	flat_load_dwordx2 v[4:5], v[2:3]
	s_mov_b32 s0, s7
	v_mov_b32_e32 v1, v7
	s_waitcnt vmcnt(0) lgkmcnt(0)
	v_pk_mul_f32 v[6:7], v[4:5], s[0:1] op_sel:[1,0] op_sel_hi:[0,0]
	v_pk_fma_f32 v[8:9], v[4:5], s[6:7], v[6:7] neg_lo:[0,0,1] neg_hi:[0,0,1]
	v_pk_fma_f32 v[4:5], v[4:5], s[6:7], v[6:7] op_sel_hi:[1,0,1]
	s_nop 0
	v_mov_b32_e32 v9, v5
	v_pk_add_f32 v[0:1], v[0:1], v[8:9]
	s_nop 0
	v_mov_b32_e32 v7, v1
.LBB506_31:
	v_mov_b32_e32 v1, v7
	flat_store_dwordx2 v[2:3], v[0:1]
.LBB506_32:
	s_endpgm
	.section	.rodata,"a",@progbits
	.p2align	6, 0x0
	.amdhsa_kernel _ZL29rocblas_internal_gemmt_kernelIlLi16ELi32ELi8ELc78ELc67ELc85ELb0ELb1E19rocblas_complex_numIfEPKS1_PKS3_PKPS1_EviT_T9_T10_S9_lSB_S9_lSA_T11_S9_li
		.amdhsa_group_segment_fixed_size 4096
		.amdhsa_private_segment_fixed_size 0
		.amdhsa_kernarg_size 108
		.amdhsa_user_sgpr_count 2
		.amdhsa_user_sgpr_dispatch_ptr 0
		.amdhsa_user_sgpr_queue_ptr 0
		.amdhsa_user_sgpr_kernarg_segment_ptr 1
		.amdhsa_user_sgpr_dispatch_id 0
		.amdhsa_user_sgpr_kernarg_preload_length 0
		.amdhsa_user_sgpr_kernarg_preload_offset 0
		.amdhsa_user_sgpr_private_segment_size 0
		.amdhsa_uses_dynamic_stack 0
		.amdhsa_enable_private_segment 0
		.amdhsa_system_sgpr_workgroup_id_x 1
		.amdhsa_system_sgpr_workgroup_id_y 1
		.amdhsa_system_sgpr_workgroup_id_z 1
		.amdhsa_system_sgpr_workgroup_info 0
		.amdhsa_system_vgpr_workitem_id 1
		.amdhsa_next_free_vgpr 51
		.amdhsa_next_free_sgpr 40
		.amdhsa_accum_offset 52
		.amdhsa_reserve_vcc 1
		.amdhsa_float_round_mode_32 0
		.amdhsa_float_round_mode_16_64 0
		.amdhsa_float_denorm_mode_32 3
		.amdhsa_float_denorm_mode_16_64 3
		.amdhsa_dx10_clamp 1
		.amdhsa_ieee_mode 1
		.amdhsa_fp16_overflow 0
		.amdhsa_tg_split 0
		.amdhsa_exception_fp_ieee_invalid_op 0
		.amdhsa_exception_fp_denorm_src 0
		.amdhsa_exception_fp_ieee_div_zero 0
		.amdhsa_exception_fp_ieee_overflow 0
		.amdhsa_exception_fp_ieee_underflow 0
		.amdhsa_exception_fp_ieee_inexact 0
		.amdhsa_exception_int_div_zero 0
	.end_amdhsa_kernel
	.section	.text._ZL29rocblas_internal_gemmt_kernelIlLi16ELi32ELi8ELc78ELc67ELc85ELb0ELb1E19rocblas_complex_numIfEPKS1_PKS3_PKPS1_EviT_T9_T10_S9_lSB_S9_lSA_T11_S9_li,"axG",@progbits,_ZL29rocblas_internal_gemmt_kernelIlLi16ELi32ELi8ELc78ELc67ELc85ELb0ELb1E19rocblas_complex_numIfEPKS1_PKS3_PKPS1_EviT_T9_T10_S9_lSB_S9_lSA_T11_S9_li,comdat
.Lfunc_end506:
	.size	_ZL29rocblas_internal_gemmt_kernelIlLi16ELi32ELi8ELc78ELc67ELc85ELb0ELb1E19rocblas_complex_numIfEPKS1_PKS3_PKPS1_EviT_T9_T10_S9_lSB_S9_lSA_T11_S9_li, .Lfunc_end506-_ZL29rocblas_internal_gemmt_kernelIlLi16ELi32ELi8ELc78ELc67ELc85ELb0ELb1E19rocblas_complex_numIfEPKS1_PKS3_PKPS1_EviT_T9_T10_S9_lSB_S9_lSA_T11_S9_li
                                        ; -- End function
	.set _ZL29rocblas_internal_gemmt_kernelIlLi16ELi32ELi8ELc78ELc67ELc85ELb0ELb1E19rocblas_complex_numIfEPKS1_PKS3_PKPS1_EviT_T9_T10_S9_lSB_S9_lSA_T11_S9_li.num_vgpr, 51
	.set _ZL29rocblas_internal_gemmt_kernelIlLi16ELi32ELi8ELc78ELc67ELc85ELb0ELb1E19rocblas_complex_numIfEPKS1_PKS3_PKPS1_EviT_T9_T10_S9_lSB_S9_lSA_T11_S9_li.num_agpr, 0
	.set _ZL29rocblas_internal_gemmt_kernelIlLi16ELi32ELi8ELc78ELc67ELc85ELb0ELb1E19rocblas_complex_numIfEPKS1_PKS3_PKPS1_EviT_T9_T10_S9_lSB_S9_lSA_T11_S9_li.numbered_sgpr, 40
	.set _ZL29rocblas_internal_gemmt_kernelIlLi16ELi32ELi8ELc78ELc67ELc85ELb0ELb1E19rocblas_complex_numIfEPKS1_PKS3_PKPS1_EviT_T9_T10_S9_lSB_S9_lSA_T11_S9_li.num_named_barrier, 0
	.set _ZL29rocblas_internal_gemmt_kernelIlLi16ELi32ELi8ELc78ELc67ELc85ELb0ELb1E19rocblas_complex_numIfEPKS1_PKS3_PKPS1_EviT_T9_T10_S9_lSB_S9_lSA_T11_S9_li.private_seg_size, 0
	.set _ZL29rocblas_internal_gemmt_kernelIlLi16ELi32ELi8ELc78ELc67ELc85ELb0ELb1E19rocblas_complex_numIfEPKS1_PKS3_PKPS1_EviT_T9_T10_S9_lSB_S9_lSA_T11_S9_li.uses_vcc, 1
	.set _ZL29rocblas_internal_gemmt_kernelIlLi16ELi32ELi8ELc78ELc67ELc85ELb0ELb1E19rocblas_complex_numIfEPKS1_PKS3_PKPS1_EviT_T9_T10_S9_lSB_S9_lSA_T11_S9_li.uses_flat_scratch, 0
	.set _ZL29rocblas_internal_gemmt_kernelIlLi16ELi32ELi8ELc78ELc67ELc85ELb0ELb1E19rocblas_complex_numIfEPKS1_PKS3_PKPS1_EviT_T9_T10_S9_lSB_S9_lSA_T11_S9_li.has_dyn_sized_stack, 0
	.set _ZL29rocblas_internal_gemmt_kernelIlLi16ELi32ELi8ELc78ELc67ELc85ELb0ELb1E19rocblas_complex_numIfEPKS1_PKS3_PKPS1_EviT_T9_T10_S9_lSB_S9_lSA_T11_S9_li.has_recursion, 0
	.set _ZL29rocblas_internal_gemmt_kernelIlLi16ELi32ELi8ELc78ELc67ELc85ELb0ELb1E19rocblas_complex_numIfEPKS1_PKS3_PKPS1_EviT_T9_T10_S9_lSB_S9_lSA_T11_S9_li.has_indirect_call, 0
	.section	.AMDGPU.csdata,"",@progbits
; Kernel info:
; codeLenInByte = 2544
; TotalNumSgprs: 46
; NumVgprs: 51
; NumAgprs: 0
; TotalNumVgprs: 51
; ScratchSize: 0
; MemoryBound: 0
; FloatMode: 240
; IeeeMode: 1
; LDSByteSize: 4096 bytes/workgroup (compile time only)
; SGPRBlocks: 5
; VGPRBlocks: 6
; NumSGPRsForWavesPerEU: 46
; NumVGPRsForWavesPerEU: 51
; AccumOffset: 52
; Occupancy: 8
; WaveLimiterHint : 1
; COMPUTE_PGM_RSRC2:SCRATCH_EN: 0
; COMPUTE_PGM_RSRC2:USER_SGPR: 2
; COMPUTE_PGM_RSRC2:TRAP_HANDLER: 0
; COMPUTE_PGM_RSRC2:TGID_X_EN: 1
; COMPUTE_PGM_RSRC2:TGID_Y_EN: 1
; COMPUTE_PGM_RSRC2:TGID_Z_EN: 1
; COMPUTE_PGM_RSRC2:TIDIG_COMP_CNT: 1
; COMPUTE_PGM_RSRC3_GFX90A:ACCUM_OFFSET: 12
; COMPUTE_PGM_RSRC3_GFX90A:TG_SPLIT: 0
	.section	.text._ZL29rocblas_internal_gemmt_kernelIlLi16ELi32ELi8ELc84ELc78ELc85ELb0ELb0E19rocblas_complex_numIfEPKS1_PKS3_PKPS1_EviT_T9_T10_S9_lSB_S9_lSA_T11_S9_li,"axG",@progbits,_ZL29rocblas_internal_gemmt_kernelIlLi16ELi32ELi8ELc84ELc78ELc85ELb0ELb0E19rocblas_complex_numIfEPKS1_PKS3_PKPS1_EviT_T9_T10_S9_lSB_S9_lSA_T11_S9_li,comdat
	.globl	_ZL29rocblas_internal_gemmt_kernelIlLi16ELi32ELi8ELc84ELc78ELc85ELb0ELb0E19rocblas_complex_numIfEPKS1_PKS3_PKPS1_EviT_T9_T10_S9_lSB_S9_lSA_T11_S9_li ; -- Begin function _ZL29rocblas_internal_gemmt_kernelIlLi16ELi32ELi8ELc84ELc78ELc85ELb0ELb0E19rocblas_complex_numIfEPKS1_PKS3_PKPS1_EviT_T9_T10_S9_lSB_S9_lSA_T11_S9_li
	.p2align	8
	.type	_ZL29rocblas_internal_gemmt_kernelIlLi16ELi32ELi8ELc84ELc78ELc85ELb0ELb0E19rocblas_complex_numIfEPKS1_PKS3_PKPS1_EviT_T9_T10_S9_lSB_S9_lSA_T11_S9_li,@function
_ZL29rocblas_internal_gemmt_kernelIlLi16ELi32ELi8ELc84ELc78ELc85ELb0ELb0E19rocblas_complex_numIfEPKS1_PKS3_PKPS1_EviT_T9_T10_S9_lSB_S9_lSA_T11_S9_li: ; @_ZL29rocblas_internal_gemmt_kernelIlLi16ELi32ELi8ELc84ELc78ELc85ELb0ELb0E19rocblas_complex_numIfEPKS1_PKS3_PKPS1_EviT_T9_T10_S9_lSB_S9_lSA_T11_S9_li
; %bb.0:
	s_load_dwordx8 s[24:31], s[0:1], 0x48
	s_load_dwordx16 s[8:23], s[0:1], 0x8
	s_waitcnt lgkmcnt(0)
	s_load_dwordx2 s[6:7], s[24:25], 0x0
	s_load_dwordx2 s[34:35], s[10:11], 0x0
	s_waitcnt lgkmcnt(0)
	s_and_b32 s5, s7, 0x7fffffff
	s_cmp_eq_u32 s5, 0
	v_cmp_eq_f32_e64 s[24:25], s6, 1.0
	s_cselect_b64 s[10:11], -1, 0
	s_and_b64 s[24:25], s[24:25], s[10:11]
	s_and_b64 vcc, exec, s[24:25]
	s_cbranch_vccnz .LBB507_2
; %bb.1:
	s_mov_b64 s[24:25], -1
	s_cbranch_execz .LBB507_3
	s_branch .LBB507_4
.LBB507_2:
	s_mov_b64 s[24:25], 0
.LBB507_3:
	s_cmp_lg_u64 s[8:9], 0
	v_cmp_neq_f32_e64 s[36:37], s34, 0
	v_cmp_neq_f32_e64 s[38:39], s35, 0
	s_cselect_b64 s[24:25], -1, 0
	s_or_b64 s[36:37], s[36:37], s[38:39]
	s_and_b64 s[24:25], s[24:25], s[36:37]
.LBB507_4:
	s_andn2_b64 vcc, exec, s[24:25]
	s_cbranch_vccnz .LBB507_30
; %bb.5:
	s_mov_b32 s5, 0
	s_load_dword s24, s[0:1], 0x0
	s_lshl_b64 s[0:1], s[4:5], 3
	s_add_u32 s4, s26, s0
	s_addc_u32 s5, s27, s1
	s_load_dwordx2 s[4:5], s[4:5], 0x0
	s_lshl_b32 s25, s2, 5
	s_lshl_b32 s26, s3, 5
	v_cmp_eq_f32_e64 s[2:3], s34, 0
	v_cmp_eq_f32_e64 s[36:37], s35, 0
	s_and_b64 s[2:3], s[2:3], s[36:37]
	v_cmp_lt_i64_e64 s[36:37], s[8:9], 1
	s_or_b64 s[2:3], s[2:3], s[36:37]
	v_and_b32_e32 v9, 0x3ff, v0
	v_bfe_u32 v11, v0, 10, 10
	v_mov_b32_e32 v30, 0
	s_and_b64 vcc, exec, s[2:3]
	v_mov_b32_e32 v32, 0
	v_mov_b32_e32 v26, 0
	v_mov_b32_e32 v28, 0
	v_mov_b32_e32 v22, 0
	v_mov_b32_e32 v24, 0
	v_mov_b32_e32 v18, 0
	v_mov_b32_e32 v20, 0
	s_cbranch_vccnz .LBB507_14
; %bb.6:
	s_add_u32 s2, s18, s0
	s_addc_u32 s3, s19, s1
	s_load_dwordx2 s[2:3], s[2:3], 0x0
	s_lshl_b64 s[18:19], s[22:23], 3
	v_lshl_add_u32 v0, v11, 4, v9
	v_lshrrev_b32_e32 v10, 5, v0
	v_lshrrev_b32_e32 v2, 3, v0
	s_waitcnt lgkmcnt(0)
	s_add_u32 s18, s2, s18
	s_addc_u32 s19, s3, s19
	s_add_u32 s0, s12, s0
	s_addc_u32 s1, s13, s1
	s_load_dwordx2 s[0:1], s[0:1], 0x0
	v_and_b32_e32 v0, 31, v0
	s_lshl_b64 s[2:3], s[16:17], 3
	v_or_b32_e32 v1, s25, v0
	v_lshlrev_b32_e32 v0, 3, v0
	s_waitcnt lgkmcnt(0)
	s_add_u32 s2, s0, s2
	s_addc_u32 s3, s1, s3
	v_cmp_gt_i32_e64 s[0:1], s24, v1
	v_lshl_or_b32 v19, v10, 8, v0
	s_ashr_i32 s16, s25, 31
	v_mul_lo_u32 v4, s15, v1
	v_mad_u64_u32 v[0:1], s[12:13], s14, v1, 0
	s_mul_i32 s12, s14, s16
	v_and_b32_e32 v8, 7, v9
	v_add3_u32 v1, v1, s12, v4
	v_lshl_add_u64 v[12:13], v[0:1], 3, s[2:3]
	v_lshlrev_b32_e32 v0, 3, v8
	v_add_u32_e32 v3, s26, v2
	v_lshl_or_b32 v0, v2, 6, v0
	v_add_u32_e32 v21, 0x800, v0
	v_ashrrev_i32_e32 v0, 31, v3
	v_mul_lo_u32 v2, s20, v0
	v_mul_lo_u32 v4, s21, v3
	v_mad_u64_u32 v[0:1], s[12:13], s20, v3, 0
	v_add3_u32 v1, v1, v2, v4
	v_lshl_add_u64 v[14:15], v[0:1], 3, s[18:19]
	v_mov_b32_e32 v0, 0x800
	v_cmp_gt_i32_e64 s[2:3], s24, v3
	v_lshlrev_b32_e32 v23, 3, v9
	v_lshl_add_u32 v25, v11, 6, v0
	v_mov_b32_e32 v17, 0
	s_mov_b64 s[12:13], 0
	v_mov_b32_e32 v20, 0
	v_mov_b32_e32 v18, 0
	;; [unrolled: 1-line block ×8, first 2 shown]
	s_branch .LBB507_8
.LBB507_7:                              ;   in Loop: Header=BB507_8 Depth=1
	s_or_b64 exec, exec, s[14:15]
	s_waitcnt vmcnt(0) lgkmcnt(0)
	ds_write_b64 v21, v[0:1]
	s_waitcnt lgkmcnt(0)
	s_barrier
	ds_read2_b64 v[34:37], v23 offset1:16
	ds_read_b128 v[38:41], v25
	ds_read_b128 v[42:45], v25 offset:16
	ds_read_b128 v[4:7], v25 offset:32
	;; [unrolled: 1-line block ×3, first 2 shown]
	s_add_u32 s12, s12, 8
	s_waitcnt lgkmcnt(3)
	v_mul_f32_e32 v16, v39, v35
	v_mul_f32_e32 v27, v38, v35
	v_fma_f32 v16, v38, v34, -v16
	v_fmac_f32_e32 v27, v39, v34
	v_add_f32_e32 v16, v30, v16
	v_add_f32_e32 v50, v32, v27
	ds_read_b128 v[30:33], v25 offset:1024
	v_mul_f32_e32 v27, v39, v37
	v_mul_f32_e32 v29, v38, v37
	v_fma_f32 v27, v38, v36, -v27
	v_fmac_f32_e32 v29, v39, v36
	v_add_f32_e32 v38, v26, v27
	v_add_f32_e32 v39, v28, v29
	ds_read_b128 v[26:29], v25 offset:1040
	s_waitcnt lgkmcnt(1)
	v_mul_f32_e32 v46, v31, v35
	v_fma_f32 v46, v30, v34, -v46
	v_add_f32_e32 v22, v22, v46
	ds_read2_b64 v[46:49], v23 offset0:32 offset1:48
	v_mul_f32_e32 v35, v30, v35
	v_fmac_f32_e32 v35, v31, v34
	v_mul_f32_e32 v34, v31, v37
	v_fma_f32 v34, v30, v36, -v34
	v_mul_f32_e32 v30, v30, v37
	v_fmac_f32_e32 v30, v31, v36
	v_add_f32_e32 v20, v20, v30
	s_waitcnt lgkmcnt(0)
	v_mul_f32_e32 v30, v41, v47
	v_mul_f32_e32 v31, v40, v47
	v_fma_f32 v30, v40, v46, -v30
	v_fmac_f32_e32 v31, v41, v46
	v_add_f32_e32 v18, v18, v34
	v_add_f32_e32 v16, v16, v30
	;; [unrolled: 1-line block ×3, first 2 shown]
	v_mul_f32_e32 v31, v41, v49
	v_mul_f32_e32 v34, v40, v49
	v_fma_f32 v31, v40, v48, -v31
	v_fmac_f32_e32 v34, v41, v48
	v_add_f32_e32 v31, v38, v31
	v_add_f32_e32 v38, v39, v34
	v_mul_f32_e32 v34, v33, v47
	v_add_f32_e32 v24, v24, v35
	v_fma_f32 v34, v32, v46, -v34
	v_mul_f32_e32 v35, v32, v47
	v_fmac_f32_e32 v35, v33, v46
	v_add_f32_e32 v22, v22, v34
	v_mul_f32_e32 v34, v33, v49
	v_add_f32_e32 v24, v24, v35
	v_fma_f32 v39, v32, v48, -v34
	ds_read2_b64 v[34:37], v23 offset0:64 offset1:80
	v_mul_f32_e32 v32, v32, v49
	v_fmac_f32_e32 v32, v33, v48
	v_add_f32_e32 v18, v18, v39
	v_add_f32_e32 v20, v20, v32
	s_waitcnt lgkmcnt(0)
	v_mul_f32_e32 v33, v42, v35
	v_fmac_f32_e32 v33, v43, v34
	v_add_f32_e32 v39, v30, v33
	v_mul_f32_e32 v30, v43, v37
	v_mul_f32_e32 v32, v43, v35
	v_fma_f32 v30, v42, v36, -v30
	v_fma_f32 v32, v42, v34, -v32
	v_add_f32_e32 v40, v31, v30
	v_mul_f32_e32 v30, v27, v35
	v_add_f32_e32 v16, v16, v32
	v_mul_f32_e32 v32, v42, v37
	v_fma_f32 v30, v26, v34, -v30
	v_mul_f32_e32 v31, v26, v35
	v_fmac_f32_e32 v32, v43, v36
	v_fmac_f32_e32 v31, v27, v34
	v_add_f32_e32 v22, v22, v30
	v_mul_f32_e32 v30, v27, v37
	v_add_f32_e32 v38, v38, v32
	v_add_f32_e32 v24, v24, v31
	v_fma_f32 v34, v26, v36, -v30
	ds_read2_b64 v[30:33], v23 offset0:96 offset1:112
	v_mul_f32_e32 v26, v26, v37
	v_fmac_f32_e32 v26, v27, v36
	v_add_f32_e32 v20, v20, v26
	v_add_f32_e32 v18, v18, v34
	s_waitcnt lgkmcnt(0)
	v_mul_f32_e32 v26, v45, v31
	v_mul_f32_e32 v27, v44, v31
	v_fma_f32 v26, v44, v30, -v26
	v_fmac_f32_e32 v27, v45, v30
	v_add_f32_e32 v16, v16, v26
	v_add_f32_e32 v26, v39, v27
	v_mul_f32_e32 v27, v45, v33
	v_mul_f32_e32 v34, v44, v33
	v_fma_f32 v27, v44, v32, -v27
	v_fmac_f32_e32 v34, v45, v32
	v_add_f32_e32 v39, v40, v27
	v_add_f32_e32 v38, v38, v34
	v_mul_f32_e32 v27, v29, v31
	ds_read2_b64 v[34:37], v23 offset0:128 offset1:144
	v_fma_f32 v27, v28, v30, -v27
	v_add_f32_e32 v22, v22, v27
	v_mul_f32_e32 v27, v29, v33
	v_mul_f32_e32 v31, v28, v31
	v_fma_f32 v27, v28, v32, -v27
	v_mul_f32_e32 v28, v28, v33
	v_fmac_f32_e32 v28, v29, v32
	v_add_f32_e32 v20, v20, v28
	s_waitcnt lgkmcnt(0)
	v_mul_f32_e32 v28, v4, v35
	v_add_f32_e32 v18, v18, v27
	v_mul_f32_e32 v27, v5, v35
	v_fmac_f32_e32 v28, v5, v34
	v_fma_f32 v27, v4, v34, -v27
	v_add_f32_e32 v42, v26, v28
	v_mul_f32_e32 v26, v5, v37
	v_fmac_f32_e32 v31, v29, v30
	v_add_f32_e32 v16, v16, v27
	v_fma_f32 v30, v4, v36, -v26
	ds_read_b128 v[26:29], v25 offset:1056
	v_mul_f32_e32 v4, v4, v37
	v_fmac_f32_e32 v4, v5, v36
	v_add_f32_e32 v5, v39, v30
	v_add_f32_e32 v4, v38, v4
	ds_read_b128 v[38:41], v25 offset:1072
	s_waitcnt lgkmcnt(1)
	v_mul_f32_e32 v30, v27, v35
	v_add_f32_e32 v24, v24, v31
	v_fma_f32 v30, v26, v34, -v30
	v_mul_f32_e32 v31, v26, v35
	v_fmac_f32_e32 v31, v27, v34
	v_add_f32_e32 v22, v22, v30
	v_mul_f32_e32 v30, v27, v37
	v_add_f32_e32 v24, v24, v31
	v_fma_f32 v34, v26, v36, -v30
	ds_read2_b64 v[30:33], v23 offset0:160 offset1:176
	v_mul_f32_e32 v26, v26, v37
	v_fmac_f32_e32 v26, v27, v36
	v_add_f32_e32 v20, v20, v26
	v_add_f32_e32 v18, v18, v34
	s_waitcnt lgkmcnt(0)
	v_mul_f32_e32 v26, v7, v31
	v_mul_f32_e32 v27, v6, v31
	v_fma_f32 v26, v6, v30, -v26
	v_fmac_f32_e32 v27, v7, v30
	v_add_f32_e32 v16, v16, v26
	v_add_f32_e32 v26, v42, v27
	v_mul_f32_e32 v27, v7, v33
	v_fma_f32 v27, v6, v32, -v27
	v_mul_f32_e32 v6, v6, v33
	v_fmac_f32_e32 v6, v7, v32
	v_add_f32_e32 v34, v4, v6
	v_mul_f32_e32 v4, v29, v31
	v_add_f32_e32 v27, v5, v27
	v_fma_f32 v4, v28, v30, -v4
	v_mul_f32_e32 v5, v28, v31
	v_fmac_f32_e32 v5, v29, v30
	v_add_f32_e32 v22, v22, v4
	v_mul_f32_e32 v4, v29, v33
	v_add_f32_e32 v24, v24, v5
	v_fma_f32 v30, v28, v32, -v4
	ds_read2_b64 v[4:7], v23 offset0:192 offset1:208
	v_mul_f32_e32 v28, v28, v33
	v_fmac_f32_e32 v28, v29, v32
	v_add_f32_e32 v20, v20, v28
	v_add_f32_e32 v18, v18, v30
	s_waitcnt lgkmcnt(0)
	v_mul_f32_e32 v28, v1, v5
	v_fma_f32 v28, v0, v4, -v28
	v_add_f32_e32 v16, v16, v28
	v_mul_f32_e32 v28, v1, v7
	v_mul_f32_e32 v29, v0, v5
	v_fma_f32 v28, v0, v6, -v28
	v_mul_f32_e32 v0, v0, v7
	v_fmac_f32_e32 v0, v1, v6
	v_add_f32_e32 v0, v34, v0
	ds_read2_b64 v[34:37], v23 offset0:224 offset1:240
	v_fmac_f32_e32 v29, v1, v4
	v_add_f32_e32 v1, v27, v28
	v_mul_f32_e32 v27, v39, v5
	v_fma_f32 v27, v38, v4, -v27
	v_mul_f32_e32 v5, v38, v5
	v_fmac_f32_e32 v5, v39, v4
	v_add_f32_e32 v4, v22, v27
	v_mul_f32_e32 v22, v39, v7
	v_fma_f32 v22, v38, v6, -v22
	v_mul_f32_e32 v7, v38, v7
	v_fmac_f32_e32 v7, v39, v6
	v_add_f32_e32 v6, v18, v22
	s_waitcnt lgkmcnt(0)
	v_mul_f32_e32 v18, v3, v35
	v_fma_f32 v18, v2, v34, -v18
	v_add_f32_e32 v30, v16, v18
	v_mul_f32_e32 v16, v3, v37
	v_add_f32_e32 v7, v20, v7
	v_mul_f32_e32 v20, v2, v35
	v_fma_f32 v16, v2, v36, -v16
	v_mul_f32_e32 v2, v2, v37
	v_add_f32_e32 v26, v26, v29
	v_fmac_f32_e32 v20, v3, v34
	v_fmac_f32_e32 v2, v3, v36
	v_add_f32_e32 v32, v26, v20
	v_add_f32_e32 v26, v1, v16
	;; [unrolled: 1-line block ×3, first 2 shown]
	v_mul_f32_e32 v0, v41, v35
	v_mul_f32_e32 v1, v40, v35
	v_add_f32_e32 v5, v24, v5
	v_fma_f32 v0, v40, v34, -v0
	v_fmac_f32_e32 v1, v41, v34
	v_add_f32_e32 v22, v4, v0
	v_add_f32_e32 v24, v5, v1
	v_mul_f32_e32 v0, v41, v37
	v_mul_f32_e32 v1, v40, v37
	v_fma_f32 v0, v40, v36, -v0
	v_fmac_f32_e32 v1, v41, v36
	s_addc_u32 s13, s13, 0
	v_add_f32_e32 v18, v6, v0
	v_add_f32_e32 v20, v7, v1
	v_mov_b64_e32 v[0:1], s[12:13]
	v_cmp_gt_i64_e32 vcc, s[8:9], v[0:1]
	s_barrier
	s_cbranch_vccz .LBB507_14
.LBB507_8:                              ; =>This Inner Loop Header: Depth=1
	v_mov_b32_e32 v0, 0
	v_mov_b32_e32 v1, 0
	s_and_saveexec_b64 s[14:15], s[0:1]
	s_cbranch_execz .LBB507_12
; %bb.9:                                ;   in Loop: Header=BB507_8 Depth=1
	v_add_u32_e32 v16, s12, v10
	v_cmp_gt_u64_e32 vcc, s[8:9], v[16:17]
	v_mov_b32_e32 v1, 0
	v_mov_b32_e32 v0, 0
	s_and_saveexec_b64 s[16:17], vcc
	s_cbranch_execz .LBB507_11
; %bb.10:                               ;   in Loop: Header=BB507_8 Depth=1
	v_lshl_add_u64 v[0:1], v[16:17], 3, v[12:13]
	flat_load_dwordx2 v[0:1], v[0:1]
.LBB507_11:                             ;   in Loop: Header=BB507_8 Depth=1
	s_or_b64 exec, exec, s[16:17]
.LBB507_12:                             ;   in Loop: Header=BB507_8 Depth=1
	s_or_b64 exec, exec, s[14:15]
	v_add_u32_e32 v16, s12, v8
	v_cmp_gt_u64_e32 vcc, s[8:9], v[16:17]
	s_waitcnt vmcnt(0) lgkmcnt(0)
	ds_write_b64 v19, v[0:1]
	s_and_b64 s[16:17], vcc, s[2:3]
	v_mov_b32_e32 v0, 0
	v_mov_b32_e32 v1, 0
	s_and_saveexec_b64 s[14:15], s[16:17]
	s_cbranch_execz .LBB507_7
; %bb.13:                               ;   in Loop: Header=BB507_8 Depth=1
	v_lshl_add_u64 v[0:1], v[16:17], 3, v[14:15]
	flat_load_dwordx2 v[0:1], v[0:1]
	s_branch .LBB507_7
.LBB507_14:
	s_lshl_b64 s[0:1], s[30:31], 3
	v_add_u32_e32 v10, s26, v11
	s_waitcnt lgkmcnt(0)
	s_add_u32 s4, s4, s0
	v_ashrrev_i32_e32 v1, 31, v10
	s_addc_u32 s5, s5, s1
	v_cmp_neq_f32_e64 s[0:1], s6, 0
	s_xor_b64 s[8:9], s[10:11], -1
	v_mul_lo_u32 v1, s28, v1
	v_mul_lo_u32 v4, s29, v10
	v_mad_u64_u32 v[2:3], s[10:11], s28, v10, 0
	v_add_u32_e32 v0, s25, v9
	v_add3_u32 v3, v3, v1, v4
	s_or_b64 s[0:1], s[0:1], s[8:9]
	v_cmp_gt_i32_e64 s[2:3], s24, v10
	v_lshl_add_u64 v[4:5], v[2:3], 3, s[4:5]
	v_cmp_le_i32_e32 vcc, v0, v10
	v_cndmask_b32_e64 v2, 0, 1, s[0:1]
	s_and_b64 s[10:11], s[2:3], vcc
	v_ashrrev_i32_e32 v1, 31, v0
	v_cmp_ne_u32_e64 s[0:1], 1, v2
	s_and_saveexec_b64 s[8:9], s[10:11]
	s_cbranch_execz .LBB507_18
; %bb.15:
	v_pk_mul_f32 v[6:7], v[32:33], s[34:35] op_sel:[0,1] op_sel_hi:[0,0]
	v_pk_fma_f32 v[2:3], v[30:31], s[34:35], v[6:7] op_sel_hi:[0,1,1] neg_lo:[0,0,1] neg_hi:[0,0,1]
	v_pk_fma_f32 v[8:9], v[30:31], s[34:35], v[6:7] op_sel_hi:[0,1,1]
	s_and_b64 vcc, exec, s[0:1]
	v_lshl_add_u64 v[6:7], v[0:1], 3, v[4:5]
	s_cbranch_vccnz .LBB507_17
; %bb.16:
	flat_load_dwordx2 v[12:13], v[6:7]
	s_mov_b32 s10, s7
	v_mov_b32_e32 v3, v9
	s_waitcnt vmcnt(0) lgkmcnt(0)
	v_pk_mul_f32 v[8:9], v[12:13], s[10:11] op_sel:[1,0] op_sel_hi:[0,0]
	v_pk_fma_f32 v[14:15], v[12:13], s[6:7], v[8:9] neg_lo:[0,0,1] neg_hi:[0,0,1]
	v_pk_fma_f32 v[8:9], v[12:13], s[6:7], v[8:9] op_sel_hi:[1,0,1]
	s_nop 0
	v_mov_b32_e32 v15, v9
	v_pk_add_f32 v[2:3], v[2:3], v[14:15]
	s_nop 0
	v_mov_b32_e32 v9, v3
.LBB507_17:
	v_mov_b32_e32 v3, v9
	flat_store_dwordx2 v[6:7], v[2:3]
.LBB507_18:
	s_or_b64 exec, exec, s[8:9]
	v_add_u32_e32 v2, 16, v0
	v_cmp_le_i32_e32 vcc, v2, v10
	s_and_b64 s[8:9], s[2:3], vcc
	v_ashrrev_i32_e32 v3, 31, v2
	s_and_saveexec_b64 s[2:3], s[8:9]
	s_cbranch_execz .LBB507_22
; %bb.19:
	v_pk_mul_f32 v[8:9], v[28:29], s[34:35] op_sel:[0,1] op_sel_hi:[0,0]
	v_pk_fma_f32 v[6:7], v[26:27], s[34:35], v[8:9] op_sel_hi:[0,1,1] neg_lo:[0,0,1] neg_hi:[0,0,1]
	v_pk_fma_f32 v[8:9], v[26:27], s[34:35], v[8:9] op_sel_hi:[0,1,1]
	s_and_b64 vcc, exec, s[0:1]
	v_lshl_add_u64 v[4:5], v[2:3], 3, v[4:5]
	s_cbranch_vccnz .LBB507_21
; %bb.20:
	flat_load_dwordx2 v[12:13], v[4:5]
	s_mov_b32 s8, s7
	v_mov_b32_e32 v7, v9
	s_waitcnt vmcnt(0) lgkmcnt(0)
	v_pk_mul_f32 v[8:9], v[12:13], s[8:9] op_sel:[1,0] op_sel_hi:[0,0]
	v_pk_fma_f32 v[14:15], v[12:13], s[6:7], v[8:9] neg_lo:[0,0,1] neg_hi:[0,0,1]
	v_pk_fma_f32 v[8:9], v[12:13], s[6:7], v[8:9] op_sel_hi:[1,0,1]
	s_nop 0
	v_mov_b32_e32 v15, v9
	v_pk_add_f32 v[6:7], v[6:7], v[14:15]
	s_nop 0
	v_mov_b32_e32 v9, v7
.LBB507_21:
	v_mov_b32_e32 v7, v9
	flat_store_dwordx2 v[4:5], v[6:7]
.LBB507_22:
	s_or_b64 exec, exec, s[2:3]
	v_add_u32_e32 v10, 16, v10
	v_ashrrev_i32_e32 v4, 31, v10
	v_mul_lo_u32 v6, s28, v4
	v_mul_lo_u32 v7, s29, v10
	v_mad_u64_u32 v[4:5], s[8:9], s28, v10, 0
	v_cmp_gt_i32_e64 s[2:3], s24, v10
	v_add3_u32 v5, v5, v6, v7
	v_cmp_le_i32_e32 vcc, v0, v10
	v_lshl_add_u64 v[4:5], v[4:5], 3, s[4:5]
	s_and_b64 s[8:9], s[2:3], vcc
	s_and_saveexec_b64 s[4:5], s[8:9]
	s_cbranch_execz .LBB507_26
; %bb.23:
	v_pk_mul_f32 v[8:9], v[24:25], s[34:35] op_sel:[0,1] op_sel_hi:[0,0]
	v_pk_fma_f32 v[6:7], v[22:23], s[34:35], v[8:9] op_sel_hi:[0,1,1] neg_lo:[0,0,1] neg_hi:[0,0,1]
	v_pk_fma_f32 v[8:9], v[22:23], s[34:35], v[8:9] op_sel_hi:[0,1,1]
	s_and_b64 vcc, exec, s[0:1]
	v_lshl_add_u64 v[0:1], v[0:1], 3, v[4:5]
	s_cbranch_vccnz .LBB507_25
; %bb.24:
	flat_load_dwordx2 v[12:13], v[0:1]
	s_mov_b32 s8, s7
	v_mov_b32_e32 v7, v9
	s_waitcnt vmcnt(0) lgkmcnt(0)
	v_pk_mul_f32 v[8:9], v[12:13], s[8:9] op_sel:[1,0] op_sel_hi:[0,0]
	v_pk_fma_f32 v[14:15], v[12:13], s[6:7], v[8:9] neg_lo:[0,0,1] neg_hi:[0,0,1]
	v_pk_fma_f32 v[8:9], v[12:13], s[6:7], v[8:9] op_sel_hi:[1,0,1]
	s_nop 0
	v_mov_b32_e32 v15, v9
	v_pk_add_f32 v[6:7], v[6:7], v[14:15]
	s_nop 0
	v_mov_b32_e32 v9, v7
.LBB507_25:
	v_mov_b32_e32 v7, v9
	flat_store_dwordx2 v[0:1], v[6:7]
.LBB507_26:
	s_or_b64 exec, exec, s[4:5]
	v_cmp_le_i32_e32 vcc, v2, v10
	s_and_b64 s[2:3], s[2:3], vcc
	s_and_saveexec_b64 s[4:5], s[2:3]
	s_cbranch_execz .LBB507_30
; %bb.27:
	v_pk_mul_f32 v[6:7], v[20:21], s[34:35] op_sel:[0,1] op_sel_hi:[0,0]
	v_pk_fma_f32 v[0:1], v[18:19], s[34:35], v[6:7] op_sel_hi:[0,1,1] neg_lo:[0,0,1] neg_hi:[0,0,1]
	v_pk_fma_f32 v[6:7], v[18:19], s[34:35], v[6:7] op_sel_hi:[0,1,1]
	s_and_b64 vcc, exec, s[0:1]
	v_lshl_add_u64 v[2:3], v[2:3], 3, v[4:5]
	s_cbranch_vccnz .LBB507_29
; %bb.28:
	flat_load_dwordx2 v[4:5], v[2:3]
	s_mov_b32 s0, s7
	v_mov_b32_e32 v1, v7
	s_waitcnt vmcnt(0) lgkmcnt(0)
	v_pk_mul_f32 v[6:7], v[4:5], s[0:1] op_sel:[1,0] op_sel_hi:[0,0]
	v_pk_fma_f32 v[8:9], v[4:5], s[6:7], v[6:7] neg_lo:[0,0,1] neg_hi:[0,0,1]
	v_pk_fma_f32 v[4:5], v[4:5], s[6:7], v[6:7] op_sel_hi:[1,0,1]
	s_nop 0
	v_mov_b32_e32 v9, v5
	v_pk_add_f32 v[0:1], v[0:1], v[8:9]
	s_nop 0
	v_mov_b32_e32 v7, v1
.LBB507_29:
	v_mov_b32_e32 v1, v7
	flat_store_dwordx2 v[2:3], v[0:1]
.LBB507_30:
	s_endpgm
	.section	.rodata,"a",@progbits
	.p2align	6, 0x0
	.amdhsa_kernel _ZL29rocblas_internal_gemmt_kernelIlLi16ELi32ELi8ELc84ELc78ELc85ELb0ELb0E19rocblas_complex_numIfEPKS1_PKS3_PKPS1_EviT_T9_T10_S9_lSB_S9_lSA_T11_S9_li
		.amdhsa_group_segment_fixed_size 4096
		.amdhsa_private_segment_fixed_size 0
		.amdhsa_kernarg_size 108
		.amdhsa_user_sgpr_count 2
		.amdhsa_user_sgpr_dispatch_ptr 0
		.amdhsa_user_sgpr_queue_ptr 0
		.amdhsa_user_sgpr_kernarg_segment_ptr 1
		.amdhsa_user_sgpr_dispatch_id 0
		.amdhsa_user_sgpr_kernarg_preload_length 0
		.amdhsa_user_sgpr_kernarg_preload_offset 0
		.amdhsa_user_sgpr_private_segment_size 0
		.amdhsa_uses_dynamic_stack 0
		.amdhsa_enable_private_segment 0
		.amdhsa_system_sgpr_workgroup_id_x 1
		.amdhsa_system_sgpr_workgroup_id_y 1
		.amdhsa_system_sgpr_workgroup_id_z 1
		.amdhsa_system_sgpr_workgroup_info 0
		.amdhsa_system_vgpr_workitem_id 1
		.amdhsa_next_free_vgpr 51
		.amdhsa_next_free_sgpr 40
		.amdhsa_accum_offset 52
		.amdhsa_reserve_vcc 1
		.amdhsa_float_round_mode_32 0
		.amdhsa_float_round_mode_16_64 0
		.amdhsa_float_denorm_mode_32 3
		.amdhsa_float_denorm_mode_16_64 3
		.amdhsa_dx10_clamp 1
		.amdhsa_ieee_mode 1
		.amdhsa_fp16_overflow 0
		.amdhsa_tg_split 0
		.amdhsa_exception_fp_ieee_invalid_op 0
		.amdhsa_exception_fp_denorm_src 0
		.amdhsa_exception_fp_ieee_div_zero 0
		.amdhsa_exception_fp_ieee_overflow 0
		.amdhsa_exception_fp_ieee_underflow 0
		.amdhsa_exception_fp_ieee_inexact 0
		.amdhsa_exception_int_div_zero 0
	.end_amdhsa_kernel
	.section	.text._ZL29rocblas_internal_gemmt_kernelIlLi16ELi32ELi8ELc84ELc78ELc85ELb0ELb0E19rocblas_complex_numIfEPKS1_PKS3_PKPS1_EviT_T9_T10_S9_lSB_S9_lSA_T11_S9_li,"axG",@progbits,_ZL29rocblas_internal_gemmt_kernelIlLi16ELi32ELi8ELc84ELc78ELc85ELb0ELb0E19rocblas_complex_numIfEPKS1_PKS3_PKPS1_EviT_T9_T10_S9_lSB_S9_lSA_T11_S9_li,comdat
.Lfunc_end507:
	.size	_ZL29rocblas_internal_gemmt_kernelIlLi16ELi32ELi8ELc84ELc78ELc85ELb0ELb0E19rocblas_complex_numIfEPKS1_PKS3_PKPS1_EviT_T9_T10_S9_lSB_S9_lSA_T11_S9_li, .Lfunc_end507-_ZL29rocblas_internal_gemmt_kernelIlLi16ELi32ELi8ELc84ELc78ELc85ELb0ELb0E19rocblas_complex_numIfEPKS1_PKS3_PKPS1_EviT_T9_T10_S9_lSB_S9_lSA_T11_S9_li
                                        ; -- End function
	.set _ZL29rocblas_internal_gemmt_kernelIlLi16ELi32ELi8ELc84ELc78ELc85ELb0ELb0E19rocblas_complex_numIfEPKS1_PKS3_PKPS1_EviT_T9_T10_S9_lSB_S9_lSA_T11_S9_li.num_vgpr, 51
	.set _ZL29rocblas_internal_gemmt_kernelIlLi16ELi32ELi8ELc84ELc78ELc85ELb0ELb0E19rocblas_complex_numIfEPKS1_PKS3_PKPS1_EviT_T9_T10_S9_lSB_S9_lSA_T11_S9_li.num_agpr, 0
	.set _ZL29rocblas_internal_gemmt_kernelIlLi16ELi32ELi8ELc84ELc78ELc85ELb0ELb0E19rocblas_complex_numIfEPKS1_PKS3_PKPS1_EviT_T9_T10_S9_lSB_S9_lSA_T11_S9_li.numbered_sgpr, 40
	.set _ZL29rocblas_internal_gemmt_kernelIlLi16ELi32ELi8ELc84ELc78ELc85ELb0ELb0E19rocblas_complex_numIfEPKS1_PKS3_PKPS1_EviT_T9_T10_S9_lSB_S9_lSA_T11_S9_li.num_named_barrier, 0
	.set _ZL29rocblas_internal_gemmt_kernelIlLi16ELi32ELi8ELc84ELc78ELc85ELb0ELb0E19rocblas_complex_numIfEPKS1_PKS3_PKPS1_EviT_T9_T10_S9_lSB_S9_lSA_T11_S9_li.private_seg_size, 0
	.set _ZL29rocblas_internal_gemmt_kernelIlLi16ELi32ELi8ELc84ELc78ELc85ELb0ELb0E19rocblas_complex_numIfEPKS1_PKS3_PKPS1_EviT_T9_T10_S9_lSB_S9_lSA_T11_S9_li.uses_vcc, 1
	.set _ZL29rocblas_internal_gemmt_kernelIlLi16ELi32ELi8ELc84ELc78ELc85ELb0ELb0E19rocblas_complex_numIfEPKS1_PKS3_PKPS1_EviT_T9_T10_S9_lSB_S9_lSA_T11_S9_li.uses_flat_scratch, 0
	.set _ZL29rocblas_internal_gemmt_kernelIlLi16ELi32ELi8ELc84ELc78ELc85ELb0ELb0E19rocblas_complex_numIfEPKS1_PKS3_PKPS1_EviT_T9_T10_S9_lSB_S9_lSA_T11_S9_li.has_dyn_sized_stack, 0
	.set _ZL29rocblas_internal_gemmt_kernelIlLi16ELi32ELi8ELc84ELc78ELc85ELb0ELb0E19rocblas_complex_numIfEPKS1_PKS3_PKPS1_EviT_T9_T10_S9_lSB_S9_lSA_T11_S9_li.has_recursion, 0
	.set _ZL29rocblas_internal_gemmt_kernelIlLi16ELi32ELi8ELc84ELc78ELc85ELb0ELb0E19rocblas_complex_numIfEPKS1_PKS3_PKPS1_EviT_T9_T10_S9_lSB_S9_lSA_T11_S9_li.has_indirect_call, 0
	.section	.AMDGPU.csdata,"",@progbits
; Kernel info:
; codeLenInByte = 2524
; TotalNumSgprs: 46
; NumVgprs: 51
; NumAgprs: 0
; TotalNumVgprs: 51
; ScratchSize: 0
; MemoryBound: 0
; FloatMode: 240
; IeeeMode: 1
; LDSByteSize: 4096 bytes/workgroup (compile time only)
; SGPRBlocks: 5
; VGPRBlocks: 6
; NumSGPRsForWavesPerEU: 46
; NumVGPRsForWavesPerEU: 51
; AccumOffset: 52
; Occupancy: 8
; WaveLimiterHint : 1
; COMPUTE_PGM_RSRC2:SCRATCH_EN: 0
; COMPUTE_PGM_RSRC2:USER_SGPR: 2
; COMPUTE_PGM_RSRC2:TRAP_HANDLER: 0
; COMPUTE_PGM_RSRC2:TGID_X_EN: 1
; COMPUTE_PGM_RSRC2:TGID_Y_EN: 1
; COMPUTE_PGM_RSRC2:TGID_Z_EN: 1
; COMPUTE_PGM_RSRC2:TIDIG_COMP_CNT: 1
; COMPUTE_PGM_RSRC3_GFX90A:ACCUM_OFFSET: 12
; COMPUTE_PGM_RSRC3_GFX90A:TG_SPLIT: 0
	.section	.text._ZL29rocblas_internal_gemmt_kernelIlLi16ELi32ELi8ELc84ELc84ELc85ELb0ELb0E19rocblas_complex_numIfEPKS1_PKS3_PKPS1_EviT_T9_T10_S9_lSB_S9_lSA_T11_S9_li,"axG",@progbits,_ZL29rocblas_internal_gemmt_kernelIlLi16ELi32ELi8ELc84ELc84ELc85ELb0ELb0E19rocblas_complex_numIfEPKS1_PKS3_PKPS1_EviT_T9_T10_S9_lSB_S9_lSA_T11_S9_li,comdat
	.globl	_ZL29rocblas_internal_gemmt_kernelIlLi16ELi32ELi8ELc84ELc84ELc85ELb0ELb0E19rocblas_complex_numIfEPKS1_PKS3_PKPS1_EviT_T9_T10_S9_lSB_S9_lSA_T11_S9_li ; -- Begin function _ZL29rocblas_internal_gemmt_kernelIlLi16ELi32ELi8ELc84ELc84ELc85ELb0ELb0E19rocblas_complex_numIfEPKS1_PKS3_PKPS1_EviT_T9_T10_S9_lSB_S9_lSA_T11_S9_li
	.p2align	8
	.type	_ZL29rocblas_internal_gemmt_kernelIlLi16ELi32ELi8ELc84ELc84ELc85ELb0ELb0E19rocblas_complex_numIfEPKS1_PKS3_PKPS1_EviT_T9_T10_S9_lSB_S9_lSA_T11_S9_li,@function
_ZL29rocblas_internal_gemmt_kernelIlLi16ELi32ELi8ELc84ELc84ELc85ELb0ELb0E19rocblas_complex_numIfEPKS1_PKS3_PKPS1_EviT_T9_T10_S9_lSB_S9_lSA_T11_S9_li: ; @_ZL29rocblas_internal_gemmt_kernelIlLi16ELi32ELi8ELc84ELc84ELc85ELb0ELb0E19rocblas_complex_numIfEPKS1_PKS3_PKPS1_EviT_T9_T10_S9_lSB_S9_lSA_T11_S9_li
; %bb.0:
	s_load_dwordx8 s[24:31], s[0:1], 0x48
	s_load_dwordx16 s[8:23], s[0:1], 0x8
	s_waitcnt lgkmcnt(0)
	s_load_dwordx2 s[6:7], s[24:25], 0x0
	s_load_dwordx2 s[34:35], s[10:11], 0x0
	s_waitcnt lgkmcnt(0)
	s_and_b32 s5, s7, 0x7fffffff
	s_cmp_eq_u32 s5, 0
	v_cmp_eq_f32_e64 s[24:25], s6, 1.0
	s_cselect_b64 s[10:11], -1, 0
	s_and_b64 s[24:25], s[24:25], s[10:11]
	s_and_b64 vcc, exec, s[24:25]
	s_cbranch_vccnz .LBB508_2
; %bb.1:
	s_mov_b64 s[24:25], -1
	s_cbranch_execz .LBB508_3
	s_branch .LBB508_4
.LBB508_2:
	s_mov_b64 s[24:25], 0
.LBB508_3:
	s_cmp_lg_u64 s[8:9], 0
	v_cmp_neq_f32_e64 s[36:37], s34, 0
	v_cmp_neq_f32_e64 s[38:39], s35, 0
	s_cselect_b64 s[24:25], -1, 0
	s_or_b64 s[36:37], s[36:37], s[38:39]
	s_and_b64 s[24:25], s[24:25], s[36:37]
.LBB508_4:
	s_andn2_b64 vcc, exec, s[24:25]
	s_cbranch_vccnz .LBB508_30
; %bb.5:
	s_mov_b32 s5, 0
	s_load_dword s24, s[0:1], 0x0
	s_lshl_b64 s[0:1], s[4:5], 3
	s_add_u32 s4, s26, s0
	s_addc_u32 s5, s27, s1
	s_load_dwordx2 s[4:5], s[4:5], 0x0
	s_lshl_b32 s25, s2, 5
	s_lshl_b32 s26, s3, 5
	v_cmp_eq_f32_e64 s[2:3], s34, 0
	v_cmp_eq_f32_e64 s[36:37], s35, 0
	s_and_b64 s[2:3], s[2:3], s[36:37]
	v_cmp_lt_i64_e64 s[36:37], s[8:9], 1
	s_or_b64 s[2:3], s[2:3], s[36:37]
	v_and_b32_e32 v9, 0x3ff, v0
	v_bfe_u32 v11, v0, 10, 10
	v_mov_b32_e32 v30, 0
	s_and_b64 vcc, exec, s[2:3]
	v_mov_b32_e32 v32, 0
	v_mov_b32_e32 v26, 0
	;; [unrolled: 1-line block ×7, first 2 shown]
	s_cbranch_vccnz .LBB508_14
; %bb.6:
	s_add_u32 s2, s18, s0
	s_addc_u32 s3, s19, s1
	s_load_dwordx2 s[2:3], s[2:3], 0x0
	s_lshl_b64 s[18:19], s[22:23], 3
	v_lshl_add_u32 v1, v11, 4, v9
	v_lshrrev_b32_e32 v10, 5, v1
	v_lshrrev_b32_e32 v4, 3, v1
	s_waitcnt lgkmcnt(0)
	s_add_u32 s18, s2, s18
	s_addc_u32 s19, s3, s19
	s_add_u32 s0, s12, s0
	s_addc_u32 s1, s13, s1
	s_load_dwordx2 s[0:1], s[0:1], 0x0
	v_and_b32_e32 v1, 31, v1
	s_lshl_b64 s[2:3], s[16:17], 3
	v_or_b32_e32 v2, s25, v1
	v_lshlrev_b32_e32 v1, 3, v1
	s_waitcnt lgkmcnt(0)
	s_add_u32 s2, s0, s2
	s_addc_u32 s3, s1, s3
	v_cmp_gt_i32_e64 s[0:1], s24, v2
	v_lshl_or_b32 v19, v10, 8, v1
	s_ashr_i32 s16, s25, 31
	v_mul_lo_u32 v1, s15, v2
	v_mad_u64_u32 v[2:3], s[12:13], s14, v2, 0
	v_and_b32_e32 v8, 7, v9
	s_mul_i32 s12, s14, s16
	v_add3_u32 v3, v3, s12, v1
	v_lshlrev_b32_e32 v1, 3, v8
	v_add_u32_e32 v0, s26, v4
	v_lshl_or_b32 v1, v4, 6, v1
	v_add_u32_e32 v21, 0x800, v1
	v_ashrrev_i32_e32 v1, 31, v0
	v_lshl_add_u64 v[12:13], v[2:3], 3, s[2:3]
	v_cmp_gt_i32_e64 s[2:3], s24, v0
	v_lshl_add_u64 v[14:15], v[0:1], 3, s[18:19]
	v_mov_b32_e32 v0, 0x800
	v_lshlrev_b32_e32 v23, 3, v9
	v_lshl_add_u32 v25, v11, 6, v0
	v_mov_b32_e32 v17, 0
	s_mov_b64 s[12:13], 0
	v_mov_b32_e32 v20, 0
	v_mov_b32_e32 v18, 0
	;; [unrolled: 1-line block ×8, first 2 shown]
	s_branch .LBB508_8
.LBB508_7:                              ;   in Loop: Header=BB508_8 Depth=1
	s_or_b64 exec, exec, s[14:15]
	s_waitcnt vmcnt(0) lgkmcnt(0)
	ds_write_b64 v21, v[0:1]
	s_waitcnt lgkmcnt(0)
	s_barrier
	ds_read2_b64 v[34:37], v23 offset1:16
	ds_read_b128 v[38:41], v25
	ds_read_b128 v[42:45], v25 offset:16
	ds_read_b128 v[4:7], v25 offset:32
	;; [unrolled: 1-line block ×3, first 2 shown]
	s_add_u32 s12, s12, 8
	s_waitcnt lgkmcnt(3)
	v_mul_f32_e32 v16, v39, v35
	v_mul_f32_e32 v27, v38, v35
	v_fma_f32 v16, v38, v34, -v16
	v_fmac_f32_e32 v27, v39, v34
	v_add_f32_e32 v16, v30, v16
	v_add_f32_e32 v50, v32, v27
	ds_read_b128 v[30:33], v25 offset:1024
	v_mul_f32_e32 v27, v39, v37
	v_mul_f32_e32 v29, v38, v37
	v_fma_f32 v27, v38, v36, -v27
	v_fmac_f32_e32 v29, v39, v36
	v_add_f32_e32 v38, v26, v27
	v_add_f32_e32 v39, v28, v29
	ds_read_b128 v[26:29], v25 offset:1040
	s_waitcnt lgkmcnt(1)
	v_mul_f32_e32 v46, v31, v35
	v_fma_f32 v46, v30, v34, -v46
	v_add_f32_e32 v22, v22, v46
	ds_read2_b64 v[46:49], v23 offset0:32 offset1:48
	v_mul_f32_e32 v35, v30, v35
	v_fmac_f32_e32 v35, v31, v34
	v_mul_f32_e32 v34, v31, v37
	v_fma_f32 v34, v30, v36, -v34
	v_mul_f32_e32 v30, v30, v37
	v_fmac_f32_e32 v30, v31, v36
	v_add_f32_e32 v20, v20, v30
	s_waitcnt lgkmcnt(0)
	v_mul_f32_e32 v30, v41, v47
	v_mul_f32_e32 v31, v40, v47
	v_fma_f32 v30, v40, v46, -v30
	v_fmac_f32_e32 v31, v41, v46
	v_add_f32_e32 v18, v18, v34
	v_add_f32_e32 v16, v16, v30
	;; [unrolled: 1-line block ×3, first 2 shown]
	v_mul_f32_e32 v31, v41, v49
	v_mul_f32_e32 v34, v40, v49
	v_fma_f32 v31, v40, v48, -v31
	v_fmac_f32_e32 v34, v41, v48
	v_add_f32_e32 v31, v38, v31
	v_add_f32_e32 v38, v39, v34
	v_mul_f32_e32 v34, v33, v47
	v_add_f32_e32 v24, v24, v35
	v_fma_f32 v34, v32, v46, -v34
	v_mul_f32_e32 v35, v32, v47
	v_fmac_f32_e32 v35, v33, v46
	v_add_f32_e32 v22, v22, v34
	v_mul_f32_e32 v34, v33, v49
	v_add_f32_e32 v24, v24, v35
	v_fma_f32 v39, v32, v48, -v34
	ds_read2_b64 v[34:37], v23 offset0:64 offset1:80
	v_mul_f32_e32 v32, v32, v49
	v_fmac_f32_e32 v32, v33, v48
	v_add_f32_e32 v18, v18, v39
	v_add_f32_e32 v20, v20, v32
	s_waitcnt lgkmcnt(0)
	v_mul_f32_e32 v33, v42, v35
	v_fmac_f32_e32 v33, v43, v34
	v_add_f32_e32 v39, v30, v33
	v_mul_f32_e32 v30, v43, v37
	v_mul_f32_e32 v32, v43, v35
	v_fma_f32 v30, v42, v36, -v30
	v_fma_f32 v32, v42, v34, -v32
	v_add_f32_e32 v40, v31, v30
	v_mul_f32_e32 v30, v27, v35
	v_add_f32_e32 v16, v16, v32
	v_mul_f32_e32 v32, v42, v37
	v_fma_f32 v30, v26, v34, -v30
	v_mul_f32_e32 v31, v26, v35
	v_fmac_f32_e32 v32, v43, v36
	v_fmac_f32_e32 v31, v27, v34
	v_add_f32_e32 v22, v22, v30
	v_mul_f32_e32 v30, v27, v37
	v_add_f32_e32 v38, v38, v32
	v_add_f32_e32 v24, v24, v31
	v_fma_f32 v34, v26, v36, -v30
	ds_read2_b64 v[30:33], v23 offset0:96 offset1:112
	v_mul_f32_e32 v26, v26, v37
	v_fmac_f32_e32 v26, v27, v36
	v_add_f32_e32 v20, v20, v26
	v_add_f32_e32 v18, v18, v34
	s_waitcnt lgkmcnt(0)
	v_mul_f32_e32 v26, v45, v31
	v_mul_f32_e32 v27, v44, v31
	v_fma_f32 v26, v44, v30, -v26
	v_fmac_f32_e32 v27, v45, v30
	v_add_f32_e32 v16, v16, v26
	v_add_f32_e32 v26, v39, v27
	v_mul_f32_e32 v27, v45, v33
	v_mul_f32_e32 v34, v44, v33
	v_fma_f32 v27, v44, v32, -v27
	v_fmac_f32_e32 v34, v45, v32
	v_add_f32_e32 v39, v40, v27
	v_add_f32_e32 v38, v38, v34
	v_mul_f32_e32 v27, v29, v31
	ds_read2_b64 v[34:37], v23 offset0:128 offset1:144
	v_fma_f32 v27, v28, v30, -v27
	v_add_f32_e32 v22, v22, v27
	v_mul_f32_e32 v27, v29, v33
	v_mul_f32_e32 v31, v28, v31
	v_fma_f32 v27, v28, v32, -v27
	v_mul_f32_e32 v28, v28, v33
	v_fmac_f32_e32 v28, v29, v32
	v_add_f32_e32 v20, v20, v28
	s_waitcnt lgkmcnt(0)
	v_mul_f32_e32 v28, v4, v35
	v_add_f32_e32 v18, v18, v27
	v_mul_f32_e32 v27, v5, v35
	v_fmac_f32_e32 v28, v5, v34
	v_fma_f32 v27, v4, v34, -v27
	v_add_f32_e32 v42, v26, v28
	v_mul_f32_e32 v26, v5, v37
	v_fmac_f32_e32 v31, v29, v30
	v_add_f32_e32 v16, v16, v27
	v_fma_f32 v30, v4, v36, -v26
	ds_read_b128 v[26:29], v25 offset:1056
	v_mul_f32_e32 v4, v4, v37
	v_fmac_f32_e32 v4, v5, v36
	v_add_f32_e32 v5, v39, v30
	v_add_f32_e32 v4, v38, v4
	ds_read_b128 v[38:41], v25 offset:1072
	s_waitcnt lgkmcnt(1)
	v_mul_f32_e32 v30, v27, v35
	v_add_f32_e32 v24, v24, v31
	v_fma_f32 v30, v26, v34, -v30
	v_mul_f32_e32 v31, v26, v35
	v_fmac_f32_e32 v31, v27, v34
	v_add_f32_e32 v22, v22, v30
	v_mul_f32_e32 v30, v27, v37
	v_add_f32_e32 v24, v24, v31
	v_fma_f32 v34, v26, v36, -v30
	ds_read2_b64 v[30:33], v23 offset0:160 offset1:176
	v_mul_f32_e32 v26, v26, v37
	v_fmac_f32_e32 v26, v27, v36
	v_add_f32_e32 v20, v20, v26
	v_add_f32_e32 v18, v18, v34
	s_waitcnt lgkmcnt(0)
	v_mul_f32_e32 v26, v7, v31
	v_mul_f32_e32 v27, v6, v31
	v_fma_f32 v26, v6, v30, -v26
	v_fmac_f32_e32 v27, v7, v30
	v_add_f32_e32 v16, v16, v26
	v_add_f32_e32 v26, v42, v27
	v_mul_f32_e32 v27, v7, v33
	v_fma_f32 v27, v6, v32, -v27
	v_mul_f32_e32 v6, v6, v33
	v_fmac_f32_e32 v6, v7, v32
	v_add_f32_e32 v34, v4, v6
	v_mul_f32_e32 v4, v29, v31
	v_add_f32_e32 v27, v5, v27
	v_fma_f32 v4, v28, v30, -v4
	v_mul_f32_e32 v5, v28, v31
	v_fmac_f32_e32 v5, v29, v30
	v_add_f32_e32 v22, v22, v4
	v_mul_f32_e32 v4, v29, v33
	v_add_f32_e32 v24, v24, v5
	v_fma_f32 v30, v28, v32, -v4
	ds_read2_b64 v[4:7], v23 offset0:192 offset1:208
	v_mul_f32_e32 v28, v28, v33
	v_fmac_f32_e32 v28, v29, v32
	v_add_f32_e32 v20, v20, v28
	v_add_f32_e32 v18, v18, v30
	s_waitcnt lgkmcnt(0)
	v_mul_f32_e32 v28, v1, v5
	v_fma_f32 v28, v0, v4, -v28
	v_add_f32_e32 v16, v16, v28
	v_mul_f32_e32 v28, v1, v7
	v_mul_f32_e32 v29, v0, v5
	v_fma_f32 v28, v0, v6, -v28
	v_mul_f32_e32 v0, v0, v7
	v_fmac_f32_e32 v0, v1, v6
	v_add_f32_e32 v0, v34, v0
	ds_read2_b64 v[34:37], v23 offset0:224 offset1:240
	v_fmac_f32_e32 v29, v1, v4
	v_add_f32_e32 v1, v27, v28
	v_mul_f32_e32 v27, v39, v5
	v_fma_f32 v27, v38, v4, -v27
	v_mul_f32_e32 v5, v38, v5
	v_fmac_f32_e32 v5, v39, v4
	v_add_f32_e32 v4, v22, v27
	v_mul_f32_e32 v22, v39, v7
	v_fma_f32 v22, v38, v6, -v22
	v_mul_f32_e32 v7, v38, v7
	v_fmac_f32_e32 v7, v39, v6
	v_add_f32_e32 v6, v18, v22
	s_waitcnt lgkmcnt(0)
	v_mul_f32_e32 v18, v3, v35
	v_fma_f32 v18, v2, v34, -v18
	v_add_f32_e32 v30, v16, v18
	v_mul_f32_e32 v16, v3, v37
	v_add_f32_e32 v7, v20, v7
	v_mul_f32_e32 v20, v2, v35
	v_fma_f32 v16, v2, v36, -v16
	v_mul_f32_e32 v2, v2, v37
	v_add_f32_e32 v26, v26, v29
	v_fmac_f32_e32 v20, v3, v34
	v_fmac_f32_e32 v2, v3, v36
	v_add_f32_e32 v32, v26, v20
	v_add_f32_e32 v26, v1, v16
	;; [unrolled: 1-line block ×3, first 2 shown]
	v_mul_f32_e32 v0, v41, v35
	v_mul_f32_e32 v1, v40, v35
	v_add_f32_e32 v5, v24, v5
	v_fma_f32 v0, v40, v34, -v0
	v_fmac_f32_e32 v1, v41, v34
	v_add_f32_e32 v22, v4, v0
	v_add_f32_e32 v24, v5, v1
	v_mul_f32_e32 v0, v41, v37
	v_mul_f32_e32 v1, v40, v37
	v_fma_f32 v0, v40, v36, -v0
	v_fmac_f32_e32 v1, v41, v36
	s_addc_u32 s13, s13, 0
	v_add_f32_e32 v18, v6, v0
	v_add_f32_e32 v20, v7, v1
	v_mov_b64_e32 v[0:1], s[12:13]
	v_cmp_gt_i64_e32 vcc, s[8:9], v[0:1]
	s_barrier
	s_cbranch_vccz .LBB508_14
.LBB508_8:                              ; =>This Inner Loop Header: Depth=1
	v_mov_b32_e32 v0, 0
	v_mov_b32_e32 v1, 0
	s_and_saveexec_b64 s[14:15], s[0:1]
	s_cbranch_execz .LBB508_12
; %bb.9:                                ;   in Loop: Header=BB508_8 Depth=1
	v_add_u32_e32 v16, s12, v10
	v_cmp_gt_u64_e32 vcc, s[8:9], v[16:17]
	v_mov_b32_e32 v1, 0
	v_mov_b32_e32 v0, 0
	s_and_saveexec_b64 s[16:17], vcc
	s_cbranch_execz .LBB508_11
; %bb.10:                               ;   in Loop: Header=BB508_8 Depth=1
	v_lshl_add_u64 v[0:1], v[16:17], 3, v[12:13]
	flat_load_dwordx2 v[0:1], v[0:1]
.LBB508_11:                             ;   in Loop: Header=BB508_8 Depth=1
	s_or_b64 exec, exec, s[16:17]
.LBB508_12:                             ;   in Loop: Header=BB508_8 Depth=1
	s_or_b64 exec, exec, s[14:15]
	v_add_u32_e32 v16, s12, v8
	v_cmp_gt_u64_e32 vcc, s[8:9], v[16:17]
	s_waitcnt vmcnt(0) lgkmcnt(0)
	ds_write_b64 v19, v[0:1]
	s_and_b64 s[16:17], vcc, s[2:3]
	v_mov_b32_e32 v0, 0
	v_mov_b32_e32 v1, 0
	s_and_saveexec_b64 s[14:15], s[16:17]
	s_cbranch_execz .LBB508_7
; %bb.13:                               ;   in Loop: Header=BB508_8 Depth=1
	v_mad_u64_u32 v[0:1], s[16:17], s20, v16, 0
	v_mov_b32_e32 v2, v1
	v_mad_u64_u32 v[2:3], s[16:17], s21, v16, v[2:3]
	v_mov_b32_e32 v1, v2
	v_lshl_add_u64 v[0:1], v[0:1], 3, v[14:15]
	flat_load_dwordx2 v[0:1], v[0:1]
	s_branch .LBB508_7
.LBB508_14:
	s_lshl_b64 s[0:1], s[30:31], 3
	v_add_u32_e32 v10, s26, v11
	s_waitcnt lgkmcnt(0)
	s_add_u32 s4, s4, s0
	v_ashrrev_i32_e32 v1, 31, v10
	s_addc_u32 s5, s5, s1
	v_cmp_neq_f32_e64 s[0:1], s6, 0
	s_xor_b64 s[8:9], s[10:11], -1
	v_mul_lo_u32 v1, s28, v1
	v_mul_lo_u32 v4, s29, v10
	v_mad_u64_u32 v[2:3], s[10:11], s28, v10, 0
	v_add_u32_e32 v0, s25, v9
	v_add3_u32 v3, v3, v1, v4
	s_or_b64 s[0:1], s[0:1], s[8:9]
	v_cmp_gt_i32_e64 s[2:3], s24, v10
	v_lshl_add_u64 v[4:5], v[2:3], 3, s[4:5]
	v_cmp_le_i32_e32 vcc, v0, v10
	v_cndmask_b32_e64 v2, 0, 1, s[0:1]
	s_and_b64 s[10:11], s[2:3], vcc
	v_ashrrev_i32_e32 v1, 31, v0
	v_cmp_ne_u32_e64 s[0:1], 1, v2
	s_and_saveexec_b64 s[8:9], s[10:11]
	s_cbranch_execz .LBB508_18
; %bb.15:
	v_pk_mul_f32 v[6:7], v[32:33], s[34:35] op_sel:[0,1] op_sel_hi:[0,0]
	v_pk_fma_f32 v[2:3], v[30:31], s[34:35], v[6:7] op_sel_hi:[0,1,1] neg_lo:[0,0,1] neg_hi:[0,0,1]
	v_pk_fma_f32 v[8:9], v[30:31], s[34:35], v[6:7] op_sel_hi:[0,1,1]
	s_and_b64 vcc, exec, s[0:1]
	v_lshl_add_u64 v[6:7], v[0:1], 3, v[4:5]
	s_cbranch_vccnz .LBB508_17
; %bb.16:
	flat_load_dwordx2 v[12:13], v[6:7]
	s_mov_b32 s10, s7
	v_mov_b32_e32 v3, v9
	s_waitcnt vmcnt(0) lgkmcnt(0)
	v_pk_mul_f32 v[8:9], v[12:13], s[10:11] op_sel:[1,0] op_sel_hi:[0,0]
	v_pk_fma_f32 v[14:15], v[12:13], s[6:7], v[8:9] neg_lo:[0,0,1] neg_hi:[0,0,1]
	v_pk_fma_f32 v[8:9], v[12:13], s[6:7], v[8:9] op_sel_hi:[1,0,1]
	s_nop 0
	v_mov_b32_e32 v15, v9
	v_pk_add_f32 v[2:3], v[2:3], v[14:15]
	s_nop 0
	v_mov_b32_e32 v9, v3
.LBB508_17:
	v_mov_b32_e32 v3, v9
	flat_store_dwordx2 v[6:7], v[2:3]
.LBB508_18:
	s_or_b64 exec, exec, s[8:9]
	v_add_u32_e32 v2, 16, v0
	v_cmp_le_i32_e32 vcc, v2, v10
	s_and_b64 s[8:9], s[2:3], vcc
	v_ashrrev_i32_e32 v3, 31, v2
	s_and_saveexec_b64 s[2:3], s[8:9]
	s_cbranch_execz .LBB508_22
; %bb.19:
	v_pk_mul_f32 v[8:9], v[28:29], s[34:35] op_sel:[0,1] op_sel_hi:[0,0]
	v_pk_fma_f32 v[6:7], v[26:27], s[34:35], v[8:9] op_sel_hi:[0,1,1] neg_lo:[0,0,1] neg_hi:[0,0,1]
	v_pk_fma_f32 v[8:9], v[26:27], s[34:35], v[8:9] op_sel_hi:[0,1,1]
	s_and_b64 vcc, exec, s[0:1]
	v_lshl_add_u64 v[4:5], v[2:3], 3, v[4:5]
	s_cbranch_vccnz .LBB508_21
; %bb.20:
	flat_load_dwordx2 v[12:13], v[4:5]
	s_mov_b32 s8, s7
	v_mov_b32_e32 v7, v9
	s_waitcnt vmcnt(0) lgkmcnt(0)
	v_pk_mul_f32 v[8:9], v[12:13], s[8:9] op_sel:[1,0] op_sel_hi:[0,0]
	v_pk_fma_f32 v[14:15], v[12:13], s[6:7], v[8:9] neg_lo:[0,0,1] neg_hi:[0,0,1]
	v_pk_fma_f32 v[8:9], v[12:13], s[6:7], v[8:9] op_sel_hi:[1,0,1]
	s_nop 0
	v_mov_b32_e32 v15, v9
	v_pk_add_f32 v[6:7], v[6:7], v[14:15]
	s_nop 0
	v_mov_b32_e32 v9, v7
.LBB508_21:
	v_mov_b32_e32 v7, v9
	flat_store_dwordx2 v[4:5], v[6:7]
.LBB508_22:
	s_or_b64 exec, exec, s[2:3]
	v_add_u32_e32 v10, 16, v10
	v_ashrrev_i32_e32 v4, 31, v10
	v_mul_lo_u32 v6, s28, v4
	v_mul_lo_u32 v7, s29, v10
	v_mad_u64_u32 v[4:5], s[8:9], s28, v10, 0
	v_cmp_gt_i32_e64 s[2:3], s24, v10
	v_add3_u32 v5, v5, v6, v7
	v_cmp_le_i32_e32 vcc, v0, v10
	v_lshl_add_u64 v[4:5], v[4:5], 3, s[4:5]
	s_and_b64 s[8:9], s[2:3], vcc
	s_and_saveexec_b64 s[4:5], s[8:9]
	s_cbranch_execz .LBB508_26
; %bb.23:
	v_pk_mul_f32 v[8:9], v[24:25], s[34:35] op_sel:[0,1] op_sel_hi:[0,0]
	v_pk_fma_f32 v[6:7], v[22:23], s[34:35], v[8:9] op_sel_hi:[0,1,1] neg_lo:[0,0,1] neg_hi:[0,0,1]
	v_pk_fma_f32 v[8:9], v[22:23], s[34:35], v[8:9] op_sel_hi:[0,1,1]
	s_and_b64 vcc, exec, s[0:1]
	v_lshl_add_u64 v[0:1], v[0:1], 3, v[4:5]
	s_cbranch_vccnz .LBB508_25
; %bb.24:
	flat_load_dwordx2 v[12:13], v[0:1]
	s_mov_b32 s8, s7
	v_mov_b32_e32 v7, v9
	s_waitcnt vmcnt(0) lgkmcnt(0)
	v_pk_mul_f32 v[8:9], v[12:13], s[8:9] op_sel:[1,0] op_sel_hi:[0,0]
	v_pk_fma_f32 v[14:15], v[12:13], s[6:7], v[8:9] neg_lo:[0,0,1] neg_hi:[0,0,1]
	v_pk_fma_f32 v[8:9], v[12:13], s[6:7], v[8:9] op_sel_hi:[1,0,1]
	s_nop 0
	v_mov_b32_e32 v15, v9
	v_pk_add_f32 v[6:7], v[6:7], v[14:15]
	s_nop 0
	v_mov_b32_e32 v9, v7
.LBB508_25:
	v_mov_b32_e32 v7, v9
	flat_store_dwordx2 v[0:1], v[6:7]
.LBB508_26:
	s_or_b64 exec, exec, s[4:5]
	v_cmp_le_i32_e32 vcc, v2, v10
	s_and_b64 s[2:3], s[2:3], vcc
	s_and_saveexec_b64 s[4:5], s[2:3]
	s_cbranch_execz .LBB508_30
; %bb.27:
	v_pk_mul_f32 v[6:7], v[20:21], s[34:35] op_sel:[0,1] op_sel_hi:[0,0]
	v_pk_fma_f32 v[0:1], v[18:19], s[34:35], v[6:7] op_sel_hi:[0,1,1] neg_lo:[0,0,1] neg_hi:[0,0,1]
	v_pk_fma_f32 v[6:7], v[18:19], s[34:35], v[6:7] op_sel_hi:[0,1,1]
	s_and_b64 vcc, exec, s[0:1]
	v_lshl_add_u64 v[2:3], v[2:3], 3, v[4:5]
	s_cbranch_vccnz .LBB508_29
; %bb.28:
	flat_load_dwordx2 v[4:5], v[2:3]
	s_mov_b32 s0, s7
	v_mov_b32_e32 v1, v7
	s_waitcnt vmcnt(0) lgkmcnt(0)
	v_pk_mul_f32 v[6:7], v[4:5], s[0:1] op_sel:[1,0] op_sel_hi:[0,0]
	v_pk_fma_f32 v[8:9], v[4:5], s[6:7], v[6:7] neg_lo:[0,0,1] neg_hi:[0,0,1]
	v_pk_fma_f32 v[4:5], v[4:5], s[6:7], v[6:7] op_sel_hi:[1,0,1]
	s_nop 0
	v_mov_b32_e32 v9, v5
	v_pk_add_f32 v[0:1], v[0:1], v[8:9]
	s_nop 0
	v_mov_b32_e32 v7, v1
.LBB508_29:
	v_mov_b32_e32 v1, v7
	flat_store_dwordx2 v[2:3], v[0:1]
.LBB508_30:
	s_endpgm
	.section	.rodata,"a",@progbits
	.p2align	6, 0x0
	.amdhsa_kernel _ZL29rocblas_internal_gemmt_kernelIlLi16ELi32ELi8ELc84ELc84ELc85ELb0ELb0E19rocblas_complex_numIfEPKS1_PKS3_PKPS1_EviT_T9_T10_S9_lSB_S9_lSA_T11_S9_li
		.amdhsa_group_segment_fixed_size 4096
		.amdhsa_private_segment_fixed_size 0
		.amdhsa_kernarg_size 108
		.amdhsa_user_sgpr_count 2
		.amdhsa_user_sgpr_dispatch_ptr 0
		.amdhsa_user_sgpr_queue_ptr 0
		.amdhsa_user_sgpr_kernarg_segment_ptr 1
		.amdhsa_user_sgpr_dispatch_id 0
		.amdhsa_user_sgpr_kernarg_preload_length 0
		.amdhsa_user_sgpr_kernarg_preload_offset 0
		.amdhsa_user_sgpr_private_segment_size 0
		.amdhsa_uses_dynamic_stack 0
		.amdhsa_enable_private_segment 0
		.amdhsa_system_sgpr_workgroup_id_x 1
		.amdhsa_system_sgpr_workgroup_id_y 1
		.amdhsa_system_sgpr_workgroup_id_z 1
		.amdhsa_system_sgpr_workgroup_info 0
		.amdhsa_system_vgpr_workitem_id 1
		.amdhsa_next_free_vgpr 51
		.amdhsa_next_free_sgpr 40
		.amdhsa_accum_offset 52
		.amdhsa_reserve_vcc 1
		.amdhsa_float_round_mode_32 0
		.amdhsa_float_round_mode_16_64 0
		.amdhsa_float_denorm_mode_32 3
		.amdhsa_float_denorm_mode_16_64 3
		.amdhsa_dx10_clamp 1
		.amdhsa_ieee_mode 1
		.amdhsa_fp16_overflow 0
		.amdhsa_tg_split 0
		.amdhsa_exception_fp_ieee_invalid_op 0
		.amdhsa_exception_fp_denorm_src 0
		.amdhsa_exception_fp_ieee_div_zero 0
		.amdhsa_exception_fp_ieee_overflow 0
		.amdhsa_exception_fp_ieee_underflow 0
		.amdhsa_exception_fp_ieee_inexact 0
		.amdhsa_exception_int_div_zero 0
	.end_amdhsa_kernel
	.section	.text._ZL29rocblas_internal_gemmt_kernelIlLi16ELi32ELi8ELc84ELc84ELc85ELb0ELb0E19rocblas_complex_numIfEPKS1_PKS3_PKPS1_EviT_T9_T10_S9_lSB_S9_lSA_T11_S9_li,"axG",@progbits,_ZL29rocblas_internal_gemmt_kernelIlLi16ELi32ELi8ELc84ELc84ELc85ELb0ELb0E19rocblas_complex_numIfEPKS1_PKS3_PKPS1_EviT_T9_T10_S9_lSB_S9_lSA_T11_S9_li,comdat
.Lfunc_end508:
	.size	_ZL29rocblas_internal_gemmt_kernelIlLi16ELi32ELi8ELc84ELc84ELc85ELb0ELb0E19rocblas_complex_numIfEPKS1_PKS3_PKPS1_EviT_T9_T10_S9_lSB_S9_lSA_T11_S9_li, .Lfunc_end508-_ZL29rocblas_internal_gemmt_kernelIlLi16ELi32ELi8ELc84ELc84ELc85ELb0ELb0E19rocblas_complex_numIfEPKS1_PKS3_PKPS1_EviT_T9_T10_S9_lSB_S9_lSA_T11_S9_li
                                        ; -- End function
	.set _ZL29rocblas_internal_gemmt_kernelIlLi16ELi32ELi8ELc84ELc84ELc85ELb0ELb0E19rocblas_complex_numIfEPKS1_PKS3_PKPS1_EviT_T9_T10_S9_lSB_S9_lSA_T11_S9_li.num_vgpr, 51
	.set _ZL29rocblas_internal_gemmt_kernelIlLi16ELi32ELi8ELc84ELc84ELc85ELb0ELb0E19rocblas_complex_numIfEPKS1_PKS3_PKPS1_EviT_T9_T10_S9_lSB_S9_lSA_T11_S9_li.num_agpr, 0
	.set _ZL29rocblas_internal_gemmt_kernelIlLi16ELi32ELi8ELc84ELc84ELc85ELb0ELb0E19rocblas_complex_numIfEPKS1_PKS3_PKPS1_EviT_T9_T10_S9_lSB_S9_lSA_T11_S9_li.numbered_sgpr, 40
	.set _ZL29rocblas_internal_gemmt_kernelIlLi16ELi32ELi8ELc84ELc84ELc85ELb0ELb0E19rocblas_complex_numIfEPKS1_PKS3_PKPS1_EviT_T9_T10_S9_lSB_S9_lSA_T11_S9_li.num_named_barrier, 0
	.set _ZL29rocblas_internal_gemmt_kernelIlLi16ELi32ELi8ELc84ELc84ELc85ELb0ELb0E19rocblas_complex_numIfEPKS1_PKS3_PKPS1_EviT_T9_T10_S9_lSB_S9_lSA_T11_S9_li.private_seg_size, 0
	.set _ZL29rocblas_internal_gemmt_kernelIlLi16ELi32ELi8ELc84ELc84ELc85ELb0ELb0E19rocblas_complex_numIfEPKS1_PKS3_PKPS1_EviT_T9_T10_S9_lSB_S9_lSA_T11_S9_li.uses_vcc, 1
	.set _ZL29rocblas_internal_gemmt_kernelIlLi16ELi32ELi8ELc84ELc84ELc85ELb0ELb0E19rocblas_complex_numIfEPKS1_PKS3_PKPS1_EviT_T9_T10_S9_lSB_S9_lSA_T11_S9_li.uses_flat_scratch, 0
	.set _ZL29rocblas_internal_gemmt_kernelIlLi16ELi32ELi8ELc84ELc84ELc85ELb0ELb0E19rocblas_complex_numIfEPKS1_PKS3_PKPS1_EviT_T9_T10_S9_lSB_S9_lSA_T11_S9_li.has_dyn_sized_stack, 0
	.set _ZL29rocblas_internal_gemmt_kernelIlLi16ELi32ELi8ELc84ELc84ELc85ELb0ELb0E19rocblas_complex_numIfEPKS1_PKS3_PKPS1_EviT_T9_T10_S9_lSB_S9_lSA_T11_S9_li.has_recursion, 0
	.set _ZL29rocblas_internal_gemmt_kernelIlLi16ELi32ELi8ELc84ELc84ELc85ELb0ELb0E19rocblas_complex_numIfEPKS1_PKS3_PKPS1_EviT_T9_T10_S9_lSB_S9_lSA_T11_S9_li.has_indirect_call, 0
	.section	.AMDGPU.csdata,"",@progbits
; Kernel info:
; codeLenInByte = 2516
; TotalNumSgprs: 46
; NumVgprs: 51
; NumAgprs: 0
; TotalNumVgprs: 51
; ScratchSize: 0
; MemoryBound: 0
; FloatMode: 240
; IeeeMode: 1
; LDSByteSize: 4096 bytes/workgroup (compile time only)
; SGPRBlocks: 5
; VGPRBlocks: 6
; NumSGPRsForWavesPerEU: 46
; NumVGPRsForWavesPerEU: 51
; AccumOffset: 52
; Occupancy: 8
; WaveLimiterHint : 1
; COMPUTE_PGM_RSRC2:SCRATCH_EN: 0
; COMPUTE_PGM_RSRC2:USER_SGPR: 2
; COMPUTE_PGM_RSRC2:TRAP_HANDLER: 0
; COMPUTE_PGM_RSRC2:TGID_X_EN: 1
; COMPUTE_PGM_RSRC2:TGID_Y_EN: 1
; COMPUTE_PGM_RSRC2:TGID_Z_EN: 1
; COMPUTE_PGM_RSRC2:TIDIG_COMP_CNT: 1
; COMPUTE_PGM_RSRC3_GFX90A:ACCUM_OFFSET: 12
; COMPUTE_PGM_RSRC3_GFX90A:TG_SPLIT: 0
	.section	.text._ZL29rocblas_internal_gemmt_kernelIlLi16ELi32ELi8ELc84ELc67ELc85ELb0ELb1E19rocblas_complex_numIfEPKS1_PKS3_PKPS1_EviT_T9_T10_S9_lSB_S9_lSA_T11_S9_li,"axG",@progbits,_ZL29rocblas_internal_gemmt_kernelIlLi16ELi32ELi8ELc84ELc67ELc85ELb0ELb1E19rocblas_complex_numIfEPKS1_PKS3_PKPS1_EviT_T9_T10_S9_lSB_S9_lSA_T11_S9_li,comdat
	.globl	_ZL29rocblas_internal_gemmt_kernelIlLi16ELi32ELi8ELc84ELc67ELc85ELb0ELb1E19rocblas_complex_numIfEPKS1_PKS3_PKPS1_EviT_T9_T10_S9_lSB_S9_lSA_T11_S9_li ; -- Begin function _ZL29rocblas_internal_gemmt_kernelIlLi16ELi32ELi8ELc84ELc67ELc85ELb0ELb1E19rocblas_complex_numIfEPKS1_PKS3_PKPS1_EviT_T9_T10_S9_lSB_S9_lSA_T11_S9_li
	.p2align	8
	.type	_ZL29rocblas_internal_gemmt_kernelIlLi16ELi32ELi8ELc84ELc67ELc85ELb0ELb1E19rocblas_complex_numIfEPKS1_PKS3_PKPS1_EviT_T9_T10_S9_lSB_S9_lSA_T11_S9_li,@function
_ZL29rocblas_internal_gemmt_kernelIlLi16ELi32ELi8ELc84ELc67ELc85ELb0ELb1E19rocblas_complex_numIfEPKS1_PKS3_PKPS1_EviT_T9_T10_S9_lSB_S9_lSA_T11_S9_li: ; @_ZL29rocblas_internal_gemmt_kernelIlLi16ELi32ELi8ELc84ELc67ELc85ELb0ELb1E19rocblas_complex_numIfEPKS1_PKS3_PKPS1_EviT_T9_T10_S9_lSB_S9_lSA_T11_S9_li
; %bb.0:
	s_load_dwordx8 s[24:31], s[0:1], 0x48
	s_load_dwordx16 s[8:23], s[0:1], 0x8
	s_waitcnt lgkmcnt(0)
	s_load_dwordx2 s[6:7], s[24:25], 0x0
	s_load_dwordx2 s[34:35], s[10:11], 0x0
	s_waitcnt lgkmcnt(0)
	s_and_b32 s5, s7, 0x7fffffff
	s_cmp_eq_u32 s5, 0
	v_cmp_eq_f32_e64 s[24:25], s6, 1.0
	s_cselect_b64 s[10:11], -1, 0
	s_and_b64 s[24:25], s[24:25], s[10:11]
	s_and_b64 vcc, exec, s[24:25]
	s_cbranch_vccnz .LBB509_2
; %bb.1:
	s_mov_b64 s[24:25], -1
	s_cbranch_execz .LBB509_3
	s_branch .LBB509_4
.LBB509_2:
	s_mov_b64 s[24:25], 0
.LBB509_3:
	s_cmp_lg_u64 s[8:9], 0
	v_cmp_neq_f32_e64 s[36:37], s34, 0
	v_cmp_neq_f32_e64 s[38:39], s35, 0
	s_cselect_b64 s[24:25], -1, 0
	s_or_b64 s[36:37], s[36:37], s[38:39]
	s_and_b64 s[24:25], s[24:25], s[36:37]
.LBB509_4:
	s_andn2_b64 vcc, exec, s[24:25]
	s_cbranch_vccnz .LBB509_32
; %bb.5:
	s_mov_b32 s5, 0
	s_load_dword s24, s[0:1], 0x0
	s_lshl_b64 s[0:1], s[4:5], 3
	s_add_u32 s4, s26, s0
	s_addc_u32 s5, s27, s1
	s_load_dwordx2 s[4:5], s[4:5], 0x0
	s_lshl_b32 s25, s2, 5
	s_lshl_b32 s26, s3, 5
	v_cmp_eq_f32_e64 s[2:3], s34, 0
	v_cmp_eq_f32_e64 s[36:37], s35, 0
	s_and_b64 s[2:3], s[2:3], s[36:37]
	v_cmp_lt_i64_e64 s[36:37], s[8:9], 1
	s_or_b64 s[2:3], s[2:3], s[36:37]
	v_and_b32_e32 v9, 0x3ff, v0
	v_bfe_u32 v11, v0, 10, 10
	v_mov_b32_e32 v30, 0
	s_and_b64 vcc, exec, s[2:3]
	v_mov_b32_e32 v32, 0
	v_mov_b32_e32 v26, 0
	;; [unrolled: 1-line block ×7, first 2 shown]
	s_cbranch_vccnz .LBB509_16
; %bb.6:
	s_add_u32 s2, s18, s0
	s_addc_u32 s3, s19, s1
	s_load_dwordx2 s[2:3], s[2:3], 0x0
	s_lshl_b64 s[18:19], s[22:23], 3
	v_lshl_add_u32 v1, v11, 4, v9
	v_lshrrev_b32_e32 v10, 5, v1
	v_lshrrev_b32_e32 v4, 3, v1
	s_waitcnt lgkmcnt(0)
	s_add_u32 s2, s2, s18
	s_addc_u32 s3, s3, s19
	s_add_u32 s0, s12, s0
	s_addc_u32 s1, s13, s1
	s_load_dwordx2 s[0:1], s[0:1], 0x0
	s_lshl_b64 s[12:13], s[16:17], 3
	v_and_b32_e32 v1, 31, v1
	v_or_b32_e32 v2, s25, v1
	v_lshlrev_b32_e32 v1, 3, v1
	s_waitcnt lgkmcnt(0)
	s_add_u32 s12, s0, s12
	s_addc_u32 s13, s1, s13
	s_ashr_i32 s18, s25, 31
	v_and_b32_e32 v8, 7, v9
	v_cmp_gt_i32_e64 s[0:1], s24, v2
	v_lshl_or_b32 v19, v10, 8, v1
	v_mul_lo_u32 v1, s15, v2
	v_mad_u64_u32 v[2:3], s[16:17], s14, v2, 0
	s_mul_i32 s14, s14, s18
	v_add3_u32 v3, v3, s14, v1
	v_lshlrev_b32_e32 v1, 3, v8
	v_add_u32_e32 v0, s26, v4
	v_lshl_or_b32 v1, v4, 6, v1
	v_add_u32_e32 v21, 0x800, v1
	v_ashrrev_i32_e32 v1, 31, v0
	v_cmp_gt_i32_e32 vcc, s24, v0
	v_lshl_add_u64 v[14:15], v[0:1], 3, s[2:3]
	v_mov_b32_e32 v0, 0x800
	v_lshl_add_u64 v[12:13], v[2:3], 3, s[12:13]
	v_lshlrev_b32_e32 v23, 3, v9
	v_lshl_add_u32 v25, v11, 6, v0
	v_mov_b32_e32 v17, 0
	s_mov_b64 s[2:3], 0
	s_xor_b64 s[12:13], vcc, -1
	v_mov_b32_e32 v20, 0
	v_mov_b32_e32 v18, 0
	;; [unrolled: 1-line block ×8, first 2 shown]
	s_branch .LBB509_8
.LBB509_7:                              ;   in Loop: Header=BB509_8 Depth=1
	s_or_b64 exec, exec, s[14:15]
	ds_write_b32 v21, v0 offset:4
	s_waitcnt lgkmcnt(0)
	s_barrier
	ds_read2_b64 v[34:37], v23 offset1:16
	ds_read_b128 v[38:41], v25
	ds_read_b128 v[42:45], v25 offset:16
	ds_read_b128 v[4:7], v25 offset:32
	;; [unrolled: 1-line block ×3, first 2 shown]
	s_add_u32 s2, s2, 8
	s_waitcnt lgkmcnt(3)
	v_mul_f32_e32 v16, v39, v35
	v_mul_f32_e32 v27, v38, v35
	v_fma_f32 v16, v38, v34, -v16
	v_fmac_f32_e32 v27, v39, v34
	v_add_f32_e32 v16, v30, v16
	v_add_f32_e32 v50, v32, v27
	ds_read_b128 v[30:33], v25 offset:1024
	v_mul_f32_e32 v27, v39, v37
	v_mul_f32_e32 v29, v38, v37
	v_fma_f32 v27, v38, v36, -v27
	v_fmac_f32_e32 v29, v39, v36
	v_add_f32_e32 v38, v26, v27
	v_add_f32_e32 v39, v28, v29
	ds_read_b128 v[26:29], v25 offset:1040
	s_waitcnt lgkmcnt(1)
	v_mul_f32_e32 v46, v31, v35
	v_fma_f32 v46, v30, v34, -v46
	v_add_f32_e32 v22, v22, v46
	ds_read2_b64 v[46:49], v23 offset0:32 offset1:48
	v_mul_f32_e32 v35, v30, v35
	v_fmac_f32_e32 v35, v31, v34
	v_mul_f32_e32 v34, v31, v37
	v_fma_f32 v34, v30, v36, -v34
	v_mul_f32_e32 v30, v30, v37
	v_fmac_f32_e32 v30, v31, v36
	v_add_f32_e32 v20, v20, v30
	s_waitcnt lgkmcnt(0)
	v_mul_f32_e32 v30, v41, v47
	v_mul_f32_e32 v31, v40, v47
	v_fma_f32 v30, v40, v46, -v30
	v_fmac_f32_e32 v31, v41, v46
	v_add_f32_e32 v18, v18, v34
	v_add_f32_e32 v16, v16, v30
	;; [unrolled: 1-line block ×3, first 2 shown]
	v_mul_f32_e32 v31, v41, v49
	v_mul_f32_e32 v34, v40, v49
	v_fma_f32 v31, v40, v48, -v31
	v_fmac_f32_e32 v34, v41, v48
	v_add_f32_e32 v31, v38, v31
	v_add_f32_e32 v38, v39, v34
	v_mul_f32_e32 v34, v33, v47
	v_add_f32_e32 v24, v24, v35
	v_fma_f32 v34, v32, v46, -v34
	v_mul_f32_e32 v35, v32, v47
	v_fmac_f32_e32 v35, v33, v46
	v_add_f32_e32 v22, v22, v34
	v_mul_f32_e32 v34, v33, v49
	v_add_f32_e32 v24, v24, v35
	v_fma_f32 v39, v32, v48, -v34
	ds_read2_b64 v[34:37], v23 offset0:64 offset1:80
	v_mul_f32_e32 v32, v32, v49
	v_fmac_f32_e32 v32, v33, v48
	v_add_f32_e32 v18, v18, v39
	v_add_f32_e32 v20, v20, v32
	s_waitcnt lgkmcnt(0)
	v_mul_f32_e32 v33, v42, v35
	v_fmac_f32_e32 v33, v43, v34
	v_add_f32_e32 v39, v30, v33
	v_mul_f32_e32 v30, v43, v37
	v_mul_f32_e32 v32, v43, v35
	v_fma_f32 v30, v42, v36, -v30
	v_fma_f32 v32, v42, v34, -v32
	v_add_f32_e32 v40, v31, v30
	v_mul_f32_e32 v30, v27, v35
	v_add_f32_e32 v16, v16, v32
	v_mul_f32_e32 v32, v42, v37
	v_fma_f32 v30, v26, v34, -v30
	v_mul_f32_e32 v31, v26, v35
	v_fmac_f32_e32 v32, v43, v36
	v_fmac_f32_e32 v31, v27, v34
	v_add_f32_e32 v22, v22, v30
	v_mul_f32_e32 v30, v27, v37
	v_add_f32_e32 v38, v38, v32
	v_add_f32_e32 v24, v24, v31
	v_fma_f32 v34, v26, v36, -v30
	ds_read2_b64 v[30:33], v23 offset0:96 offset1:112
	v_mul_f32_e32 v26, v26, v37
	v_fmac_f32_e32 v26, v27, v36
	v_add_f32_e32 v20, v20, v26
	v_add_f32_e32 v18, v18, v34
	s_waitcnt lgkmcnt(0)
	v_mul_f32_e32 v26, v45, v31
	v_mul_f32_e32 v27, v44, v31
	v_fma_f32 v26, v44, v30, -v26
	v_fmac_f32_e32 v27, v45, v30
	v_add_f32_e32 v16, v16, v26
	v_add_f32_e32 v26, v39, v27
	v_mul_f32_e32 v27, v45, v33
	v_mul_f32_e32 v34, v44, v33
	v_fma_f32 v27, v44, v32, -v27
	v_fmac_f32_e32 v34, v45, v32
	v_add_f32_e32 v39, v40, v27
	v_add_f32_e32 v38, v38, v34
	v_mul_f32_e32 v27, v29, v31
	ds_read2_b64 v[34:37], v23 offset0:128 offset1:144
	v_fma_f32 v27, v28, v30, -v27
	v_add_f32_e32 v22, v22, v27
	v_mul_f32_e32 v27, v29, v33
	v_mul_f32_e32 v31, v28, v31
	v_fma_f32 v27, v28, v32, -v27
	v_mul_f32_e32 v28, v28, v33
	v_fmac_f32_e32 v28, v29, v32
	v_add_f32_e32 v20, v20, v28
	s_waitcnt lgkmcnt(0)
	v_mul_f32_e32 v28, v4, v35
	v_add_f32_e32 v18, v18, v27
	v_mul_f32_e32 v27, v5, v35
	v_fmac_f32_e32 v28, v5, v34
	v_fma_f32 v27, v4, v34, -v27
	v_add_f32_e32 v42, v26, v28
	v_mul_f32_e32 v26, v5, v37
	v_fmac_f32_e32 v31, v29, v30
	v_add_f32_e32 v16, v16, v27
	v_fma_f32 v30, v4, v36, -v26
	ds_read_b128 v[26:29], v25 offset:1056
	v_mul_f32_e32 v4, v4, v37
	v_fmac_f32_e32 v4, v5, v36
	v_add_f32_e32 v5, v39, v30
	v_add_f32_e32 v4, v38, v4
	ds_read_b128 v[38:41], v25 offset:1072
	s_waitcnt lgkmcnt(1)
	v_mul_f32_e32 v30, v27, v35
	v_add_f32_e32 v24, v24, v31
	v_fma_f32 v30, v26, v34, -v30
	v_mul_f32_e32 v31, v26, v35
	v_fmac_f32_e32 v31, v27, v34
	v_add_f32_e32 v22, v22, v30
	v_mul_f32_e32 v30, v27, v37
	v_add_f32_e32 v24, v24, v31
	v_fma_f32 v34, v26, v36, -v30
	ds_read2_b64 v[30:33], v23 offset0:160 offset1:176
	v_mul_f32_e32 v26, v26, v37
	v_fmac_f32_e32 v26, v27, v36
	v_add_f32_e32 v20, v20, v26
	v_add_f32_e32 v18, v18, v34
	s_waitcnt lgkmcnt(0)
	v_mul_f32_e32 v26, v7, v31
	v_mul_f32_e32 v27, v6, v31
	v_fma_f32 v26, v6, v30, -v26
	v_fmac_f32_e32 v27, v7, v30
	v_add_f32_e32 v16, v16, v26
	v_add_f32_e32 v26, v42, v27
	v_mul_f32_e32 v27, v7, v33
	v_fma_f32 v27, v6, v32, -v27
	v_mul_f32_e32 v6, v6, v33
	v_fmac_f32_e32 v6, v7, v32
	v_add_f32_e32 v34, v4, v6
	v_mul_f32_e32 v4, v29, v31
	v_add_f32_e32 v27, v5, v27
	v_fma_f32 v4, v28, v30, -v4
	v_mul_f32_e32 v5, v28, v31
	v_fmac_f32_e32 v5, v29, v30
	v_add_f32_e32 v22, v22, v4
	v_mul_f32_e32 v4, v29, v33
	v_add_f32_e32 v24, v24, v5
	v_fma_f32 v30, v28, v32, -v4
	ds_read2_b64 v[4:7], v23 offset0:192 offset1:208
	v_mul_f32_e32 v28, v28, v33
	v_fmac_f32_e32 v28, v29, v32
	v_add_f32_e32 v20, v20, v28
	v_add_f32_e32 v18, v18, v30
	s_waitcnt lgkmcnt(0)
	v_mul_f32_e32 v28, v1, v5
	v_fma_f32 v28, v0, v4, -v28
	v_add_f32_e32 v16, v16, v28
	v_mul_f32_e32 v28, v1, v7
	v_mul_f32_e32 v29, v0, v5
	v_fma_f32 v28, v0, v6, -v28
	v_mul_f32_e32 v0, v0, v7
	v_fmac_f32_e32 v0, v1, v6
	v_add_f32_e32 v0, v34, v0
	ds_read2_b64 v[34:37], v23 offset0:224 offset1:240
	v_fmac_f32_e32 v29, v1, v4
	v_add_f32_e32 v1, v27, v28
	v_mul_f32_e32 v27, v39, v5
	v_fma_f32 v27, v38, v4, -v27
	v_mul_f32_e32 v5, v38, v5
	v_fmac_f32_e32 v5, v39, v4
	v_add_f32_e32 v4, v22, v27
	v_mul_f32_e32 v22, v39, v7
	v_fma_f32 v22, v38, v6, -v22
	v_mul_f32_e32 v7, v38, v7
	v_fmac_f32_e32 v7, v39, v6
	v_add_f32_e32 v6, v18, v22
	s_waitcnt lgkmcnt(0)
	v_mul_f32_e32 v18, v3, v35
	v_fma_f32 v18, v2, v34, -v18
	v_add_f32_e32 v30, v16, v18
	v_mul_f32_e32 v16, v3, v37
	v_add_f32_e32 v7, v20, v7
	v_mul_f32_e32 v20, v2, v35
	v_fma_f32 v16, v2, v36, -v16
	v_mul_f32_e32 v2, v2, v37
	v_add_f32_e32 v26, v26, v29
	v_fmac_f32_e32 v20, v3, v34
	v_fmac_f32_e32 v2, v3, v36
	v_add_f32_e32 v32, v26, v20
	v_add_f32_e32 v26, v1, v16
	;; [unrolled: 1-line block ×3, first 2 shown]
	v_mul_f32_e32 v0, v41, v35
	v_mul_f32_e32 v1, v40, v35
	v_add_f32_e32 v5, v24, v5
	v_fma_f32 v0, v40, v34, -v0
	v_fmac_f32_e32 v1, v41, v34
	v_add_f32_e32 v22, v4, v0
	v_add_f32_e32 v24, v5, v1
	v_mul_f32_e32 v0, v41, v37
	v_mul_f32_e32 v1, v40, v37
	v_fma_f32 v0, v40, v36, -v0
	v_fmac_f32_e32 v1, v41, v36
	s_addc_u32 s3, s3, 0
	v_add_f32_e32 v18, v6, v0
	v_add_f32_e32 v20, v7, v1
	v_mov_b64_e32 v[0:1], s[2:3]
	v_cmp_gt_i64_e32 vcc, s[8:9], v[0:1]
	s_barrier
	s_cbranch_vccz .LBB509_16
.LBB509_8:                              ; =>This Inner Loop Header: Depth=1
	v_mov_b32_e32 v0, 0
	v_mov_b32_e32 v1, 0
	s_and_saveexec_b64 s[14:15], s[0:1]
	s_cbranch_execz .LBB509_12
; %bb.9:                                ;   in Loop: Header=BB509_8 Depth=1
	v_add_u32_e32 v16, s2, v10
	v_cmp_gt_u64_e32 vcc, s[8:9], v[16:17]
	v_mov_b32_e32 v1, 0
	v_mov_b32_e32 v0, 0
	s_and_saveexec_b64 s[16:17], vcc
	s_cbranch_execz .LBB509_11
; %bb.10:                               ;   in Loop: Header=BB509_8 Depth=1
	v_lshl_add_u64 v[0:1], v[16:17], 3, v[12:13]
	flat_load_dwordx2 v[0:1], v[0:1]
.LBB509_11:                             ;   in Loop: Header=BB509_8 Depth=1
	s_or_b64 exec, exec, s[16:17]
.LBB509_12:                             ;   in Loop: Header=BB509_8 Depth=1
	s_or_b64 exec, exec, s[14:15]
	v_add_u32_e32 v16, s2, v8
	v_cmp_le_u64_e32 vcc, s[8:9], v[16:17]
	s_or_b64 s[14:15], vcc, s[12:13]
	s_waitcnt vmcnt(0) lgkmcnt(0)
	ds_write_b64 v19, v[0:1]
	s_and_saveexec_b64 s[16:17], s[14:15]
	s_xor_b64 s[14:15], exec, s[16:17]
; %bb.13:                               ;   in Loop: Header=BB509_8 Depth=1
	ds_write_b32 v21, v17
; %bb.14:                               ;   in Loop: Header=BB509_8 Depth=1
	s_or_saveexec_b64 s[14:15], s[14:15]
	v_mov_b32_e32 v0, 0
	s_xor_b64 exec, exec, s[14:15]
	s_cbranch_execz .LBB509_7
; %bb.15:                               ;   in Loop: Header=BB509_8 Depth=1
	v_mad_u64_u32 v[0:1], s[16:17], s20, v16, 0
	v_mov_b32_e32 v2, v1
	v_mad_u64_u32 v[2:3], s[16:17], s21, v16, v[2:3]
	v_mov_b32_e32 v1, v2
	v_lshl_add_u64 v[0:1], v[0:1], 3, v[14:15]
	flat_load_dwordx2 v[2:3], v[0:1]
	s_waitcnt vmcnt(0) lgkmcnt(0)
	v_xor_b32_e32 v0, 0x80000000, v3
	ds_write_b32 v21, v2
	s_branch .LBB509_7
.LBB509_16:
	s_lshl_b64 s[0:1], s[30:31], 3
	v_add_u32_e32 v10, s26, v11
	s_waitcnt lgkmcnt(0)
	s_add_u32 s4, s4, s0
	v_ashrrev_i32_e32 v1, 31, v10
	s_addc_u32 s5, s5, s1
	v_cmp_neq_f32_e64 s[0:1], s6, 0
	s_xor_b64 s[8:9], s[10:11], -1
	v_mul_lo_u32 v1, s28, v1
	v_mul_lo_u32 v4, s29, v10
	v_mad_u64_u32 v[2:3], s[10:11], s28, v10, 0
	v_add_u32_e32 v0, s25, v9
	v_add3_u32 v3, v3, v1, v4
	s_or_b64 s[0:1], s[0:1], s[8:9]
	v_cmp_gt_i32_e64 s[2:3], s24, v10
	v_lshl_add_u64 v[4:5], v[2:3], 3, s[4:5]
	v_cmp_le_i32_e32 vcc, v0, v10
	v_cndmask_b32_e64 v2, 0, 1, s[0:1]
	s_and_b64 s[10:11], s[2:3], vcc
	v_ashrrev_i32_e32 v1, 31, v0
	v_cmp_ne_u32_e64 s[0:1], 1, v2
	s_and_saveexec_b64 s[8:9], s[10:11]
	s_cbranch_execz .LBB509_20
; %bb.17:
	v_pk_mul_f32 v[6:7], v[32:33], s[34:35] op_sel:[0,1] op_sel_hi:[0,0]
	v_pk_fma_f32 v[2:3], v[30:31], s[34:35], v[6:7] op_sel_hi:[0,1,1] neg_lo:[0,0,1] neg_hi:[0,0,1]
	v_pk_fma_f32 v[8:9], v[30:31], s[34:35], v[6:7] op_sel_hi:[0,1,1]
	s_and_b64 vcc, exec, s[0:1]
	v_lshl_add_u64 v[6:7], v[0:1], 3, v[4:5]
	s_cbranch_vccnz .LBB509_19
; %bb.18:
	flat_load_dwordx2 v[12:13], v[6:7]
	s_mov_b32 s10, s7
	v_mov_b32_e32 v3, v9
	s_waitcnt vmcnt(0) lgkmcnt(0)
	v_pk_mul_f32 v[8:9], v[12:13], s[10:11] op_sel:[1,0] op_sel_hi:[0,0]
	v_pk_fma_f32 v[14:15], v[12:13], s[6:7], v[8:9] neg_lo:[0,0,1] neg_hi:[0,0,1]
	v_pk_fma_f32 v[8:9], v[12:13], s[6:7], v[8:9] op_sel_hi:[1,0,1]
	s_nop 0
	v_mov_b32_e32 v15, v9
	v_pk_add_f32 v[2:3], v[2:3], v[14:15]
	s_nop 0
	v_mov_b32_e32 v9, v3
.LBB509_19:
	v_mov_b32_e32 v3, v9
	flat_store_dwordx2 v[6:7], v[2:3]
.LBB509_20:
	s_or_b64 exec, exec, s[8:9]
	v_add_u32_e32 v2, 16, v0
	v_cmp_le_i32_e32 vcc, v2, v10
	s_and_b64 s[8:9], s[2:3], vcc
	v_ashrrev_i32_e32 v3, 31, v2
	s_and_saveexec_b64 s[2:3], s[8:9]
	s_cbranch_execz .LBB509_24
; %bb.21:
	v_pk_mul_f32 v[8:9], v[28:29], s[34:35] op_sel:[0,1] op_sel_hi:[0,0]
	v_pk_fma_f32 v[6:7], v[26:27], s[34:35], v[8:9] op_sel_hi:[0,1,1] neg_lo:[0,0,1] neg_hi:[0,0,1]
	v_pk_fma_f32 v[8:9], v[26:27], s[34:35], v[8:9] op_sel_hi:[0,1,1]
	s_and_b64 vcc, exec, s[0:1]
	v_lshl_add_u64 v[4:5], v[2:3], 3, v[4:5]
	s_cbranch_vccnz .LBB509_23
; %bb.22:
	flat_load_dwordx2 v[12:13], v[4:5]
	s_mov_b32 s8, s7
	v_mov_b32_e32 v7, v9
	s_waitcnt vmcnt(0) lgkmcnt(0)
	v_pk_mul_f32 v[8:9], v[12:13], s[8:9] op_sel:[1,0] op_sel_hi:[0,0]
	v_pk_fma_f32 v[14:15], v[12:13], s[6:7], v[8:9] neg_lo:[0,0,1] neg_hi:[0,0,1]
	v_pk_fma_f32 v[8:9], v[12:13], s[6:7], v[8:9] op_sel_hi:[1,0,1]
	s_nop 0
	v_mov_b32_e32 v15, v9
	v_pk_add_f32 v[6:7], v[6:7], v[14:15]
	s_nop 0
	v_mov_b32_e32 v9, v7
.LBB509_23:
	v_mov_b32_e32 v7, v9
	flat_store_dwordx2 v[4:5], v[6:7]
.LBB509_24:
	s_or_b64 exec, exec, s[2:3]
	v_add_u32_e32 v10, 16, v10
	v_ashrrev_i32_e32 v4, 31, v10
	v_mul_lo_u32 v6, s28, v4
	v_mul_lo_u32 v7, s29, v10
	v_mad_u64_u32 v[4:5], s[8:9], s28, v10, 0
	v_cmp_gt_i32_e64 s[2:3], s24, v10
	v_add3_u32 v5, v5, v6, v7
	v_cmp_le_i32_e32 vcc, v0, v10
	v_lshl_add_u64 v[4:5], v[4:5], 3, s[4:5]
	s_and_b64 s[8:9], s[2:3], vcc
	s_and_saveexec_b64 s[4:5], s[8:9]
	s_cbranch_execz .LBB509_28
; %bb.25:
	v_pk_mul_f32 v[8:9], v[24:25], s[34:35] op_sel:[0,1] op_sel_hi:[0,0]
	v_pk_fma_f32 v[6:7], v[22:23], s[34:35], v[8:9] op_sel_hi:[0,1,1] neg_lo:[0,0,1] neg_hi:[0,0,1]
	v_pk_fma_f32 v[8:9], v[22:23], s[34:35], v[8:9] op_sel_hi:[0,1,1]
	s_and_b64 vcc, exec, s[0:1]
	v_lshl_add_u64 v[0:1], v[0:1], 3, v[4:5]
	s_cbranch_vccnz .LBB509_27
; %bb.26:
	flat_load_dwordx2 v[12:13], v[0:1]
	s_mov_b32 s8, s7
	v_mov_b32_e32 v7, v9
	s_waitcnt vmcnt(0) lgkmcnt(0)
	v_pk_mul_f32 v[8:9], v[12:13], s[8:9] op_sel:[1,0] op_sel_hi:[0,0]
	v_pk_fma_f32 v[14:15], v[12:13], s[6:7], v[8:9] neg_lo:[0,0,1] neg_hi:[0,0,1]
	v_pk_fma_f32 v[8:9], v[12:13], s[6:7], v[8:9] op_sel_hi:[1,0,1]
	s_nop 0
	v_mov_b32_e32 v15, v9
	v_pk_add_f32 v[6:7], v[6:7], v[14:15]
	s_nop 0
	v_mov_b32_e32 v9, v7
.LBB509_27:
	v_mov_b32_e32 v7, v9
	flat_store_dwordx2 v[0:1], v[6:7]
.LBB509_28:
	s_or_b64 exec, exec, s[4:5]
	v_cmp_le_i32_e32 vcc, v2, v10
	s_and_b64 s[2:3], s[2:3], vcc
	s_and_saveexec_b64 s[4:5], s[2:3]
	s_cbranch_execz .LBB509_32
; %bb.29:
	v_pk_mul_f32 v[6:7], v[20:21], s[34:35] op_sel:[0,1] op_sel_hi:[0,0]
	v_pk_fma_f32 v[0:1], v[18:19], s[34:35], v[6:7] op_sel_hi:[0,1,1] neg_lo:[0,0,1] neg_hi:[0,0,1]
	v_pk_fma_f32 v[6:7], v[18:19], s[34:35], v[6:7] op_sel_hi:[0,1,1]
	s_and_b64 vcc, exec, s[0:1]
	v_lshl_add_u64 v[2:3], v[2:3], 3, v[4:5]
	s_cbranch_vccnz .LBB509_31
; %bb.30:
	flat_load_dwordx2 v[4:5], v[2:3]
	s_mov_b32 s0, s7
	v_mov_b32_e32 v1, v7
	s_waitcnt vmcnt(0) lgkmcnt(0)
	v_pk_mul_f32 v[6:7], v[4:5], s[0:1] op_sel:[1,0] op_sel_hi:[0,0]
	v_pk_fma_f32 v[8:9], v[4:5], s[6:7], v[6:7] neg_lo:[0,0,1] neg_hi:[0,0,1]
	v_pk_fma_f32 v[4:5], v[4:5], s[6:7], v[6:7] op_sel_hi:[1,0,1]
	s_nop 0
	v_mov_b32_e32 v9, v5
	v_pk_add_f32 v[0:1], v[0:1], v[8:9]
	s_nop 0
	v_mov_b32_e32 v7, v1
.LBB509_31:
	v_mov_b32_e32 v1, v7
	flat_store_dwordx2 v[2:3], v[0:1]
.LBB509_32:
	s_endpgm
	.section	.rodata,"a",@progbits
	.p2align	6, 0x0
	.amdhsa_kernel _ZL29rocblas_internal_gemmt_kernelIlLi16ELi32ELi8ELc84ELc67ELc85ELb0ELb1E19rocblas_complex_numIfEPKS1_PKS3_PKPS1_EviT_T9_T10_S9_lSB_S9_lSA_T11_S9_li
		.amdhsa_group_segment_fixed_size 4096
		.amdhsa_private_segment_fixed_size 0
		.amdhsa_kernarg_size 108
		.amdhsa_user_sgpr_count 2
		.amdhsa_user_sgpr_dispatch_ptr 0
		.amdhsa_user_sgpr_queue_ptr 0
		.amdhsa_user_sgpr_kernarg_segment_ptr 1
		.amdhsa_user_sgpr_dispatch_id 0
		.amdhsa_user_sgpr_kernarg_preload_length 0
		.amdhsa_user_sgpr_kernarg_preload_offset 0
		.amdhsa_user_sgpr_private_segment_size 0
		.amdhsa_uses_dynamic_stack 0
		.amdhsa_enable_private_segment 0
		.amdhsa_system_sgpr_workgroup_id_x 1
		.amdhsa_system_sgpr_workgroup_id_y 1
		.amdhsa_system_sgpr_workgroup_id_z 1
		.amdhsa_system_sgpr_workgroup_info 0
		.amdhsa_system_vgpr_workitem_id 1
		.amdhsa_next_free_vgpr 51
		.amdhsa_next_free_sgpr 40
		.amdhsa_accum_offset 52
		.amdhsa_reserve_vcc 1
		.amdhsa_float_round_mode_32 0
		.amdhsa_float_round_mode_16_64 0
		.amdhsa_float_denorm_mode_32 3
		.amdhsa_float_denorm_mode_16_64 3
		.amdhsa_dx10_clamp 1
		.amdhsa_ieee_mode 1
		.amdhsa_fp16_overflow 0
		.amdhsa_tg_split 0
		.amdhsa_exception_fp_ieee_invalid_op 0
		.amdhsa_exception_fp_denorm_src 0
		.amdhsa_exception_fp_ieee_div_zero 0
		.amdhsa_exception_fp_ieee_overflow 0
		.amdhsa_exception_fp_ieee_underflow 0
		.amdhsa_exception_fp_ieee_inexact 0
		.amdhsa_exception_int_div_zero 0
	.end_amdhsa_kernel
	.section	.text._ZL29rocblas_internal_gemmt_kernelIlLi16ELi32ELi8ELc84ELc67ELc85ELb0ELb1E19rocblas_complex_numIfEPKS1_PKS3_PKPS1_EviT_T9_T10_S9_lSB_S9_lSA_T11_S9_li,"axG",@progbits,_ZL29rocblas_internal_gemmt_kernelIlLi16ELi32ELi8ELc84ELc67ELc85ELb0ELb1E19rocblas_complex_numIfEPKS1_PKS3_PKPS1_EviT_T9_T10_S9_lSB_S9_lSA_T11_S9_li,comdat
.Lfunc_end509:
	.size	_ZL29rocblas_internal_gemmt_kernelIlLi16ELi32ELi8ELc84ELc67ELc85ELb0ELb1E19rocblas_complex_numIfEPKS1_PKS3_PKPS1_EviT_T9_T10_S9_lSB_S9_lSA_T11_S9_li, .Lfunc_end509-_ZL29rocblas_internal_gemmt_kernelIlLi16ELi32ELi8ELc84ELc67ELc85ELb0ELb1E19rocblas_complex_numIfEPKS1_PKS3_PKPS1_EviT_T9_T10_S9_lSB_S9_lSA_T11_S9_li
                                        ; -- End function
	.set _ZL29rocblas_internal_gemmt_kernelIlLi16ELi32ELi8ELc84ELc67ELc85ELb0ELb1E19rocblas_complex_numIfEPKS1_PKS3_PKPS1_EviT_T9_T10_S9_lSB_S9_lSA_T11_S9_li.num_vgpr, 51
	.set _ZL29rocblas_internal_gemmt_kernelIlLi16ELi32ELi8ELc84ELc67ELc85ELb0ELb1E19rocblas_complex_numIfEPKS1_PKS3_PKPS1_EviT_T9_T10_S9_lSB_S9_lSA_T11_S9_li.num_agpr, 0
	.set _ZL29rocblas_internal_gemmt_kernelIlLi16ELi32ELi8ELc84ELc67ELc85ELb0ELb1E19rocblas_complex_numIfEPKS1_PKS3_PKPS1_EviT_T9_T10_S9_lSB_S9_lSA_T11_S9_li.numbered_sgpr, 40
	.set _ZL29rocblas_internal_gemmt_kernelIlLi16ELi32ELi8ELc84ELc67ELc85ELb0ELb1E19rocblas_complex_numIfEPKS1_PKS3_PKPS1_EviT_T9_T10_S9_lSB_S9_lSA_T11_S9_li.num_named_barrier, 0
	.set _ZL29rocblas_internal_gemmt_kernelIlLi16ELi32ELi8ELc84ELc67ELc85ELb0ELb1E19rocblas_complex_numIfEPKS1_PKS3_PKPS1_EviT_T9_T10_S9_lSB_S9_lSA_T11_S9_li.private_seg_size, 0
	.set _ZL29rocblas_internal_gemmt_kernelIlLi16ELi32ELi8ELc84ELc67ELc85ELb0ELb1E19rocblas_complex_numIfEPKS1_PKS3_PKPS1_EviT_T9_T10_S9_lSB_S9_lSA_T11_S9_li.uses_vcc, 1
	.set _ZL29rocblas_internal_gemmt_kernelIlLi16ELi32ELi8ELc84ELc67ELc85ELb0ELb1E19rocblas_complex_numIfEPKS1_PKS3_PKPS1_EviT_T9_T10_S9_lSB_S9_lSA_T11_S9_li.uses_flat_scratch, 0
	.set _ZL29rocblas_internal_gemmt_kernelIlLi16ELi32ELi8ELc84ELc67ELc85ELb0ELb1E19rocblas_complex_numIfEPKS1_PKS3_PKPS1_EviT_T9_T10_S9_lSB_S9_lSA_T11_S9_li.has_dyn_sized_stack, 0
	.set _ZL29rocblas_internal_gemmt_kernelIlLi16ELi32ELi8ELc84ELc67ELc85ELb0ELb1E19rocblas_complex_numIfEPKS1_PKS3_PKPS1_EviT_T9_T10_S9_lSB_S9_lSA_T11_S9_li.has_recursion, 0
	.set _ZL29rocblas_internal_gemmt_kernelIlLi16ELi32ELi8ELc84ELc67ELc85ELb0ELb1E19rocblas_complex_numIfEPKS1_PKS3_PKPS1_EviT_T9_T10_S9_lSB_S9_lSA_T11_S9_li.has_indirect_call, 0
	.section	.AMDGPU.csdata,"",@progbits
; Kernel info:
; codeLenInByte = 2548
; TotalNumSgprs: 46
; NumVgprs: 51
; NumAgprs: 0
; TotalNumVgprs: 51
; ScratchSize: 0
; MemoryBound: 0
; FloatMode: 240
; IeeeMode: 1
; LDSByteSize: 4096 bytes/workgroup (compile time only)
; SGPRBlocks: 5
; VGPRBlocks: 6
; NumSGPRsForWavesPerEU: 46
; NumVGPRsForWavesPerEU: 51
; AccumOffset: 52
; Occupancy: 8
; WaveLimiterHint : 1
; COMPUTE_PGM_RSRC2:SCRATCH_EN: 0
; COMPUTE_PGM_RSRC2:USER_SGPR: 2
; COMPUTE_PGM_RSRC2:TRAP_HANDLER: 0
; COMPUTE_PGM_RSRC2:TGID_X_EN: 1
; COMPUTE_PGM_RSRC2:TGID_Y_EN: 1
; COMPUTE_PGM_RSRC2:TGID_Z_EN: 1
; COMPUTE_PGM_RSRC2:TIDIG_COMP_CNT: 1
; COMPUTE_PGM_RSRC3_GFX90A:ACCUM_OFFSET: 12
; COMPUTE_PGM_RSRC3_GFX90A:TG_SPLIT: 0
	.section	.text._ZL29rocblas_internal_gemmt_kernelIlLi16ELi32ELi8ELc67ELc78ELc85ELb1ELb0E19rocblas_complex_numIfEPKS1_PKS3_PKPS1_EviT_T9_T10_S9_lSB_S9_lSA_T11_S9_li,"axG",@progbits,_ZL29rocblas_internal_gemmt_kernelIlLi16ELi32ELi8ELc67ELc78ELc85ELb1ELb0E19rocblas_complex_numIfEPKS1_PKS3_PKPS1_EviT_T9_T10_S9_lSB_S9_lSA_T11_S9_li,comdat
	.globl	_ZL29rocblas_internal_gemmt_kernelIlLi16ELi32ELi8ELc67ELc78ELc85ELb1ELb0E19rocblas_complex_numIfEPKS1_PKS3_PKPS1_EviT_T9_T10_S9_lSB_S9_lSA_T11_S9_li ; -- Begin function _ZL29rocblas_internal_gemmt_kernelIlLi16ELi32ELi8ELc67ELc78ELc85ELb1ELb0E19rocblas_complex_numIfEPKS1_PKS3_PKPS1_EviT_T9_T10_S9_lSB_S9_lSA_T11_S9_li
	.p2align	8
	.type	_ZL29rocblas_internal_gemmt_kernelIlLi16ELi32ELi8ELc67ELc78ELc85ELb1ELb0E19rocblas_complex_numIfEPKS1_PKS3_PKPS1_EviT_T9_T10_S9_lSB_S9_lSA_T11_S9_li,@function
_ZL29rocblas_internal_gemmt_kernelIlLi16ELi32ELi8ELc67ELc78ELc85ELb1ELb0E19rocblas_complex_numIfEPKS1_PKS3_PKPS1_EviT_T9_T10_S9_lSB_S9_lSA_T11_S9_li: ; @_ZL29rocblas_internal_gemmt_kernelIlLi16ELi32ELi8ELc67ELc78ELc85ELb1ELb0E19rocblas_complex_numIfEPKS1_PKS3_PKPS1_EviT_T9_T10_S9_lSB_S9_lSA_T11_S9_li
; %bb.0:
	s_load_dwordx8 s[24:31], s[0:1], 0x48
	s_load_dwordx16 s[8:23], s[0:1], 0x8
	s_waitcnt lgkmcnt(0)
	s_load_dwordx2 s[6:7], s[24:25], 0x0
	s_load_dwordx2 s[34:35], s[10:11], 0x0
	s_waitcnt lgkmcnt(0)
	s_and_b32 s5, s7, 0x7fffffff
	s_cmp_eq_u32 s5, 0
	v_cmp_eq_f32_e64 s[24:25], s6, 1.0
	s_cselect_b64 s[10:11], -1, 0
	s_and_b64 s[24:25], s[24:25], s[10:11]
	s_and_b64 vcc, exec, s[24:25]
	s_cbranch_vccnz .LBB510_2
; %bb.1:
	s_mov_b64 s[24:25], -1
	s_cbranch_execz .LBB510_3
	s_branch .LBB510_4
.LBB510_2:
	s_mov_b64 s[24:25], 0
.LBB510_3:
	s_cmp_lg_u64 s[8:9], 0
	v_cmp_neq_f32_e64 s[36:37], s34, 0
	v_cmp_neq_f32_e64 s[38:39], s35, 0
	s_cselect_b64 s[24:25], -1, 0
	s_or_b64 s[36:37], s[36:37], s[38:39]
	s_and_b64 s[24:25], s[24:25], s[36:37]
.LBB510_4:
	s_andn2_b64 vcc, exec, s[24:25]
	s_cbranch_vccnz .LBB510_32
; %bb.5:
	s_mov_b32 s5, 0
	s_load_dword s24, s[0:1], 0x0
	s_lshl_b64 s[0:1], s[4:5], 3
	s_add_u32 s4, s26, s0
	s_addc_u32 s5, s27, s1
	s_load_dwordx2 s[4:5], s[4:5], 0x0
	s_lshl_b32 s25, s2, 5
	s_lshl_b32 s26, s3, 5
	v_cmp_eq_f32_e64 s[2:3], s34, 0
	v_cmp_eq_f32_e64 s[36:37], s35, 0
	s_and_b64 s[2:3], s[2:3], s[36:37]
	v_cmp_lt_i64_e64 s[36:37], s[8:9], 1
	s_or_b64 s[2:3], s[2:3], s[36:37]
	v_and_b32_e32 v9, 0x3ff, v0
	v_bfe_u32 v11, v0, 10, 10
	v_mov_b32_e32 v32, 0
	s_and_b64 vcc, exec, s[2:3]
	v_mov_b32_e32 v34, 0
	v_mov_b32_e32 v28, 0
	;; [unrolled: 1-line block ×7, first 2 shown]
	s_cbranch_vccnz .LBB510_16
; %bb.6:
	s_add_u32 s2, s18, s0
	s_addc_u32 s3, s19, s1
	s_load_dwordx2 s[2:3], s[2:3], 0x0
	s_lshl_b64 s[18:19], s[22:23], 3
	v_lshl_add_u32 v0, v11, 4, v9
	v_lshrrev_b32_e32 v10, 5, v0
	v_lshrrev_b32_e32 v2, 3, v0
	s_waitcnt lgkmcnt(0)
	s_add_u32 s18, s2, s18
	s_addc_u32 s19, s3, s19
	s_add_u32 s0, s12, s0
	s_addc_u32 s1, s13, s1
	s_load_dwordx2 s[0:1], s[0:1], 0x0
	s_lshl_b64 s[2:3], s[16:17], 3
	v_and_b32_e32 v0, 31, v0
	v_or_b32_e32 v1, s25, v0
	v_lshlrev_b32_e32 v0, 3, v0
	s_waitcnt lgkmcnt(0)
	s_add_u32 s2, s0, s2
	s_addc_u32 s3, s1, s3
	s_ashr_i32 s22, s25, 31
	v_cmp_gt_i32_e64 s[0:1], s24, v1
	v_cmp_le_i32_e64 s[12:13], s24, v1
	v_lshl_or_b32 v21, v10, 8, v0
	v_mul_lo_u32 v4, s15, v1
	v_mad_u64_u32 v[0:1], s[16:17], s14, v1, 0
	s_mul_i32 s14, s14, s22
	v_and_b32_e32 v8, 7, v9
	v_add3_u32 v1, v1, s14, v4
	v_lshl_add_u64 v[12:13], v[0:1], 3, s[2:3]
	v_lshlrev_b32_e32 v0, 3, v8
	v_add_u32_e32 v3, s26, v2
	v_lshl_or_b32 v0, v2, 6, v0
	v_add_u32_e32 v23, 0x800, v0
	v_ashrrev_i32_e32 v0, 31, v3
	v_mul_lo_u32 v2, s20, v0
	v_mul_lo_u32 v4, s21, v3
	v_mad_u64_u32 v[0:1], s[14:15], s20, v3, 0
	v_add3_u32 v1, v1, v2, v4
	v_lshl_add_u64 v[14:15], v[0:1], 3, s[18:19]
	v_mov_b32_e32 v0, 0x800
	v_cmp_gt_i32_e64 s[2:3], s24, v3
	v_lshlrev_b32_e32 v25, 3, v9
	v_lshl_add_u32 v27, v11, 6, v0
	v_mov_b32_e32 v17, 0
	s_mov_b64 s[14:15], 0
	v_mov_b32_e32 v22, 0
	v_mov_b32_e32 v20, 0
	;; [unrolled: 1-line block ×8, first 2 shown]
                                        ; implicit-def: $vgpr18_vgpr19
	s_branch .LBB510_8
.LBB510_7:                              ;   in Loop: Header=BB510_8 Depth=1
	s_or_b64 exec, exec, s[16:17]
	s_waitcnt vmcnt(0) lgkmcnt(0)
	ds_write_b64 v23, v[2:3]
	s_waitcnt lgkmcnt(0)
	s_barrier
	ds_read2_b64 v[36:39], v25 offset1:16
	ds_read_b128 v[40:43], v27
	ds_read_b128 v[44:47], v27 offset:16
	ds_read_b128 v[4:7], v27 offset:32
	;; [unrolled: 1-line block ×3, first 2 shown]
	s_add_u32 s14, s14, 8
	s_waitcnt lgkmcnt(3)
	v_mul_f32_e32 v16, v41, v37
	v_mul_f32_e32 v29, v40, v37
	v_fma_f32 v16, v40, v36, -v16
	v_fmac_f32_e32 v29, v41, v36
	v_add_f32_e32 v16, v32, v16
	v_add_f32_e32 v52, v34, v29
	ds_read_b128 v[32:35], v27 offset:1024
	v_mul_f32_e32 v29, v41, v39
	v_mul_f32_e32 v31, v40, v39
	v_fma_f32 v29, v40, v38, -v29
	v_fmac_f32_e32 v31, v41, v38
	v_add_f32_e32 v40, v28, v29
	v_add_f32_e32 v41, v30, v31
	ds_read_b128 v[28:31], v27 offset:1040
	s_waitcnt lgkmcnt(1)
	v_mul_f32_e32 v48, v33, v37
	v_fma_f32 v48, v32, v36, -v48
	v_add_f32_e32 v24, v24, v48
	ds_read2_b64 v[48:51], v25 offset0:32 offset1:48
	v_mul_f32_e32 v37, v32, v37
	v_fmac_f32_e32 v37, v33, v36
	v_mul_f32_e32 v36, v33, v39
	v_fma_f32 v36, v32, v38, -v36
	v_mul_f32_e32 v32, v32, v39
	v_fmac_f32_e32 v32, v33, v38
	v_add_f32_e32 v22, v22, v32
	s_waitcnt lgkmcnt(0)
	v_mul_f32_e32 v32, v43, v49
	v_mul_f32_e32 v33, v42, v49
	v_fma_f32 v32, v42, v48, -v32
	v_fmac_f32_e32 v33, v43, v48
	v_add_f32_e32 v20, v20, v36
	v_add_f32_e32 v16, v16, v32
	;; [unrolled: 1-line block ×3, first 2 shown]
	v_mul_f32_e32 v33, v43, v51
	v_mul_f32_e32 v36, v42, v51
	v_fma_f32 v33, v42, v50, -v33
	v_fmac_f32_e32 v36, v43, v50
	v_add_f32_e32 v33, v40, v33
	v_add_f32_e32 v40, v41, v36
	v_mul_f32_e32 v36, v35, v49
	v_add_f32_e32 v26, v26, v37
	v_fma_f32 v36, v34, v48, -v36
	v_mul_f32_e32 v37, v34, v49
	v_fmac_f32_e32 v37, v35, v48
	v_add_f32_e32 v24, v24, v36
	v_mul_f32_e32 v36, v35, v51
	v_add_f32_e32 v26, v26, v37
	v_fma_f32 v41, v34, v50, -v36
	ds_read2_b64 v[36:39], v25 offset0:64 offset1:80
	v_mul_f32_e32 v34, v34, v51
	v_fmac_f32_e32 v34, v35, v50
	v_add_f32_e32 v20, v20, v41
	v_add_f32_e32 v22, v22, v34
	s_waitcnt lgkmcnt(0)
	v_mul_f32_e32 v35, v44, v37
	v_fmac_f32_e32 v35, v45, v36
	v_add_f32_e32 v41, v32, v35
	v_mul_f32_e32 v32, v45, v39
	v_mul_f32_e32 v34, v45, v37
	v_fma_f32 v32, v44, v38, -v32
	v_fma_f32 v34, v44, v36, -v34
	v_add_f32_e32 v42, v33, v32
	v_mul_f32_e32 v32, v29, v37
	v_add_f32_e32 v16, v16, v34
	v_mul_f32_e32 v34, v44, v39
	v_fma_f32 v32, v28, v36, -v32
	v_mul_f32_e32 v33, v28, v37
	v_fmac_f32_e32 v34, v45, v38
	v_fmac_f32_e32 v33, v29, v36
	v_add_f32_e32 v24, v24, v32
	v_mul_f32_e32 v32, v29, v39
	v_add_f32_e32 v40, v40, v34
	v_add_f32_e32 v26, v26, v33
	v_fma_f32 v36, v28, v38, -v32
	ds_read2_b64 v[32:35], v25 offset0:96 offset1:112
	v_mul_f32_e32 v28, v28, v39
	v_fmac_f32_e32 v28, v29, v38
	v_add_f32_e32 v22, v22, v28
	v_add_f32_e32 v20, v20, v36
	s_waitcnt lgkmcnt(0)
	v_mul_f32_e32 v28, v47, v33
	v_mul_f32_e32 v29, v46, v33
	v_fma_f32 v28, v46, v32, -v28
	v_fmac_f32_e32 v29, v47, v32
	v_add_f32_e32 v16, v16, v28
	v_add_f32_e32 v28, v41, v29
	v_mul_f32_e32 v29, v47, v35
	v_mul_f32_e32 v36, v46, v35
	v_fma_f32 v29, v46, v34, -v29
	v_fmac_f32_e32 v36, v47, v34
	v_add_f32_e32 v41, v42, v29
	v_add_f32_e32 v40, v40, v36
	v_mul_f32_e32 v29, v31, v33
	ds_read2_b64 v[36:39], v25 offset0:128 offset1:144
	v_fma_f32 v29, v30, v32, -v29
	v_add_f32_e32 v24, v24, v29
	v_mul_f32_e32 v29, v31, v35
	v_mul_f32_e32 v33, v30, v33
	v_fma_f32 v29, v30, v34, -v29
	v_mul_f32_e32 v30, v30, v35
	v_fmac_f32_e32 v30, v31, v34
	v_add_f32_e32 v22, v22, v30
	s_waitcnt lgkmcnt(0)
	v_mul_f32_e32 v30, v4, v37
	v_add_f32_e32 v20, v20, v29
	v_mul_f32_e32 v29, v5, v37
	v_fmac_f32_e32 v30, v5, v36
	v_fma_f32 v29, v4, v36, -v29
	v_add_f32_e32 v44, v28, v30
	v_mul_f32_e32 v28, v5, v39
	v_fmac_f32_e32 v33, v31, v32
	v_add_f32_e32 v16, v16, v29
	v_fma_f32 v32, v4, v38, -v28
	ds_read_b128 v[28:31], v27 offset:1056
	v_mul_f32_e32 v4, v4, v39
	v_fmac_f32_e32 v4, v5, v38
	v_add_f32_e32 v5, v41, v32
	v_add_f32_e32 v4, v40, v4
	ds_read_b128 v[40:43], v27 offset:1072
	s_waitcnt lgkmcnt(1)
	v_mul_f32_e32 v32, v29, v37
	v_add_f32_e32 v26, v26, v33
	v_fma_f32 v32, v28, v36, -v32
	v_mul_f32_e32 v33, v28, v37
	v_fmac_f32_e32 v33, v29, v36
	v_add_f32_e32 v24, v24, v32
	v_mul_f32_e32 v32, v29, v39
	v_add_f32_e32 v26, v26, v33
	v_fma_f32 v36, v28, v38, -v32
	ds_read2_b64 v[32:35], v25 offset0:160 offset1:176
	v_mul_f32_e32 v28, v28, v39
	v_fmac_f32_e32 v28, v29, v38
	v_add_f32_e32 v22, v22, v28
	v_add_f32_e32 v20, v20, v36
	s_waitcnt lgkmcnt(0)
	v_mul_f32_e32 v28, v7, v33
	v_mul_f32_e32 v29, v6, v33
	v_fma_f32 v28, v6, v32, -v28
	v_fmac_f32_e32 v29, v7, v32
	v_add_f32_e32 v16, v16, v28
	v_add_f32_e32 v28, v44, v29
	v_mul_f32_e32 v29, v7, v35
	v_fma_f32 v29, v6, v34, -v29
	v_mul_f32_e32 v6, v6, v35
	v_fmac_f32_e32 v6, v7, v34
	v_add_f32_e32 v36, v4, v6
	v_mul_f32_e32 v4, v31, v33
	v_add_f32_e32 v29, v5, v29
	v_fma_f32 v4, v30, v32, -v4
	v_mul_f32_e32 v5, v30, v33
	v_fmac_f32_e32 v5, v31, v32
	v_add_f32_e32 v24, v24, v4
	v_mul_f32_e32 v4, v31, v35
	v_add_f32_e32 v26, v26, v5
	v_fma_f32 v32, v30, v34, -v4
	ds_read2_b64 v[4:7], v25 offset0:192 offset1:208
	v_mul_f32_e32 v30, v30, v35
	v_fmac_f32_e32 v30, v31, v34
	v_add_f32_e32 v22, v22, v30
	v_add_f32_e32 v20, v20, v32
	s_waitcnt lgkmcnt(0)
	v_mul_f32_e32 v30, v1, v5
	v_fma_f32 v30, v0, v4, -v30
	v_add_f32_e32 v16, v16, v30
	v_mul_f32_e32 v30, v1, v7
	v_mul_f32_e32 v31, v0, v5
	v_fma_f32 v30, v0, v6, -v30
	v_mul_f32_e32 v0, v0, v7
	v_fmac_f32_e32 v0, v1, v6
	v_add_f32_e32 v0, v36, v0
	ds_read2_b64 v[36:39], v25 offset0:224 offset1:240
	v_fmac_f32_e32 v31, v1, v4
	v_add_f32_e32 v1, v29, v30
	v_mul_f32_e32 v29, v41, v5
	v_fma_f32 v29, v40, v4, -v29
	v_mul_f32_e32 v5, v40, v5
	v_fmac_f32_e32 v5, v41, v4
	v_add_f32_e32 v4, v24, v29
	v_mul_f32_e32 v24, v41, v7
	v_fma_f32 v24, v40, v6, -v24
	v_mul_f32_e32 v7, v40, v7
	v_fmac_f32_e32 v7, v41, v6
	v_add_f32_e32 v6, v20, v24
	s_waitcnt lgkmcnt(0)
	v_mul_f32_e32 v20, v3, v37
	v_fma_f32 v20, v2, v36, -v20
	v_add_f32_e32 v32, v16, v20
	v_mul_f32_e32 v16, v3, v39
	v_add_f32_e32 v7, v22, v7
	v_mul_f32_e32 v22, v2, v37
	v_fma_f32 v16, v2, v38, -v16
	v_mul_f32_e32 v2, v2, v39
	v_add_f32_e32 v28, v28, v31
	v_fmac_f32_e32 v22, v3, v36
	v_fmac_f32_e32 v2, v3, v38
	v_add_f32_e32 v34, v28, v22
	v_add_f32_e32 v28, v1, v16
	;; [unrolled: 1-line block ×3, first 2 shown]
	v_mul_f32_e32 v0, v43, v37
	v_mul_f32_e32 v1, v42, v37
	v_add_f32_e32 v5, v26, v5
	v_fma_f32 v0, v42, v36, -v0
	v_fmac_f32_e32 v1, v43, v36
	v_add_f32_e32 v24, v4, v0
	v_add_f32_e32 v26, v5, v1
	v_mul_f32_e32 v0, v43, v39
	v_mul_f32_e32 v1, v42, v39
	v_fma_f32 v0, v42, v38, -v0
	v_fmac_f32_e32 v1, v43, v38
	s_addc_u32 s15, s15, 0
	v_add_f32_e32 v20, v6, v0
	v_add_f32_e32 v22, v7, v1
	v_mov_b64_e32 v[0:1], s[14:15]
	v_cmp_gt_i64_e32 vcc, s[8:9], v[0:1]
	s_barrier
	s_cbranch_vccz .LBB510_16
.LBB510_8:                              ; =>This Inner Loop Header: Depth=1
	s_mov_b64 s[20:21], s[12:13]
	s_mov_b64 s[16:17], 0
	s_and_saveexec_b64 s[18:19], s[0:1]
; %bb.9:                                ;   in Loop: Header=BB510_8 Depth=1
	v_add_u32_e32 v16, s14, v10
	v_cmp_le_u64_e32 vcc, s[8:9], v[16:17]
	s_andn2_b64 s[20:21], s[12:13], exec
	s_and_b64 s[22:23], vcc, exec
	s_mov_b64 s[16:17], exec
	s_or_b64 s[20:21], s[20:21], s[22:23]
	v_mov_b64_e32 v[18:19], v[16:17]
; %bb.10:                               ;   in Loop: Header=BB510_8 Depth=1
	s_or_b64 exec, exec, s[18:19]
	s_and_saveexec_b64 s[18:19], s[20:21]
	s_xor_b64 s[18:19], exec, s[18:19]
; %bb.11:                               ;   in Loop: Header=BB510_8 Depth=1
	ds_write_b32 v21, v17
	s_andn2_b64 s[16:17], s[16:17], exec
; %bb.12:                               ;   in Loop: Header=BB510_8 Depth=1
	s_or_b64 exec, exec, s[18:19]
	v_mov_b32_e32 v2, 0
	v_mov_b32_e32 v0, 0
	s_and_saveexec_b64 s[18:19], s[16:17]
	s_cbranch_execz .LBB510_14
; %bb.13:                               ;   in Loop: Header=BB510_8 Depth=1
	v_lshl_add_u64 v[0:1], v[18:19], 3, v[12:13]
	flat_load_dwordx2 v[4:5], v[0:1]
	s_waitcnt vmcnt(0) lgkmcnt(0)
	v_xor_b32_e32 v0, 0x80000000, v5
	ds_write_b32 v21, v4
.LBB510_14:                             ;   in Loop: Header=BB510_8 Depth=1
	s_or_b64 exec, exec, s[18:19]
	v_add_u32_e32 v16, s14, v8
	v_cmp_gt_u64_e32 vcc, s[8:9], v[16:17]
	s_and_b64 s[18:19], vcc, s[2:3]
	v_mov_b32_e32 v3, 0
	ds_write_b32 v21, v0 offset:4
	s_and_saveexec_b64 s[16:17], s[18:19]
	s_cbranch_execz .LBB510_7
; %bb.15:                               ;   in Loop: Header=BB510_8 Depth=1
	v_lshl_add_u64 v[0:1], v[16:17], 3, v[14:15]
	flat_load_dwordx2 v[2:3], v[0:1]
	s_branch .LBB510_7
.LBB510_16:
	s_lshl_b64 s[0:1], s[30:31], 3
	v_add_u32_e32 v10, s26, v11
	s_waitcnt lgkmcnt(0)
	s_add_u32 s4, s4, s0
	v_ashrrev_i32_e32 v1, 31, v10
	s_addc_u32 s5, s5, s1
	v_cmp_neq_f32_e64 s[0:1], s6, 0
	s_xor_b64 s[8:9], s[10:11], -1
	v_mul_lo_u32 v1, s28, v1
	v_mul_lo_u32 v4, s29, v10
	v_mad_u64_u32 v[2:3], s[10:11], s28, v10, 0
	v_add_u32_e32 v0, s25, v9
	v_add3_u32 v3, v3, v1, v4
	s_or_b64 s[0:1], s[0:1], s[8:9]
	v_cmp_gt_i32_e64 s[2:3], s24, v10
	v_lshl_add_u64 v[4:5], v[2:3], 3, s[4:5]
	v_cmp_le_i32_e32 vcc, v0, v10
	v_cndmask_b32_e64 v2, 0, 1, s[0:1]
	s_and_b64 s[10:11], s[2:3], vcc
	v_ashrrev_i32_e32 v1, 31, v0
	v_cmp_ne_u32_e64 s[0:1], 1, v2
	s_and_saveexec_b64 s[8:9], s[10:11]
	s_cbranch_execz .LBB510_20
; %bb.17:
	v_pk_mul_f32 v[6:7], v[34:35], s[34:35] op_sel:[0,1] op_sel_hi:[0,0]
	v_pk_fma_f32 v[2:3], v[32:33], s[34:35], v[6:7] op_sel_hi:[0,1,1] neg_lo:[0,0,1] neg_hi:[0,0,1]
	v_pk_fma_f32 v[8:9], v[32:33], s[34:35], v[6:7] op_sel_hi:[0,1,1]
	s_and_b64 vcc, exec, s[0:1]
	v_lshl_add_u64 v[6:7], v[0:1], 3, v[4:5]
	s_cbranch_vccnz .LBB510_19
; %bb.18:
	flat_load_dwordx2 v[12:13], v[6:7]
	s_mov_b32 s10, s7
	v_mov_b32_e32 v3, v9
	s_waitcnt vmcnt(0) lgkmcnt(0)
	v_pk_mul_f32 v[8:9], v[12:13], s[10:11] op_sel:[1,0] op_sel_hi:[0,0]
	v_pk_fma_f32 v[14:15], v[12:13], s[6:7], v[8:9] neg_lo:[0,0,1] neg_hi:[0,0,1]
	v_pk_fma_f32 v[8:9], v[12:13], s[6:7], v[8:9] op_sel_hi:[1,0,1]
	s_nop 0
	v_mov_b32_e32 v15, v9
	v_pk_add_f32 v[2:3], v[2:3], v[14:15]
	s_nop 0
	v_mov_b32_e32 v9, v3
.LBB510_19:
	v_mov_b32_e32 v3, v9
	flat_store_dwordx2 v[6:7], v[2:3]
.LBB510_20:
	s_or_b64 exec, exec, s[8:9]
	v_add_u32_e32 v2, 16, v0
	v_cmp_le_i32_e32 vcc, v2, v10
	s_and_b64 s[8:9], s[2:3], vcc
	v_ashrrev_i32_e32 v3, 31, v2
	s_and_saveexec_b64 s[2:3], s[8:9]
	s_cbranch_execz .LBB510_24
; %bb.21:
	v_pk_mul_f32 v[8:9], v[30:31], s[34:35] op_sel:[0,1] op_sel_hi:[0,0]
	v_pk_fma_f32 v[6:7], v[28:29], s[34:35], v[8:9] op_sel_hi:[0,1,1] neg_lo:[0,0,1] neg_hi:[0,0,1]
	v_pk_fma_f32 v[8:9], v[28:29], s[34:35], v[8:9] op_sel_hi:[0,1,1]
	s_and_b64 vcc, exec, s[0:1]
	v_lshl_add_u64 v[4:5], v[2:3], 3, v[4:5]
	s_cbranch_vccnz .LBB510_23
; %bb.22:
	flat_load_dwordx2 v[12:13], v[4:5]
	s_mov_b32 s8, s7
	v_mov_b32_e32 v7, v9
	s_waitcnt vmcnt(0) lgkmcnt(0)
	v_pk_mul_f32 v[8:9], v[12:13], s[8:9] op_sel:[1,0] op_sel_hi:[0,0]
	v_pk_fma_f32 v[14:15], v[12:13], s[6:7], v[8:9] neg_lo:[0,0,1] neg_hi:[0,0,1]
	v_pk_fma_f32 v[8:9], v[12:13], s[6:7], v[8:9] op_sel_hi:[1,0,1]
	s_nop 0
	v_mov_b32_e32 v15, v9
	v_pk_add_f32 v[6:7], v[6:7], v[14:15]
	s_nop 0
	v_mov_b32_e32 v9, v7
.LBB510_23:
	v_mov_b32_e32 v7, v9
	flat_store_dwordx2 v[4:5], v[6:7]
.LBB510_24:
	s_or_b64 exec, exec, s[2:3]
	v_add_u32_e32 v10, 16, v10
	v_ashrrev_i32_e32 v4, 31, v10
	v_mul_lo_u32 v6, s28, v4
	v_mul_lo_u32 v7, s29, v10
	v_mad_u64_u32 v[4:5], s[8:9], s28, v10, 0
	v_cmp_gt_i32_e64 s[2:3], s24, v10
	v_add3_u32 v5, v5, v6, v7
	v_cmp_le_i32_e32 vcc, v0, v10
	v_lshl_add_u64 v[4:5], v[4:5], 3, s[4:5]
	s_and_b64 s[8:9], s[2:3], vcc
	s_and_saveexec_b64 s[4:5], s[8:9]
	s_cbranch_execz .LBB510_28
; %bb.25:
	v_pk_mul_f32 v[8:9], v[26:27], s[34:35] op_sel:[0,1] op_sel_hi:[0,0]
	v_pk_fma_f32 v[6:7], v[24:25], s[34:35], v[8:9] op_sel_hi:[0,1,1] neg_lo:[0,0,1] neg_hi:[0,0,1]
	v_pk_fma_f32 v[8:9], v[24:25], s[34:35], v[8:9] op_sel_hi:[0,1,1]
	s_and_b64 vcc, exec, s[0:1]
	v_lshl_add_u64 v[0:1], v[0:1], 3, v[4:5]
	s_cbranch_vccnz .LBB510_27
; %bb.26:
	flat_load_dwordx2 v[12:13], v[0:1]
	s_mov_b32 s8, s7
	v_mov_b32_e32 v7, v9
	s_waitcnt vmcnt(0) lgkmcnt(0)
	v_pk_mul_f32 v[8:9], v[12:13], s[8:9] op_sel:[1,0] op_sel_hi:[0,0]
	v_pk_fma_f32 v[14:15], v[12:13], s[6:7], v[8:9] neg_lo:[0,0,1] neg_hi:[0,0,1]
	v_pk_fma_f32 v[8:9], v[12:13], s[6:7], v[8:9] op_sel_hi:[1,0,1]
	s_nop 0
	v_mov_b32_e32 v15, v9
	v_pk_add_f32 v[6:7], v[6:7], v[14:15]
	s_nop 0
	v_mov_b32_e32 v9, v7
.LBB510_27:
	v_mov_b32_e32 v7, v9
	flat_store_dwordx2 v[0:1], v[6:7]
.LBB510_28:
	s_or_b64 exec, exec, s[4:5]
	v_cmp_le_i32_e32 vcc, v2, v10
	s_and_b64 s[2:3], s[2:3], vcc
	s_and_saveexec_b64 s[4:5], s[2:3]
	s_cbranch_execz .LBB510_32
; %bb.29:
	v_pk_mul_f32 v[6:7], v[22:23], s[34:35] op_sel:[0,1] op_sel_hi:[0,0]
	v_pk_fma_f32 v[0:1], v[20:21], s[34:35], v[6:7] op_sel_hi:[0,1,1] neg_lo:[0,0,1] neg_hi:[0,0,1]
	v_pk_fma_f32 v[6:7], v[20:21], s[34:35], v[6:7] op_sel_hi:[0,1,1]
	s_and_b64 vcc, exec, s[0:1]
	v_lshl_add_u64 v[2:3], v[2:3], 3, v[4:5]
	s_cbranch_vccnz .LBB510_31
; %bb.30:
	flat_load_dwordx2 v[4:5], v[2:3]
	s_mov_b32 s0, s7
	v_mov_b32_e32 v1, v7
	s_waitcnt vmcnt(0) lgkmcnt(0)
	v_pk_mul_f32 v[6:7], v[4:5], s[0:1] op_sel:[1,0] op_sel_hi:[0,0]
	v_pk_fma_f32 v[8:9], v[4:5], s[6:7], v[6:7] neg_lo:[0,0,1] neg_hi:[0,0,1]
	v_pk_fma_f32 v[4:5], v[4:5], s[6:7], v[6:7] op_sel_hi:[1,0,1]
	s_nop 0
	v_mov_b32_e32 v9, v5
	v_pk_add_f32 v[0:1], v[0:1], v[8:9]
	s_nop 0
	v_mov_b32_e32 v7, v1
.LBB510_31:
	v_mov_b32_e32 v1, v7
	flat_store_dwordx2 v[2:3], v[0:1]
.LBB510_32:
	s_endpgm
	.section	.rodata,"a",@progbits
	.p2align	6, 0x0
	.amdhsa_kernel _ZL29rocblas_internal_gemmt_kernelIlLi16ELi32ELi8ELc67ELc78ELc85ELb1ELb0E19rocblas_complex_numIfEPKS1_PKS3_PKPS1_EviT_T9_T10_S9_lSB_S9_lSA_T11_S9_li
		.amdhsa_group_segment_fixed_size 4096
		.amdhsa_private_segment_fixed_size 0
		.amdhsa_kernarg_size 108
		.amdhsa_user_sgpr_count 2
		.amdhsa_user_sgpr_dispatch_ptr 0
		.amdhsa_user_sgpr_queue_ptr 0
		.amdhsa_user_sgpr_kernarg_segment_ptr 1
		.amdhsa_user_sgpr_dispatch_id 0
		.amdhsa_user_sgpr_kernarg_preload_length 0
		.amdhsa_user_sgpr_kernarg_preload_offset 0
		.amdhsa_user_sgpr_private_segment_size 0
		.amdhsa_uses_dynamic_stack 0
		.amdhsa_enable_private_segment 0
		.amdhsa_system_sgpr_workgroup_id_x 1
		.amdhsa_system_sgpr_workgroup_id_y 1
		.amdhsa_system_sgpr_workgroup_id_z 1
		.amdhsa_system_sgpr_workgroup_info 0
		.amdhsa_system_vgpr_workitem_id 1
		.amdhsa_next_free_vgpr 53
		.amdhsa_next_free_sgpr 40
		.amdhsa_accum_offset 56
		.amdhsa_reserve_vcc 1
		.amdhsa_float_round_mode_32 0
		.amdhsa_float_round_mode_16_64 0
		.amdhsa_float_denorm_mode_32 3
		.amdhsa_float_denorm_mode_16_64 3
		.amdhsa_dx10_clamp 1
		.amdhsa_ieee_mode 1
		.amdhsa_fp16_overflow 0
		.amdhsa_tg_split 0
		.amdhsa_exception_fp_ieee_invalid_op 0
		.amdhsa_exception_fp_denorm_src 0
		.amdhsa_exception_fp_ieee_div_zero 0
		.amdhsa_exception_fp_ieee_overflow 0
		.amdhsa_exception_fp_ieee_underflow 0
		.amdhsa_exception_fp_ieee_inexact 0
		.amdhsa_exception_int_div_zero 0
	.end_amdhsa_kernel
	.section	.text._ZL29rocblas_internal_gemmt_kernelIlLi16ELi32ELi8ELc67ELc78ELc85ELb1ELb0E19rocblas_complex_numIfEPKS1_PKS3_PKPS1_EviT_T9_T10_S9_lSB_S9_lSA_T11_S9_li,"axG",@progbits,_ZL29rocblas_internal_gemmt_kernelIlLi16ELi32ELi8ELc67ELc78ELc85ELb1ELb0E19rocblas_complex_numIfEPKS1_PKS3_PKPS1_EviT_T9_T10_S9_lSB_S9_lSA_T11_S9_li,comdat
.Lfunc_end510:
	.size	_ZL29rocblas_internal_gemmt_kernelIlLi16ELi32ELi8ELc67ELc78ELc85ELb1ELb0E19rocblas_complex_numIfEPKS1_PKS3_PKPS1_EviT_T9_T10_S9_lSB_S9_lSA_T11_S9_li, .Lfunc_end510-_ZL29rocblas_internal_gemmt_kernelIlLi16ELi32ELi8ELc67ELc78ELc85ELb1ELb0E19rocblas_complex_numIfEPKS1_PKS3_PKPS1_EviT_T9_T10_S9_lSB_S9_lSA_T11_S9_li
                                        ; -- End function
	.set _ZL29rocblas_internal_gemmt_kernelIlLi16ELi32ELi8ELc67ELc78ELc85ELb1ELb0E19rocblas_complex_numIfEPKS1_PKS3_PKPS1_EviT_T9_T10_S9_lSB_S9_lSA_T11_S9_li.num_vgpr, 53
	.set _ZL29rocblas_internal_gemmt_kernelIlLi16ELi32ELi8ELc67ELc78ELc85ELb1ELb0E19rocblas_complex_numIfEPKS1_PKS3_PKPS1_EviT_T9_T10_S9_lSB_S9_lSA_T11_S9_li.num_agpr, 0
	.set _ZL29rocblas_internal_gemmt_kernelIlLi16ELi32ELi8ELc67ELc78ELc85ELb1ELb0E19rocblas_complex_numIfEPKS1_PKS3_PKPS1_EviT_T9_T10_S9_lSB_S9_lSA_T11_S9_li.numbered_sgpr, 40
	.set _ZL29rocblas_internal_gemmt_kernelIlLi16ELi32ELi8ELc67ELc78ELc85ELb1ELb0E19rocblas_complex_numIfEPKS1_PKS3_PKPS1_EviT_T9_T10_S9_lSB_S9_lSA_T11_S9_li.num_named_barrier, 0
	.set _ZL29rocblas_internal_gemmt_kernelIlLi16ELi32ELi8ELc67ELc78ELc85ELb1ELb0E19rocblas_complex_numIfEPKS1_PKS3_PKPS1_EviT_T9_T10_S9_lSB_S9_lSA_T11_S9_li.private_seg_size, 0
	.set _ZL29rocblas_internal_gemmt_kernelIlLi16ELi32ELi8ELc67ELc78ELc85ELb1ELb0E19rocblas_complex_numIfEPKS1_PKS3_PKPS1_EviT_T9_T10_S9_lSB_S9_lSA_T11_S9_li.uses_vcc, 1
	.set _ZL29rocblas_internal_gemmt_kernelIlLi16ELi32ELi8ELc67ELc78ELc85ELb1ELb0E19rocblas_complex_numIfEPKS1_PKS3_PKPS1_EviT_T9_T10_S9_lSB_S9_lSA_T11_S9_li.uses_flat_scratch, 0
	.set _ZL29rocblas_internal_gemmt_kernelIlLi16ELi32ELi8ELc67ELc78ELc85ELb1ELb0E19rocblas_complex_numIfEPKS1_PKS3_PKPS1_EviT_T9_T10_S9_lSB_S9_lSA_T11_S9_li.has_dyn_sized_stack, 0
	.set _ZL29rocblas_internal_gemmt_kernelIlLi16ELi32ELi8ELc67ELc78ELc85ELb1ELb0E19rocblas_complex_numIfEPKS1_PKS3_PKPS1_EviT_T9_T10_S9_lSB_S9_lSA_T11_S9_li.has_recursion, 0
	.set _ZL29rocblas_internal_gemmt_kernelIlLi16ELi32ELi8ELc67ELc78ELc85ELb1ELb0E19rocblas_complex_numIfEPKS1_PKS3_PKPS1_EviT_T9_T10_S9_lSB_S9_lSA_T11_S9_li.has_indirect_call, 0
	.section	.AMDGPU.csdata,"",@progbits
; Kernel info:
; codeLenInByte = 2584
; TotalNumSgprs: 46
; NumVgprs: 53
; NumAgprs: 0
; TotalNumVgprs: 53
; ScratchSize: 0
; MemoryBound: 0
; FloatMode: 240
; IeeeMode: 1
; LDSByteSize: 4096 bytes/workgroup (compile time only)
; SGPRBlocks: 5
; VGPRBlocks: 6
; NumSGPRsForWavesPerEU: 46
; NumVGPRsForWavesPerEU: 53
; AccumOffset: 56
; Occupancy: 8
; WaveLimiterHint : 1
; COMPUTE_PGM_RSRC2:SCRATCH_EN: 0
; COMPUTE_PGM_RSRC2:USER_SGPR: 2
; COMPUTE_PGM_RSRC2:TRAP_HANDLER: 0
; COMPUTE_PGM_RSRC2:TGID_X_EN: 1
; COMPUTE_PGM_RSRC2:TGID_Y_EN: 1
; COMPUTE_PGM_RSRC2:TGID_Z_EN: 1
; COMPUTE_PGM_RSRC2:TIDIG_COMP_CNT: 1
; COMPUTE_PGM_RSRC3_GFX90A:ACCUM_OFFSET: 13
; COMPUTE_PGM_RSRC3_GFX90A:TG_SPLIT: 0
	.section	.text._ZL29rocblas_internal_gemmt_kernelIlLi16ELi32ELi8ELc67ELc84ELc85ELb1ELb0E19rocblas_complex_numIfEPKS1_PKS3_PKPS1_EviT_T9_T10_S9_lSB_S9_lSA_T11_S9_li,"axG",@progbits,_ZL29rocblas_internal_gemmt_kernelIlLi16ELi32ELi8ELc67ELc84ELc85ELb1ELb0E19rocblas_complex_numIfEPKS1_PKS3_PKPS1_EviT_T9_T10_S9_lSB_S9_lSA_T11_S9_li,comdat
	.globl	_ZL29rocblas_internal_gemmt_kernelIlLi16ELi32ELi8ELc67ELc84ELc85ELb1ELb0E19rocblas_complex_numIfEPKS1_PKS3_PKPS1_EviT_T9_T10_S9_lSB_S9_lSA_T11_S9_li ; -- Begin function _ZL29rocblas_internal_gemmt_kernelIlLi16ELi32ELi8ELc67ELc84ELc85ELb1ELb0E19rocblas_complex_numIfEPKS1_PKS3_PKPS1_EviT_T9_T10_S9_lSB_S9_lSA_T11_S9_li
	.p2align	8
	.type	_ZL29rocblas_internal_gemmt_kernelIlLi16ELi32ELi8ELc67ELc84ELc85ELb1ELb0E19rocblas_complex_numIfEPKS1_PKS3_PKPS1_EviT_T9_T10_S9_lSB_S9_lSA_T11_S9_li,@function
_ZL29rocblas_internal_gemmt_kernelIlLi16ELi32ELi8ELc67ELc84ELc85ELb1ELb0E19rocblas_complex_numIfEPKS1_PKS3_PKPS1_EviT_T9_T10_S9_lSB_S9_lSA_T11_S9_li: ; @_ZL29rocblas_internal_gemmt_kernelIlLi16ELi32ELi8ELc67ELc84ELc85ELb1ELb0E19rocblas_complex_numIfEPKS1_PKS3_PKPS1_EviT_T9_T10_S9_lSB_S9_lSA_T11_S9_li
; %bb.0:
	s_load_dwordx8 s[24:31], s[0:1], 0x48
	s_load_dwordx16 s[8:23], s[0:1], 0x8
	s_waitcnt lgkmcnt(0)
	s_load_dwordx2 s[6:7], s[24:25], 0x0
	s_load_dwordx2 s[34:35], s[10:11], 0x0
	s_waitcnt lgkmcnt(0)
	s_and_b32 s5, s7, 0x7fffffff
	s_cmp_eq_u32 s5, 0
	v_cmp_eq_f32_e64 s[24:25], s6, 1.0
	s_cselect_b64 s[10:11], -1, 0
	s_and_b64 s[24:25], s[24:25], s[10:11]
	s_and_b64 vcc, exec, s[24:25]
	s_cbranch_vccnz .LBB511_2
; %bb.1:
	s_mov_b64 s[24:25], -1
	s_cbranch_execz .LBB511_3
	s_branch .LBB511_4
.LBB511_2:
	s_mov_b64 s[24:25], 0
.LBB511_3:
	s_cmp_lg_u64 s[8:9], 0
	v_cmp_neq_f32_e64 s[36:37], s34, 0
	v_cmp_neq_f32_e64 s[38:39], s35, 0
	s_cselect_b64 s[24:25], -1, 0
	s_or_b64 s[36:37], s[36:37], s[38:39]
	s_and_b64 s[24:25], s[24:25], s[36:37]
.LBB511_4:
	s_andn2_b64 vcc, exec, s[24:25]
	s_cbranch_vccnz .LBB511_32
; %bb.5:
	s_mov_b32 s5, 0
	s_load_dword s24, s[0:1], 0x0
	s_lshl_b64 s[0:1], s[4:5], 3
	s_add_u32 s4, s26, s0
	s_addc_u32 s5, s27, s1
	s_load_dwordx2 s[4:5], s[4:5], 0x0
	s_lshl_b32 s25, s2, 5
	s_lshl_b32 s26, s3, 5
	v_cmp_eq_f32_e64 s[2:3], s34, 0
	v_cmp_eq_f32_e64 s[36:37], s35, 0
	s_and_b64 s[2:3], s[2:3], s[36:37]
	v_cmp_lt_i64_e64 s[36:37], s[8:9], 1
	s_or_b64 s[2:3], s[2:3], s[36:37]
	v_and_b32_e32 v9, 0x3ff, v0
	v_bfe_u32 v11, v0, 10, 10
	v_mov_b32_e32 v32, 0
	s_and_b64 vcc, exec, s[2:3]
	v_mov_b32_e32 v34, 0
	v_mov_b32_e32 v28, 0
	;; [unrolled: 1-line block ×7, first 2 shown]
	s_cbranch_vccnz .LBB511_16
; %bb.6:
	s_add_u32 s2, s18, s0
	s_addc_u32 s3, s19, s1
	s_load_dwordx2 s[2:3], s[2:3], 0x0
	s_lshl_b64 s[18:19], s[22:23], 3
	v_lshl_add_u32 v1, v11, 4, v9
	v_lshrrev_b32_e32 v10, 5, v1
	v_lshrrev_b32_e32 v4, 3, v1
	s_waitcnt lgkmcnt(0)
	s_add_u32 s18, s2, s18
	s_addc_u32 s19, s3, s19
	s_add_u32 s0, s12, s0
	s_addc_u32 s1, s13, s1
	s_load_dwordx2 s[0:1], s[0:1], 0x0
	s_lshl_b64 s[2:3], s[16:17], 3
	v_and_b32_e32 v1, 31, v1
	v_or_b32_e32 v2, s25, v1
	v_lshlrev_b32_e32 v1, 3, v1
	s_waitcnt lgkmcnt(0)
	s_add_u32 s2, s0, s2
	s_addc_u32 s3, s1, s3
	s_ashr_i32 s22, s25, 31
	v_and_b32_e32 v8, 7, v9
	v_cmp_gt_i32_e64 s[0:1], s24, v2
	v_cmp_le_i32_e64 s[12:13], s24, v2
	v_lshl_or_b32 v21, v10, 8, v1
	v_mul_lo_u32 v1, s15, v2
	v_mad_u64_u32 v[2:3], s[16:17], s14, v2, 0
	s_mul_i32 s14, s14, s22
	v_add3_u32 v3, v3, s14, v1
	v_lshlrev_b32_e32 v1, 3, v8
	v_add_u32_e32 v0, s26, v4
	v_lshl_or_b32 v1, v4, 6, v1
	v_add_u32_e32 v23, 0x800, v1
	v_ashrrev_i32_e32 v1, 31, v0
	v_lshl_add_u64 v[12:13], v[2:3], 3, s[2:3]
	v_cmp_gt_i32_e64 s[2:3], s24, v0
	v_lshl_add_u64 v[14:15], v[0:1], 3, s[18:19]
	v_mov_b32_e32 v0, 0x800
	v_lshlrev_b32_e32 v25, 3, v9
	v_lshl_add_u32 v27, v11, 6, v0
	v_mov_b32_e32 v17, 0
	s_mov_b64 s[14:15], 0
	v_mov_b32_e32 v22, 0
	v_mov_b32_e32 v20, 0
	;; [unrolled: 1-line block ×8, first 2 shown]
                                        ; implicit-def: $vgpr18_vgpr19
	s_branch .LBB511_8
.LBB511_7:                              ;   in Loop: Header=BB511_8 Depth=1
	s_or_b64 exec, exec, s[16:17]
	s_waitcnt vmcnt(0) lgkmcnt(0)
	ds_write_b64 v23, v[2:3]
	s_waitcnt lgkmcnt(0)
	s_barrier
	ds_read2_b64 v[36:39], v25 offset1:16
	ds_read_b128 v[40:43], v27
	ds_read_b128 v[44:47], v27 offset:16
	ds_read_b128 v[4:7], v27 offset:32
	;; [unrolled: 1-line block ×3, first 2 shown]
	s_add_u32 s14, s14, 8
	s_waitcnt lgkmcnt(3)
	v_mul_f32_e32 v16, v41, v37
	v_mul_f32_e32 v29, v40, v37
	v_fma_f32 v16, v40, v36, -v16
	v_fmac_f32_e32 v29, v41, v36
	v_add_f32_e32 v16, v32, v16
	v_add_f32_e32 v52, v34, v29
	ds_read_b128 v[32:35], v27 offset:1024
	v_mul_f32_e32 v29, v41, v39
	v_mul_f32_e32 v31, v40, v39
	v_fma_f32 v29, v40, v38, -v29
	v_fmac_f32_e32 v31, v41, v38
	v_add_f32_e32 v40, v28, v29
	v_add_f32_e32 v41, v30, v31
	ds_read_b128 v[28:31], v27 offset:1040
	s_waitcnt lgkmcnt(1)
	v_mul_f32_e32 v48, v33, v37
	v_fma_f32 v48, v32, v36, -v48
	v_add_f32_e32 v24, v24, v48
	ds_read2_b64 v[48:51], v25 offset0:32 offset1:48
	v_mul_f32_e32 v37, v32, v37
	v_fmac_f32_e32 v37, v33, v36
	v_mul_f32_e32 v36, v33, v39
	v_fma_f32 v36, v32, v38, -v36
	v_mul_f32_e32 v32, v32, v39
	v_fmac_f32_e32 v32, v33, v38
	v_add_f32_e32 v22, v22, v32
	s_waitcnt lgkmcnt(0)
	v_mul_f32_e32 v32, v43, v49
	v_mul_f32_e32 v33, v42, v49
	v_fma_f32 v32, v42, v48, -v32
	v_fmac_f32_e32 v33, v43, v48
	v_add_f32_e32 v20, v20, v36
	v_add_f32_e32 v16, v16, v32
	;; [unrolled: 1-line block ×3, first 2 shown]
	v_mul_f32_e32 v33, v43, v51
	v_mul_f32_e32 v36, v42, v51
	v_fma_f32 v33, v42, v50, -v33
	v_fmac_f32_e32 v36, v43, v50
	v_add_f32_e32 v33, v40, v33
	v_add_f32_e32 v40, v41, v36
	v_mul_f32_e32 v36, v35, v49
	v_add_f32_e32 v26, v26, v37
	v_fma_f32 v36, v34, v48, -v36
	v_mul_f32_e32 v37, v34, v49
	v_fmac_f32_e32 v37, v35, v48
	v_add_f32_e32 v24, v24, v36
	v_mul_f32_e32 v36, v35, v51
	v_add_f32_e32 v26, v26, v37
	v_fma_f32 v41, v34, v50, -v36
	ds_read2_b64 v[36:39], v25 offset0:64 offset1:80
	v_mul_f32_e32 v34, v34, v51
	v_fmac_f32_e32 v34, v35, v50
	v_add_f32_e32 v20, v20, v41
	v_add_f32_e32 v22, v22, v34
	s_waitcnt lgkmcnt(0)
	v_mul_f32_e32 v35, v44, v37
	v_fmac_f32_e32 v35, v45, v36
	v_add_f32_e32 v41, v32, v35
	v_mul_f32_e32 v32, v45, v39
	v_mul_f32_e32 v34, v45, v37
	v_fma_f32 v32, v44, v38, -v32
	v_fma_f32 v34, v44, v36, -v34
	v_add_f32_e32 v42, v33, v32
	v_mul_f32_e32 v32, v29, v37
	v_add_f32_e32 v16, v16, v34
	v_mul_f32_e32 v34, v44, v39
	v_fma_f32 v32, v28, v36, -v32
	v_mul_f32_e32 v33, v28, v37
	v_fmac_f32_e32 v34, v45, v38
	v_fmac_f32_e32 v33, v29, v36
	v_add_f32_e32 v24, v24, v32
	v_mul_f32_e32 v32, v29, v39
	v_add_f32_e32 v40, v40, v34
	v_add_f32_e32 v26, v26, v33
	v_fma_f32 v36, v28, v38, -v32
	ds_read2_b64 v[32:35], v25 offset0:96 offset1:112
	v_mul_f32_e32 v28, v28, v39
	v_fmac_f32_e32 v28, v29, v38
	v_add_f32_e32 v22, v22, v28
	v_add_f32_e32 v20, v20, v36
	s_waitcnt lgkmcnt(0)
	v_mul_f32_e32 v28, v47, v33
	v_mul_f32_e32 v29, v46, v33
	v_fma_f32 v28, v46, v32, -v28
	v_fmac_f32_e32 v29, v47, v32
	v_add_f32_e32 v16, v16, v28
	v_add_f32_e32 v28, v41, v29
	v_mul_f32_e32 v29, v47, v35
	v_mul_f32_e32 v36, v46, v35
	v_fma_f32 v29, v46, v34, -v29
	v_fmac_f32_e32 v36, v47, v34
	v_add_f32_e32 v41, v42, v29
	v_add_f32_e32 v40, v40, v36
	v_mul_f32_e32 v29, v31, v33
	ds_read2_b64 v[36:39], v25 offset0:128 offset1:144
	v_fma_f32 v29, v30, v32, -v29
	v_add_f32_e32 v24, v24, v29
	v_mul_f32_e32 v29, v31, v35
	v_mul_f32_e32 v33, v30, v33
	v_fma_f32 v29, v30, v34, -v29
	v_mul_f32_e32 v30, v30, v35
	v_fmac_f32_e32 v30, v31, v34
	v_add_f32_e32 v22, v22, v30
	s_waitcnt lgkmcnt(0)
	v_mul_f32_e32 v30, v4, v37
	v_add_f32_e32 v20, v20, v29
	v_mul_f32_e32 v29, v5, v37
	v_fmac_f32_e32 v30, v5, v36
	v_fma_f32 v29, v4, v36, -v29
	v_add_f32_e32 v44, v28, v30
	v_mul_f32_e32 v28, v5, v39
	v_fmac_f32_e32 v33, v31, v32
	v_add_f32_e32 v16, v16, v29
	v_fma_f32 v32, v4, v38, -v28
	ds_read_b128 v[28:31], v27 offset:1056
	v_mul_f32_e32 v4, v4, v39
	v_fmac_f32_e32 v4, v5, v38
	v_add_f32_e32 v5, v41, v32
	v_add_f32_e32 v4, v40, v4
	ds_read_b128 v[40:43], v27 offset:1072
	s_waitcnt lgkmcnt(1)
	v_mul_f32_e32 v32, v29, v37
	v_add_f32_e32 v26, v26, v33
	v_fma_f32 v32, v28, v36, -v32
	v_mul_f32_e32 v33, v28, v37
	v_fmac_f32_e32 v33, v29, v36
	v_add_f32_e32 v24, v24, v32
	v_mul_f32_e32 v32, v29, v39
	v_add_f32_e32 v26, v26, v33
	v_fma_f32 v36, v28, v38, -v32
	ds_read2_b64 v[32:35], v25 offset0:160 offset1:176
	v_mul_f32_e32 v28, v28, v39
	v_fmac_f32_e32 v28, v29, v38
	v_add_f32_e32 v22, v22, v28
	v_add_f32_e32 v20, v20, v36
	s_waitcnt lgkmcnt(0)
	v_mul_f32_e32 v28, v7, v33
	v_mul_f32_e32 v29, v6, v33
	v_fma_f32 v28, v6, v32, -v28
	v_fmac_f32_e32 v29, v7, v32
	v_add_f32_e32 v16, v16, v28
	v_add_f32_e32 v28, v44, v29
	v_mul_f32_e32 v29, v7, v35
	v_fma_f32 v29, v6, v34, -v29
	v_mul_f32_e32 v6, v6, v35
	v_fmac_f32_e32 v6, v7, v34
	v_add_f32_e32 v36, v4, v6
	v_mul_f32_e32 v4, v31, v33
	v_add_f32_e32 v29, v5, v29
	v_fma_f32 v4, v30, v32, -v4
	v_mul_f32_e32 v5, v30, v33
	v_fmac_f32_e32 v5, v31, v32
	v_add_f32_e32 v24, v24, v4
	v_mul_f32_e32 v4, v31, v35
	v_add_f32_e32 v26, v26, v5
	v_fma_f32 v32, v30, v34, -v4
	ds_read2_b64 v[4:7], v25 offset0:192 offset1:208
	v_mul_f32_e32 v30, v30, v35
	v_fmac_f32_e32 v30, v31, v34
	v_add_f32_e32 v22, v22, v30
	v_add_f32_e32 v20, v20, v32
	s_waitcnt lgkmcnt(0)
	v_mul_f32_e32 v30, v1, v5
	v_fma_f32 v30, v0, v4, -v30
	v_add_f32_e32 v16, v16, v30
	v_mul_f32_e32 v30, v1, v7
	v_mul_f32_e32 v31, v0, v5
	v_fma_f32 v30, v0, v6, -v30
	v_mul_f32_e32 v0, v0, v7
	v_fmac_f32_e32 v0, v1, v6
	v_add_f32_e32 v0, v36, v0
	ds_read2_b64 v[36:39], v25 offset0:224 offset1:240
	v_fmac_f32_e32 v31, v1, v4
	v_add_f32_e32 v1, v29, v30
	v_mul_f32_e32 v29, v41, v5
	v_fma_f32 v29, v40, v4, -v29
	v_mul_f32_e32 v5, v40, v5
	v_fmac_f32_e32 v5, v41, v4
	v_add_f32_e32 v4, v24, v29
	v_mul_f32_e32 v24, v41, v7
	v_fma_f32 v24, v40, v6, -v24
	v_mul_f32_e32 v7, v40, v7
	v_fmac_f32_e32 v7, v41, v6
	v_add_f32_e32 v6, v20, v24
	s_waitcnt lgkmcnt(0)
	v_mul_f32_e32 v20, v3, v37
	v_fma_f32 v20, v2, v36, -v20
	v_add_f32_e32 v32, v16, v20
	v_mul_f32_e32 v16, v3, v39
	v_add_f32_e32 v7, v22, v7
	v_mul_f32_e32 v22, v2, v37
	v_fma_f32 v16, v2, v38, -v16
	v_mul_f32_e32 v2, v2, v39
	v_add_f32_e32 v28, v28, v31
	v_fmac_f32_e32 v22, v3, v36
	v_fmac_f32_e32 v2, v3, v38
	v_add_f32_e32 v34, v28, v22
	v_add_f32_e32 v28, v1, v16
	;; [unrolled: 1-line block ×3, first 2 shown]
	v_mul_f32_e32 v0, v43, v37
	v_mul_f32_e32 v1, v42, v37
	v_add_f32_e32 v5, v26, v5
	v_fma_f32 v0, v42, v36, -v0
	v_fmac_f32_e32 v1, v43, v36
	v_add_f32_e32 v24, v4, v0
	v_add_f32_e32 v26, v5, v1
	v_mul_f32_e32 v0, v43, v39
	v_mul_f32_e32 v1, v42, v39
	v_fma_f32 v0, v42, v38, -v0
	v_fmac_f32_e32 v1, v43, v38
	s_addc_u32 s15, s15, 0
	v_add_f32_e32 v20, v6, v0
	v_add_f32_e32 v22, v7, v1
	v_mov_b64_e32 v[0:1], s[14:15]
	v_cmp_gt_i64_e32 vcc, s[8:9], v[0:1]
	s_barrier
	s_cbranch_vccz .LBB511_16
.LBB511_8:                              ; =>This Inner Loop Header: Depth=1
	s_mov_b64 s[22:23], s[12:13]
	s_mov_b64 s[16:17], 0
	s_and_saveexec_b64 s[18:19], s[0:1]
; %bb.9:                                ;   in Loop: Header=BB511_8 Depth=1
	v_add_u32_e32 v16, s14, v10
	v_cmp_le_u64_e32 vcc, s[8:9], v[16:17]
	s_andn2_b64 s[22:23], s[12:13], exec
	s_and_b64 s[36:37], vcc, exec
	s_mov_b64 s[16:17], exec
	s_or_b64 s[22:23], s[22:23], s[36:37]
	v_mov_b64_e32 v[18:19], v[16:17]
; %bb.10:                               ;   in Loop: Header=BB511_8 Depth=1
	s_or_b64 exec, exec, s[18:19]
	s_and_saveexec_b64 s[18:19], s[22:23]
	s_xor_b64 s[18:19], exec, s[18:19]
; %bb.11:                               ;   in Loop: Header=BB511_8 Depth=1
	ds_write_b32 v21, v17
	s_andn2_b64 s[16:17], s[16:17], exec
; %bb.12:                               ;   in Loop: Header=BB511_8 Depth=1
	s_or_b64 exec, exec, s[18:19]
	v_mov_b32_e32 v2, 0
	v_mov_b32_e32 v0, 0
	s_and_saveexec_b64 s[18:19], s[16:17]
	s_cbranch_execz .LBB511_14
; %bb.13:                               ;   in Loop: Header=BB511_8 Depth=1
	v_lshl_add_u64 v[0:1], v[18:19], 3, v[12:13]
	flat_load_dwordx2 v[4:5], v[0:1]
	s_waitcnt vmcnt(0) lgkmcnt(0)
	v_xor_b32_e32 v0, 0x80000000, v5
	ds_write_b32 v21, v4
.LBB511_14:                             ;   in Loop: Header=BB511_8 Depth=1
	s_or_b64 exec, exec, s[18:19]
	v_add_u32_e32 v16, s14, v8
	v_cmp_gt_u64_e32 vcc, s[8:9], v[16:17]
	s_and_b64 s[18:19], vcc, s[2:3]
	v_mov_b32_e32 v3, 0
	ds_write_b32 v21, v0 offset:4
	s_and_saveexec_b64 s[16:17], s[18:19]
	s_cbranch_execz .LBB511_7
; %bb.15:                               ;   in Loop: Header=BB511_8 Depth=1
	v_mad_u64_u32 v[0:1], s[18:19], s20, v16, 0
	v_mov_b32_e32 v2, v1
	v_mad_u64_u32 v[2:3], s[18:19], s21, v16, v[2:3]
	v_mov_b32_e32 v1, v2
	v_lshl_add_u64 v[0:1], v[0:1], 3, v[14:15]
	flat_load_dwordx2 v[2:3], v[0:1]
	s_branch .LBB511_7
.LBB511_16:
	s_lshl_b64 s[0:1], s[30:31], 3
	v_add_u32_e32 v10, s26, v11
	s_waitcnt lgkmcnt(0)
	s_add_u32 s4, s4, s0
	v_ashrrev_i32_e32 v1, 31, v10
	s_addc_u32 s5, s5, s1
	v_cmp_neq_f32_e64 s[0:1], s6, 0
	s_xor_b64 s[8:9], s[10:11], -1
	v_mul_lo_u32 v1, s28, v1
	v_mul_lo_u32 v4, s29, v10
	v_mad_u64_u32 v[2:3], s[10:11], s28, v10, 0
	v_add_u32_e32 v0, s25, v9
	v_add3_u32 v3, v3, v1, v4
	s_or_b64 s[0:1], s[0:1], s[8:9]
	v_cmp_gt_i32_e64 s[2:3], s24, v10
	v_lshl_add_u64 v[4:5], v[2:3], 3, s[4:5]
	v_cmp_le_i32_e32 vcc, v0, v10
	v_cndmask_b32_e64 v2, 0, 1, s[0:1]
	s_and_b64 s[10:11], s[2:3], vcc
	v_ashrrev_i32_e32 v1, 31, v0
	v_cmp_ne_u32_e64 s[0:1], 1, v2
	s_and_saveexec_b64 s[8:9], s[10:11]
	s_cbranch_execz .LBB511_20
; %bb.17:
	v_pk_mul_f32 v[6:7], v[34:35], s[34:35] op_sel:[0,1] op_sel_hi:[0,0]
	v_pk_fma_f32 v[2:3], v[32:33], s[34:35], v[6:7] op_sel_hi:[0,1,1] neg_lo:[0,0,1] neg_hi:[0,0,1]
	v_pk_fma_f32 v[8:9], v[32:33], s[34:35], v[6:7] op_sel_hi:[0,1,1]
	s_and_b64 vcc, exec, s[0:1]
	v_lshl_add_u64 v[6:7], v[0:1], 3, v[4:5]
	s_cbranch_vccnz .LBB511_19
; %bb.18:
	flat_load_dwordx2 v[12:13], v[6:7]
	s_mov_b32 s10, s7
	v_mov_b32_e32 v3, v9
	s_waitcnt vmcnt(0) lgkmcnt(0)
	v_pk_mul_f32 v[8:9], v[12:13], s[10:11] op_sel:[1,0] op_sel_hi:[0,0]
	v_pk_fma_f32 v[14:15], v[12:13], s[6:7], v[8:9] neg_lo:[0,0,1] neg_hi:[0,0,1]
	v_pk_fma_f32 v[8:9], v[12:13], s[6:7], v[8:9] op_sel_hi:[1,0,1]
	s_nop 0
	v_mov_b32_e32 v15, v9
	v_pk_add_f32 v[2:3], v[2:3], v[14:15]
	s_nop 0
	v_mov_b32_e32 v9, v3
.LBB511_19:
	v_mov_b32_e32 v3, v9
	flat_store_dwordx2 v[6:7], v[2:3]
.LBB511_20:
	s_or_b64 exec, exec, s[8:9]
	v_add_u32_e32 v2, 16, v0
	v_cmp_le_i32_e32 vcc, v2, v10
	s_and_b64 s[8:9], s[2:3], vcc
	v_ashrrev_i32_e32 v3, 31, v2
	s_and_saveexec_b64 s[2:3], s[8:9]
	s_cbranch_execz .LBB511_24
; %bb.21:
	v_pk_mul_f32 v[8:9], v[30:31], s[34:35] op_sel:[0,1] op_sel_hi:[0,0]
	v_pk_fma_f32 v[6:7], v[28:29], s[34:35], v[8:9] op_sel_hi:[0,1,1] neg_lo:[0,0,1] neg_hi:[0,0,1]
	v_pk_fma_f32 v[8:9], v[28:29], s[34:35], v[8:9] op_sel_hi:[0,1,1]
	s_and_b64 vcc, exec, s[0:1]
	v_lshl_add_u64 v[4:5], v[2:3], 3, v[4:5]
	s_cbranch_vccnz .LBB511_23
; %bb.22:
	flat_load_dwordx2 v[12:13], v[4:5]
	s_mov_b32 s8, s7
	v_mov_b32_e32 v7, v9
	s_waitcnt vmcnt(0) lgkmcnt(0)
	v_pk_mul_f32 v[8:9], v[12:13], s[8:9] op_sel:[1,0] op_sel_hi:[0,0]
	v_pk_fma_f32 v[14:15], v[12:13], s[6:7], v[8:9] neg_lo:[0,0,1] neg_hi:[0,0,1]
	v_pk_fma_f32 v[8:9], v[12:13], s[6:7], v[8:9] op_sel_hi:[1,0,1]
	s_nop 0
	v_mov_b32_e32 v15, v9
	v_pk_add_f32 v[6:7], v[6:7], v[14:15]
	s_nop 0
	v_mov_b32_e32 v9, v7
.LBB511_23:
	v_mov_b32_e32 v7, v9
	flat_store_dwordx2 v[4:5], v[6:7]
.LBB511_24:
	s_or_b64 exec, exec, s[2:3]
	v_add_u32_e32 v10, 16, v10
	v_ashrrev_i32_e32 v4, 31, v10
	v_mul_lo_u32 v6, s28, v4
	v_mul_lo_u32 v7, s29, v10
	v_mad_u64_u32 v[4:5], s[8:9], s28, v10, 0
	v_cmp_gt_i32_e64 s[2:3], s24, v10
	v_add3_u32 v5, v5, v6, v7
	v_cmp_le_i32_e32 vcc, v0, v10
	v_lshl_add_u64 v[4:5], v[4:5], 3, s[4:5]
	s_and_b64 s[8:9], s[2:3], vcc
	s_and_saveexec_b64 s[4:5], s[8:9]
	s_cbranch_execz .LBB511_28
; %bb.25:
	v_pk_mul_f32 v[8:9], v[26:27], s[34:35] op_sel:[0,1] op_sel_hi:[0,0]
	v_pk_fma_f32 v[6:7], v[24:25], s[34:35], v[8:9] op_sel_hi:[0,1,1] neg_lo:[0,0,1] neg_hi:[0,0,1]
	v_pk_fma_f32 v[8:9], v[24:25], s[34:35], v[8:9] op_sel_hi:[0,1,1]
	s_and_b64 vcc, exec, s[0:1]
	v_lshl_add_u64 v[0:1], v[0:1], 3, v[4:5]
	s_cbranch_vccnz .LBB511_27
; %bb.26:
	flat_load_dwordx2 v[12:13], v[0:1]
	s_mov_b32 s8, s7
	v_mov_b32_e32 v7, v9
	s_waitcnt vmcnt(0) lgkmcnt(0)
	v_pk_mul_f32 v[8:9], v[12:13], s[8:9] op_sel:[1,0] op_sel_hi:[0,0]
	v_pk_fma_f32 v[14:15], v[12:13], s[6:7], v[8:9] neg_lo:[0,0,1] neg_hi:[0,0,1]
	v_pk_fma_f32 v[8:9], v[12:13], s[6:7], v[8:9] op_sel_hi:[1,0,1]
	s_nop 0
	v_mov_b32_e32 v15, v9
	v_pk_add_f32 v[6:7], v[6:7], v[14:15]
	s_nop 0
	v_mov_b32_e32 v9, v7
.LBB511_27:
	v_mov_b32_e32 v7, v9
	flat_store_dwordx2 v[0:1], v[6:7]
.LBB511_28:
	s_or_b64 exec, exec, s[4:5]
	v_cmp_le_i32_e32 vcc, v2, v10
	s_and_b64 s[2:3], s[2:3], vcc
	s_and_saveexec_b64 s[4:5], s[2:3]
	s_cbranch_execz .LBB511_32
; %bb.29:
	v_pk_mul_f32 v[6:7], v[22:23], s[34:35] op_sel:[0,1] op_sel_hi:[0,0]
	v_pk_fma_f32 v[0:1], v[20:21], s[34:35], v[6:7] op_sel_hi:[0,1,1] neg_lo:[0,0,1] neg_hi:[0,0,1]
	v_pk_fma_f32 v[6:7], v[20:21], s[34:35], v[6:7] op_sel_hi:[0,1,1]
	s_and_b64 vcc, exec, s[0:1]
	v_lshl_add_u64 v[2:3], v[2:3], 3, v[4:5]
	s_cbranch_vccnz .LBB511_31
; %bb.30:
	flat_load_dwordx2 v[4:5], v[2:3]
	s_mov_b32 s0, s7
	v_mov_b32_e32 v1, v7
	s_waitcnt vmcnt(0) lgkmcnt(0)
	v_pk_mul_f32 v[6:7], v[4:5], s[0:1] op_sel:[1,0] op_sel_hi:[0,0]
	v_pk_fma_f32 v[8:9], v[4:5], s[6:7], v[6:7] neg_lo:[0,0,1] neg_hi:[0,0,1]
	v_pk_fma_f32 v[4:5], v[4:5], s[6:7], v[6:7] op_sel_hi:[1,0,1]
	s_nop 0
	v_mov_b32_e32 v9, v5
	v_pk_add_f32 v[0:1], v[0:1], v[8:9]
	s_nop 0
	v_mov_b32_e32 v7, v1
.LBB511_31:
	v_mov_b32_e32 v1, v7
	flat_store_dwordx2 v[2:3], v[0:1]
.LBB511_32:
	s_endpgm
	.section	.rodata,"a",@progbits
	.p2align	6, 0x0
	.amdhsa_kernel _ZL29rocblas_internal_gemmt_kernelIlLi16ELi32ELi8ELc67ELc84ELc85ELb1ELb0E19rocblas_complex_numIfEPKS1_PKS3_PKPS1_EviT_T9_T10_S9_lSB_S9_lSA_T11_S9_li
		.amdhsa_group_segment_fixed_size 4096
		.amdhsa_private_segment_fixed_size 0
		.amdhsa_kernarg_size 108
		.amdhsa_user_sgpr_count 2
		.amdhsa_user_sgpr_dispatch_ptr 0
		.amdhsa_user_sgpr_queue_ptr 0
		.amdhsa_user_sgpr_kernarg_segment_ptr 1
		.amdhsa_user_sgpr_dispatch_id 0
		.amdhsa_user_sgpr_kernarg_preload_length 0
		.amdhsa_user_sgpr_kernarg_preload_offset 0
		.amdhsa_user_sgpr_private_segment_size 0
		.amdhsa_uses_dynamic_stack 0
		.amdhsa_enable_private_segment 0
		.amdhsa_system_sgpr_workgroup_id_x 1
		.amdhsa_system_sgpr_workgroup_id_y 1
		.amdhsa_system_sgpr_workgroup_id_z 1
		.amdhsa_system_sgpr_workgroup_info 0
		.amdhsa_system_vgpr_workitem_id 1
		.amdhsa_next_free_vgpr 53
		.amdhsa_next_free_sgpr 40
		.amdhsa_accum_offset 56
		.amdhsa_reserve_vcc 1
		.amdhsa_float_round_mode_32 0
		.amdhsa_float_round_mode_16_64 0
		.amdhsa_float_denorm_mode_32 3
		.amdhsa_float_denorm_mode_16_64 3
		.amdhsa_dx10_clamp 1
		.amdhsa_ieee_mode 1
		.amdhsa_fp16_overflow 0
		.amdhsa_tg_split 0
		.amdhsa_exception_fp_ieee_invalid_op 0
		.amdhsa_exception_fp_denorm_src 0
		.amdhsa_exception_fp_ieee_div_zero 0
		.amdhsa_exception_fp_ieee_overflow 0
		.amdhsa_exception_fp_ieee_underflow 0
		.amdhsa_exception_fp_ieee_inexact 0
		.amdhsa_exception_int_div_zero 0
	.end_amdhsa_kernel
	.section	.text._ZL29rocblas_internal_gemmt_kernelIlLi16ELi32ELi8ELc67ELc84ELc85ELb1ELb0E19rocblas_complex_numIfEPKS1_PKS3_PKPS1_EviT_T9_T10_S9_lSB_S9_lSA_T11_S9_li,"axG",@progbits,_ZL29rocblas_internal_gemmt_kernelIlLi16ELi32ELi8ELc67ELc84ELc85ELb1ELb0E19rocblas_complex_numIfEPKS1_PKS3_PKPS1_EviT_T9_T10_S9_lSB_S9_lSA_T11_S9_li,comdat
.Lfunc_end511:
	.size	_ZL29rocblas_internal_gemmt_kernelIlLi16ELi32ELi8ELc67ELc84ELc85ELb1ELb0E19rocblas_complex_numIfEPKS1_PKS3_PKPS1_EviT_T9_T10_S9_lSB_S9_lSA_T11_S9_li, .Lfunc_end511-_ZL29rocblas_internal_gemmt_kernelIlLi16ELi32ELi8ELc67ELc84ELc85ELb1ELb0E19rocblas_complex_numIfEPKS1_PKS3_PKPS1_EviT_T9_T10_S9_lSB_S9_lSA_T11_S9_li
                                        ; -- End function
	.set _ZL29rocblas_internal_gemmt_kernelIlLi16ELi32ELi8ELc67ELc84ELc85ELb1ELb0E19rocblas_complex_numIfEPKS1_PKS3_PKPS1_EviT_T9_T10_S9_lSB_S9_lSA_T11_S9_li.num_vgpr, 53
	.set _ZL29rocblas_internal_gemmt_kernelIlLi16ELi32ELi8ELc67ELc84ELc85ELb1ELb0E19rocblas_complex_numIfEPKS1_PKS3_PKPS1_EviT_T9_T10_S9_lSB_S9_lSA_T11_S9_li.num_agpr, 0
	.set _ZL29rocblas_internal_gemmt_kernelIlLi16ELi32ELi8ELc67ELc84ELc85ELb1ELb0E19rocblas_complex_numIfEPKS1_PKS3_PKPS1_EviT_T9_T10_S9_lSB_S9_lSA_T11_S9_li.numbered_sgpr, 40
	.set _ZL29rocblas_internal_gemmt_kernelIlLi16ELi32ELi8ELc67ELc84ELc85ELb1ELb0E19rocblas_complex_numIfEPKS1_PKS3_PKPS1_EviT_T9_T10_S9_lSB_S9_lSA_T11_S9_li.num_named_barrier, 0
	.set _ZL29rocblas_internal_gemmt_kernelIlLi16ELi32ELi8ELc67ELc84ELc85ELb1ELb0E19rocblas_complex_numIfEPKS1_PKS3_PKPS1_EviT_T9_T10_S9_lSB_S9_lSA_T11_S9_li.private_seg_size, 0
	.set _ZL29rocblas_internal_gemmt_kernelIlLi16ELi32ELi8ELc67ELc84ELc85ELb1ELb0E19rocblas_complex_numIfEPKS1_PKS3_PKPS1_EviT_T9_T10_S9_lSB_S9_lSA_T11_S9_li.uses_vcc, 1
	.set _ZL29rocblas_internal_gemmt_kernelIlLi16ELi32ELi8ELc67ELc84ELc85ELb1ELb0E19rocblas_complex_numIfEPKS1_PKS3_PKPS1_EviT_T9_T10_S9_lSB_S9_lSA_T11_S9_li.uses_flat_scratch, 0
	.set _ZL29rocblas_internal_gemmt_kernelIlLi16ELi32ELi8ELc67ELc84ELc85ELb1ELb0E19rocblas_complex_numIfEPKS1_PKS3_PKPS1_EviT_T9_T10_S9_lSB_S9_lSA_T11_S9_li.has_dyn_sized_stack, 0
	.set _ZL29rocblas_internal_gemmt_kernelIlLi16ELi32ELi8ELc67ELc84ELc85ELb1ELb0E19rocblas_complex_numIfEPKS1_PKS3_PKPS1_EviT_T9_T10_S9_lSB_S9_lSA_T11_S9_li.has_recursion, 0
	.set _ZL29rocblas_internal_gemmt_kernelIlLi16ELi32ELi8ELc67ELc84ELc85ELb1ELb0E19rocblas_complex_numIfEPKS1_PKS3_PKPS1_EviT_T9_T10_S9_lSB_S9_lSA_T11_S9_li.has_indirect_call, 0
	.section	.AMDGPU.csdata,"",@progbits
; Kernel info:
; codeLenInByte = 2576
; TotalNumSgprs: 46
; NumVgprs: 53
; NumAgprs: 0
; TotalNumVgprs: 53
; ScratchSize: 0
; MemoryBound: 0
; FloatMode: 240
; IeeeMode: 1
; LDSByteSize: 4096 bytes/workgroup (compile time only)
; SGPRBlocks: 5
; VGPRBlocks: 6
; NumSGPRsForWavesPerEU: 46
; NumVGPRsForWavesPerEU: 53
; AccumOffset: 56
; Occupancy: 8
; WaveLimiterHint : 1
; COMPUTE_PGM_RSRC2:SCRATCH_EN: 0
; COMPUTE_PGM_RSRC2:USER_SGPR: 2
; COMPUTE_PGM_RSRC2:TRAP_HANDLER: 0
; COMPUTE_PGM_RSRC2:TGID_X_EN: 1
; COMPUTE_PGM_RSRC2:TGID_Y_EN: 1
; COMPUTE_PGM_RSRC2:TGID_Z_EN: 1
; COMPUTE_PGM_RSRC2:TIDIG_COMP_CNT: 1
; COMPUTE_PGM_RSRC3_GFX90A:ACCUM_OFFSET: 13
; COMPUTE_PGM_RSRC3_GFX90A:TG_SPLIT: 0
	.section	.text._ZL29rocblas_internal_gemmt_kernelIlLi16ELi32ELi8ELc67ELc67ELc85ELb1ELb1E19rocblas_complex_numIfEPKS1_PKS3_PKPS1_EviT_T9_T10_S9_lSB_S9_lSA_T11_S9_li,"axG",@progbits,_ZL29rocblas_internal_gemmt_kernelIlLi16ELi32ELi8ELc67ELc67ELc85ELb1ELb1E19rocblas_complex_numIfEPKS1_PKS3_PKPS1_EviT_T9_T10_S9_lSB_S9_lSA_T11_S9_li,comdat
	.globl	_ZL29rocblas_internal_gemmt_kernelIlLi16ELi32ELi8ELc67ELc67ELc85ELb1ELb1E19rocblas_complex_numIfEPKS1_PKS3_PKPS1_EviT_T9_T10_S9_lSB_S9_lSA_T11_S9_li ; -- Begin function _ZL29rocblas_internal_gemmt_kernelIlLi16ELi32ELi8ELc67ELc67ELc85ELb1ELb1E19rocblas_complex_numIfEPKS1_PKS3_PKPS1_EviT_T9_T10_S9_lSB_S9_lSA_T11_S9_li
	.p2align	8
	.type	_ZL29rocblas_internal_gemmt_kernelIlLi16ELi32ELi8ELc67ELc67ELc85ELb1ELb1E19rocblas_complex_numIfEPKS1_PKS3_PKPS1_EviT_T9_T10_S9_lSB_S9_lSA_T11_S9_li,@function
_ZL29rocblas_internal_gemmt_kernelIlLi16ELi32ELi8ELc67ELc67ELc85ELb1ELb1E19rocblas_complex_numIfEPKS1_PKS3_PKPS1_EviT_T9_T10_S9_lSB_S9_lSA_T11_S9_li: ; @_ZL29rocblas_internal_gemmt_kernelIlLi16ELi32ELi8ELc67ELc67ELc85ELb1ELb1E19rocblas_complex_numIfEPKS1_PKS3_PKPS1_EviT_T9_T10_S9_lSB_S9_lSA_T11_S9_li
; %bb.0:
	s_load_dwordx8 s[24:31], s[0:1], 0x48
	s_load_dwordx16 s[8:23], s[0:1], 0x8
	s_waitcnt lgkmcnt(0)
	s_load_dwordx2 s[6:7], s[24:25], 0x0
	s_load_dwordx2 s[34:35], s[10:11], 0x0
	s_waitcnt lgkmcnt(0)
	s_and_b32 s5, s7, 0x7fffffff
	s_cmp_eq_u32 s5, 0
	v_cmp_eq_f32_e64 s[24:25], s6, 1.0
	s_cselect_b64 s[10:11], -1, 0
	s_and_b64 s[24:25], s[24:25], s[10:11]
	s_and_b64 vcc, exec, s[24:25]
	s_cbranch_vccnz .LBB512_2
; %bb.1:
	s_mov_b64 s[24:25], -1
	s_cbranch_execz .LBB512_3
	s_branch .LBB512_4
.LBB512_2:
	s_mov_b64 s[24:25], 0
.LBB512_3:
	s_cmp_lg_u64 s[8:9], 0
	v_cmp_neq_f32_e64 s[36:37], s34, 0
	v_cmp_neq_f32_e64 s[38:39], s35, 0
	s_cselect_b64 s[24:25], -1, 0
	s_or_b64 s[36:37], s[36:37], s[38:39]
	s_and_b64 s[24:25], s[24:25], s[36:37]
.LBB512_4:
	s_andn2_b64 vcc, exec, s[24:25]
	s_cbranch_vccnz .LBB512_34
; %bb.5:
	s_mov_b32 s5, 0
	s_load_dword s24, s[0:1], 0x0
	s_lshl_b64 s[0:1], s[4:5], 3
	s_add_u32 s4, s26, s0
	s_addc_u32 s5, s27, s1
	s_load_dwordx2 s[4:5], s[4:5], 0x0
	s_lshl_b32 s25, s2, 5
	s_lshl_b32 s26, s3, 5
	v_cmp_eq_f32_e64 s[2:3], s34, 0
	v_cmp_eq_f32_e64 s[36:37], s35, 0
	s_and_b64 s[2:3], s[2:3], s[36:37]
	v_cmp_lt_i64_e64 s[36:37], s[8:9], 1
	s_or_b64 s[2:3], s[2:3], s[36:37]
	v_and_b32_e32 v9, 0x3ff, v0
	v_bfe_u32 v11, v0, 10, 10
	v_mov_b32_e32 v32, 0
	s_and_b64 vcc, exec, s[2:3]
	v_mov_b32_e32 v34, 0
	v_mov_b32_e32 v28, 0
	;; [unrolled: 1-line block ×7, first 2 shown]
	s_cbranch_vccnz .LBB512_18
; %bb.6:
	s_add_u32 s2, s18, s0
	s_addc_u32 s3, s19, s1
	s_load_dwordx2 s[2:3], s[2:3], 0x0
	s_lshl_b64 s[18:19], s[22:23], 3
	v_lshl_add_u32 v1, v11, 4, v9
	v_lshrrev_b32_e32 v10, 5, v1
	v_lshrrev_b32_e32 v4, 3, v1
	s_waitcnt lgkmcnt(0)
	s_add_u32 s18, s2, s18
	s_addc_u32 s19, s3, s19
	s_add_u32 s0, s12, s0
	s_addc_u32 s1, s13, s1
	s_load_dwordx2 s[0:1], s[0:1], 0x0
	s_lshl_b64 s[2:3], s[16:17], 3
	v_and_b32_e32 v1, 31, v1
	v_or_b32_e32 v2, s25, v1
	v_lshlrev_b32_e32 v1, 3, v1
	s_waitcnt lgkmcnt(0)
	s_add_u32 s12, s0, s2
	s_addc_u32 s13, s1, s3
	s_ashr_i32 s22, s25, 31
	v_and_b32_e32 v8, 7, v9
	v_cmp_gt_i32_e64 s[0:1], s24, v2
	v_cmp_le_i32_e64 s[2:3], s24, v2
	v_lshl_or_b32 v21, v10, 8, v1
	v_mul_lo_u32 v1, s15, v2
	v_mad_u64_u32 v[2:3], s[16:17], s14, v2, 0
	s_mul_i32 s14, s14, s22
	v_add3_u32 v3, v3, s14, v1
	v_lshlrev_b32_e32 v1, 3, v8
	v_add_u32_e32 v0, s26, v4
	v_lshl_or_b32 v1, v4, 6, v1
	v_add_u32_e32 v23, 0x800, v1
	v_ashrrev_i32_e32 v1, 31, v0
	v_cmp_gt_i32_e32 vcc, s24, v0
	v_lshl_add_u64 v[14:15], v[0:1], 3, s[18:19]
	v_mov_b32_e32 v0, 0x800
	v_lshl_add_u64 v[12:13], v[2:3], 3, s[12:13]
	v_lshlrev_b32_e32 v25, 3, v9
	v_lshl_add_u32 v27, v11, 6, v0
	v_mov_b32_e32 v17, 0
	s_mov_b64 s[12:13], 0
	s_xor_b64 s[14:15], vcc, -1
	v_mov_b32_e32 v22, 0
	v_mov_b32_e32 v20, 0
	;; [unrolled: 1-line block ×8, first 2 shown]
                                        ; implicit-def: $vgpr18_vgpr19
	s_branch .LBB512_8
.LBB512_7:                              ;   in Loop: Header=BB512_8 Depth=1
	s_or_b64 exec, exec, s[16:17]
	ds_write_b32 v23, v0 offset:4
	s_waitcnt lgkmcnt(0)
	s_barrier
	ds_read2_b64 v[36:39], v25 offset1:16
	ds_read_b128 v[40:43], v27
	ds_read_b128 v[44:47], v27 offset:16
	ds_read_b128 v[4:7], v27 offset:32
	;; [unrolled: 1-line block ×3, first 2 shown]
	s_add_u32 s12, s12, 8
	s_waitcnt lgkmcnt(3)
	v_mul_f32_e32 v16, v41, v37
	v_mul_f32_e32 v29, v40, v37
	v_fma_f32 v16, v40, v36, -v16
	v_fmac_f32_e32 v29, v41, v36
	v_add_f32_e32 v16, v32, v16
	v_add_f32_e32 v52, v34, v29
	ds_read_b128 v[32:35], v27 offset:1024
	v_mul_f32_e32 v29, v41, v39
	v_mul_f32_e32 v31, v40, v39
	v_fma_f32 v29, v40, v38, -v29
	v_fmac_f32_e32 v31, v41, v38
	v_add_f32_e32 v40, v28, v29
	v_add_f32_e32 v41, v30, v31
	ds_read_b128 v[28:31], v27 offset:1040
	s_waitcnt lgkmcnt(1)
	v_mul_f32_e32 v48, v33, v37
	v_fma_f32 v48, v32, v36, -v48
	v_add_f32_e32 v24, v24, v48
	ds_read2_b64 v[48:51], v25 offset0:32 offset1:48
	v_mul_f32_e32 v37, v32, v37
	v_fmac_f32_e32 v37, v33, v36
	v_mul_f32_e32 v36, v33, v39
	v_fma_f32 v36, v32, v38, -v36
	v_mul_f32_e32 v32, v32, v39
	v_fmac_f32_e32 v32, v33, v38
	v_add_f32_e32 v22, v22, v32
	s_waitcnt lgkmcnt(0)
	v_mul_f32_e32 v32, v43, v49
	v_mul_f32_e32 v33, v42, v49
	v_fma_f32 v32, v42, v48, -v32
	v_fmac_f32_e32 v33, v43, v48
	v_add_f32_e32 v20, v20, v36
	v_add_f32_e32 v16, v16, v32
	;; [unrolled: 1-line block ×3, first 2 shown]
	v_mul_f32_e32 v33, v43, v51
	v_mul_f32_e32 v36, v42, v51
	v_fma_f32 v33, v42, v50, -v33
	v_fmac_f32_e32 v36, v43, v50
	v_add_f32_e32 v33, v40, v33
	v_add_f32_e32 v40, v41, v36
	v_mul_f32_e32 v36, v35, v49
	v_add_f32_e32 v26, v26, v37
	v_fma_f32 v36, v34, v48, -v36
	v_mul_f32_e32 v37, v34, v49
	v_fmac_f32_e32 v37, v35, v48
	v_add_f32_e32 v24, v24, v36
	v_mul_f32_e32 v36, v35, v51
	v_add_f32_e32 v26, v26, v37
	v_fma_f32 v41, v34, v50, -v36
	ds_read2_b64 v[36:39], v25 offset0:64 offset1:80
	v_mul_f32_e32 v34, v34, v51
	v_fmac_f32_e32 v34, v35, v50
	v_add_f32_e32 v20, v20, v41
	v_add_f32_e32 v22, v22, v34
	s_waitcnt lgkmcnt(0)
	v_mul_f32_e32 v35, v44, v37
	v_fmac_f32_e32 v35, v45, v36
	v_add_f32_e32 v41, v32, v35
	v_mul_f32_e32 v32, v45, v39
	v_mul_f32_e32 v34, v45, v37
	v_fma_f32 v32, v44, v38, -v32
	v_fma_f32 v34, v44, v36, -v34
	v_add_f32_e32 v42, v33, v32
	v_mul_f32_e32 v32, v29, v37
	v_add_f32_e32 v16, v16, v34
	v_mul_f32_e32 v34, v44, v39
	v_fma_f32 v32, v28, v36, -v32
	v_mul_f32_e32 v33, v28, v37
	v_fmac_f32_e32 v34, v45, v38
	v_fmac_f32_e32 v33, v29, v36
	v_add_f32_e32 v24, v24, v32
	v_mul_f32_e32 v32, v29, v39
	v_add_f32_e32 v40, v40, v34
	v_add_f32_e32 v26, v26, v33
	v_fma_f32 v36, v28, v38, -v32
	ds_read2_b64 v[32:35], v25 offset0:96 offset1:112
	v_mul_f32_e32 v28, v28, v39
	v_fmac_f32_e32 v28, v29, v38
	v_add_f32_e32 v22, v22, v28
	v_add_f32_e32 v20, v20, v36
	s_waitcnt lgkmcnt(0)
	v_mul_f32_e32 v28, v47, v33
	v_mul_f32_e32 v29, v46, v33
	v_fma_f32 v28, v46, v32, -v28
	v_fmac_f32_e32 v29, v47, v32
	v_add_f32_e32 v16, v16, v28
	v_add_f32_e32 v28, v41, v29
	v_mul_f32_e32 v29, v47, v35
	v_mul_f32_e32 v36, v46, v35
	v_fma_f32 v29, v46, v34, -v29
	v_fmac_f32_e32 v36, v47, v34
	v_add_f32_e32 v41, v42, v29
	v_add_f32_e32 v40, v40, v36
	v_mul_f32_e32 v29, v31, v33
	ds_read2_b64 v[36:39], v25 offset0:128 offset1:144
	v_fma_f32 v29, v30, v32, -v29
	v_add_f32_e32 v24, v24, v29
	v_mul_f32_e32 v29, v31, v35
	v_mul_f32_e32 v33, v30, v33
	v_fma_f32 v29, v30, v34, -v29
	v_mul_f32_e32 v30, v30, v35
	v_fmac_f32_e32 v30, v31, v34
	v_add_f32_e32 v22, v22, v30
	s_waitcnt lgkmcnt(0)
	v_mul_f32_e32 v30, v4, v37
	v_add_f32_e32 v20, v20, v29
	v_mul_f32_e32 v29, v5, v37
	v_fmac_f32_e32 v30, v5, v36
	v_fma_f32 v29, v4, v36, -v29
	v_add_f32_e32 v44, v28, v30
	v_mul_f32_e32 v28, v5, v39
	v_fmac_f32_e32 v33, v31, v32
	v_add_f32_e32 v16, v16, v29
	v_fma_f32 v32, v4, v38, -v28
	ds_read_b128 v[28:31], v27 offset:1056
	v_mul_f32_e32 v4, v4, v39
	v_fmac_f32_e32 v4, v5, v38
	v_add_f32_e32 v5, v41, v32
	v_add_f32_e32 v4, v40, v4
	ds_read_b128 v[40:43], v27 offset:1072
	s_waitcnt lgkmcnt(1)
	v_mul_f32_e32 v32, v29, v37
	v_add_f32_e32 v26, v26, v33
	v_fma_f32 v32, v28, v36, -v32
	v_mul_f32_e32 v33, v28, v37
	v_fmac_f32_e32 v33, v29, v36
	v_add_f32_e32 v24, v24, v32
	v_mul_f32_e32 v32, v29, v39
	v_add_f32_e32 v26, v26, v33
	v_fma_f32 v36, v28, v38, -v32
	ds_read2_b64 v[32:35], v25 offset0:160 offset1:176
	v_mul_f32_e32 v28, v28, v39
	v_fmac_f32_e32 v28, v29, v38
	v_add_f32_e32 v22, v22, v28
	v_add_f32_e32 v20, v20, v36
	s_waitcnt lgkmcnt(0)
	v_mul_f32_e32 v28, v7, v33
	v_mul_f32_e32 v29, v6, v33
	v_fma_f32 v28, v6, v32, -v28
	v_fmac_f32_e32 v29, v7, v32
	v_add_f32_e32 v16, v16, v28
	v_add_f32_e32 v28, v44, v29
	v_mul_f32_e32 v29, v7, v35
	v_fma_f32 v29, v6, v34, -v29
	v_mul_f32_e32 v6, v6, v35
	v_fmac_f32_e32 v6, v7, v34
	v_add_f32_e32 v36, v4, v6
	v_mul_f32_e32 v4, v31, v33
	v_add_f32_e32 v29, v5, v29
	v_fma_f32 v4, v30, v32, -v4
	v_mul_f32_e32 v5, v30, v33
	v_fmac_f32_e32 v5, v31, v32
	v_add_f32_e32 v24, v24, v4
	v_mul_f32_e32 v4, v31, v35
	v_add_f32_e32 v26, v26, v5
	v_fma_f32 v32, v30, v34, -v4
	ds_read2_b64 v[4:7], v25 offset0:192 offset1:208
	v_mul_f32_e32 v30, v30, v35
	v_fmac_f32_e32 v30, v31, v34
	v_add_f32_e32 v22, v22, v30
	v_add_f32_e32 v20, v20, v32
	s_waitcnt lgkmcnt(0)
	v_mul_f32_e32 v30, v1, v5
	v_fma_f32 v30, v0, v4, -v30
	v_add_f32_e32 v16, v16, v30
	v_mul_f32_e32 v30, v1, v7
	v_mul_f32_e32 v31, v0, v5
	v_fma_f32 v30, v0, v6, -v30
	v_mul_f32_e32 v0, v0, v7
	v_fmac_f32_e32 v0, v1, v6
	v_add_f32_e32 v0, v36, v0
	ds_read2_b64 v[36:39], v25 offset0:224 offset1:240
	v_fmac_f32_e32 v31, v1, v4
	v_add_f32_e32 v1, v29, v30
	v_mul_f32_e32 v29, v41, v5
	v_fma_f32 v29, v40, v4, -v29
	v_mul_f32_e32 v5, v40, v5
	v_fmac_f32_e32 v5, v41, v4
	v_add_f32_e32 v4, v24, v29
	v_mul_f32_e32 v24, v41, v7
	v_fma_f32 v24, v40, v6, -v24
	v_mul_f32_e32 v7, v40, v7
	v_fmac_f32_e32 v7, v41, v6
	v_add_f32_e32 v6, v20, v24
	s_waitcnt lgkmcnt(0)
	v_mul_f32_e32 v20, v3, v37
	v_fma_f32 v20, v2, v36, -v20
	v_add_f32_e32 v32, v16, v20
	v_mul_f32_e32 v16, v3, v39
	v_add_f32_e32 v7, v22, v7
	v_mul_f32_e32 v22, v2, v37
	v_fma_f32 v16, v2, v38, -v16
	v_mul_f32_e32 v2, v2, v39
	v_add_f32_e32 v28, v28, v31
	v_fmac_f32_e32 v22, v3, v36
	v_fmac_f32_e32 v2, v3, v38
	v_add_f32_e32 v34, v28, v22
	v_add_f32_e32 v28, v1, v16
	;; [unrolled: 1-line block ×3, first 2 shown]
	v_mul_f32_e32 v0, v43, v37
	v_mul_f32_e32 v1, v42, v37
	v_add_f32_e32 v5, v26, v5
	v_fma_f32 v0, v42, v36, -v0
	v_fmac_f32_e32 v1, v43, v36
	v_add_f32_e32 v24, v4, v0
	v_add_f32_e32 v26, v5, v1
	v_mul_f32_e32 v0, v43, v39
	v_mul_f32_e32 v1, v42, v39
	v_fma_f32 v0, v42, v38, -v0
	v_fmac_f32_e32 v1, v43, v38
	s_addc_u32 s13, s13, 0
	v_add_f32_e32 v20, v6, v0
	v_add_f32_e32 v22, v7, v1
	v_mov_b64_e32 v[0:1], s[12:13]
	v_cmp_gt_i64_e32 vcc, s[8:9], v[0:1]
	s_barrier
	s_cbranch_vccz .LBB512_18
.LBB512_8:                              ; =>This Inner Loop Header: Depth=1
	s_mov_b64 s[22:23], s[2:3]
	s_mov_b64 s[16:17], 0
	s_and_saveexec_b64 s[18:19], s[0:1]
	s_cbranch_execnz .LBB512_16
; %bb.9:                                ;   in Loop: Header=BB512_8 Depth=1
	s_or_b64 exec, exec, s[18:19]
	s_and_saveexec_b64 s[18:19], s[22:23]
	s_xor_b64 s[18:19], exec, s[18:19]
	s_cbranch_execnz .LBB512_17
.LBB512_10:                             ;   in Loop: Header=BB512_8 Depth=1
	s_or_b64 exec, exec, s[18:19]
	v_mov_b32_e32 v0, 0
	s_and_saveexec_b64 s[18:19], s[16:17]
	s_cbranch_execz .LBB512_12
.LBB512_11:                             ;   in Loop: Header=BB512_8 Depth=1
	v_lshl_add_u64 v[0:1], v[18:19], 3, v[12:13]
	flat_load_dwordx2 v[2:3], v[0:1]
	s_waitcnt vmcnt(0) lgkmcnt(0)
	v_xor_b32_e32 v0, 0x80000000, v3
	ds_write_b32 v21, v2
.LBB512_12:                             ;   in Loop: Header=BB512_8 Depth=1
	s_or_b64 exec, exec, s[18:19]
	v_add_u32_e32 v16, s12, v8
	v_cmp_le_u64_e32 vcc, s[8:9], v[16:17]
	s_or_b64 s[16:17], vcc, s[14:15]
	ds_write_b32 v21, v0 offset:4
	s_and_saveexec_b64 s[18:19], s[16:17]
	s_xor_b64 s[16:17], exec, s[18:19]
; %bb.13:                               ;   in Loop: Header=BB512_8 Depth=1
	ds_write_b32 v23, v17
; %bb.14:                               ;   in Loop: Header=BB512_8 Depth=1
	s_or_saveexec_b64 s[16:17], s[16:17]
	v_mov_b32_e32 v0, 0
	s_xor_b64 exec, exec, s[16:17]
	s_cbranch_execz .LBB512_7
; %bb.15:                               ;   in Loop: Header=BB512_8 Depth=1
	v_mad_u64_u32 v[0:1], s[18:19], s20, v16, 0
	v_mov_b32_e32 v2, v1
	v_mad_u64_u32 v[2:3], s[18:19], s21, v16, v[2:3]
	v_mov_b32_e32 v1, v2
	v_lshl_add_u64 v[0:1], v[0:1], 3, v[14:15]
	flat_load_dwordx2 v[2:3], v[0:1]
	s_waitcnt vmcnt(0) lgkmcnt(0)
	v_xor_b32_e32 v0, 0x80000000, v3
	ds_write_b32 v23, v2
	s_branch .LBB512_7
.LBB512_16:                             ;   in Loop: Header=BB512_8 Depth=1
	v_add_u32_e32 v16, s12, v10
	v_cmp_le_u64_e32 vcc, s[8:9], v[16:17]
	s_andn2_b64 s[22:23], s[2:3], exec
	s_and_b64 s[36:37], vcc, exec
	s_mov_b64 s[16:17], exec
	s_or_b64 s[22:23], s[22:23], s[36:37]
	v_mov_b64_e32 v[18:19], v[16:17]
	s_or_b64 exec, exec, s[18:19]
	s_and_saveexec_b64 s[18:19], s[22:23]
	s_xor_b64 s[18:19], exec, s[18:19]
	s_cbranch_execz .LBB512_10
.LBB512_17:                             ;   in Loop: Header=BB512_8 Depth=1
	ds_write_b32 v21, v17
	s_andn2_b64 s[16:17], s[16:17], exec
	s_or_b64 exec, exec, s[18:19]
	v_mov_b32_e32 v0, 0
	s_and_saveexec_b64 s[18:19], s[16:17]
	s_cbranch_execnz .LBB512_11
	s_branch .LBB512_12
.LBB512_18:
	s_lshl_b64 s[0:1], s[30:31], 3
	v_add_u32_e32 v10, s26, v11
	s_waitcnt lgkmcnt(0)
	s_add_u32 s4, s4, s0
	v_ashrrev_i32_e32 v1, 31, v10
	s_addc_u32 s5, s5, s1
	v_cmp_neq_f32_e64 s[0:1], s6, 0
	s_xor_b64 s[8:9], s[10:11], -1
	v_mul_lo_u32 v1, s28, v1
	v_mul_lo_u32 v4, s29, v10
	v_mad_u64_u32 v[2:3], s[10:11], s28, v10, 0
	v_add_u32_e32 v0, s25, v9
	v_add3_u32 v3, v3, v1, v4
	s_or_b64 s[0:1], s[0:1], s[8:9]
	v_cmp_gt_i32_e64 s[2:3], s24, v10
	v_lshl_add_u64 v[4:5], v[2:3], 3, s[4:5]
	v_cmp_le_i32_e32 vcc, v0, v10
	v_cndmask_b32_e64 v2, 0, 1, s[0:1]
	s_and_b64 s[10:11], s[2:3], vcc
	v_ashrrev_i32_e32 v1, 31, v0
	v_cmp_ne_u32_e64 s[0:1], 1, v2
	s_and_saveexec_b64 s[8:9], s[10:11]
	s_cbranch_execz .LBB512_22
; %bb.19:
	v_pk_mul_f32 v[6:7], v[34:35], s[34:35] op_sel:[0,1] op_sel_hi:[0,0]
	v_pk_fma_f32 v[2:3], v[32:33], s[34:35], v[6:7] op_sel_hi:[0,1,1] neg_lo:[0,0,1] neg_hi:[0,0,1]
	v_pk_fma_f32 v[8:9], v[32:33], s[34:35], v[6:7] op_sel_hi:[0,1,1]
	s_and_b64 vcc, exec, s[0:1]
	v_lshl_add_u64 v[6:7], v[0:1], 3, v[4:5]
	s_cbranch_vccnz .LBB512_21
; %bb.20:
	flat_load_dwordx2 v[12:13], v[6:7]
	s_mov_b32 s10, s7
	v_mov_b32_e32 v3, v9
	s_waitcnt vmcnt(0) lgkmcnt(0)
	v_pk_mul_f32 v[8:9], v[12:13], s[10:11] op_sel:[1,0] op_sel_hi:[0,0]
	v_pk_fma_f32 v[14:15], v[12:13], s[6:7], v[8:9] neg_lo:[0,0,1] neg_hi:[0,0,1]
	v_pk_fma_f32 v[8:9], v[12:13], s[6:7], v[8:9] op_sel_hi:[1,0,1]
	s_nop 0
	v_mov_b32_e32 v15, v9
	v_pk_add_f32 v[2:3], v[2:3], v[14:15]
	s_nop 0
	v_mov_b32_e32 v9, v3
.LBB512_21:
	v_mov_b32_e32 v3, v9
	flat_store_dwordx2 v[6:7], v[2:3]
.LBB512_22:
	s_or_b64 exec, exec, s[8:9]
	v_add_u32_e32 v2, 16, v0
	v_cmp_le_i32_e32 vcc, v2, v10
	s_and_b64 s[8:9], s[2:3], vcc
	v_ashrrev_i32_e32 v3, 31, v2
	s_and_saveexec_b64 s[2:3], s[8:9]
	s_cbranch_execz .LBB512_26
; %bb.23:
	v_pk_mul_f32 v[8:9], v[30:31], s[34:35] op_sel:[0,1] op_sel_hi:[0,0]
	v_pk_fma_f32 v[6:7], v[28:29], s[34:35], v[8:9] op_sel_hi:[0,1,1] neg_lo:[0,0,1] neg_hi:[0,0,1]
	v_pk_fma_f32 v[8:9], v[28:29], s[34:35], v[8:9] op_sel_hi:[0,1,1]
	s_and_b64 vcc, exec, s[0:1]
	v_lshl_add_u64 v[4:5], v[2:3], 3, v[4:5]
	s_cbranch_vccnz .LBB512_25
; %bb.24:
	flat_load_dwordx2 v[12:13], v[4:5]
	s_mov_b32 s8, s7
	v_mov_b32_e32 v7, v9
	s_waitcnt vmcnt(0) lgkmcnt(0)
	v_pk_mul_f32 v[8:9], v[12:13], s[8:9] op_sel:[1,0] op_sel_hi:[0,0]
	v_pk_fma_f32 v[14:15], v[12:13], s[6:7], v[8:9] neg_lo:[0,0,1] neg_hi:[0,0,1]
	v_pk_fma_f32 v[8:9], v[12:13], s[6:7], v[8:9] op_sel_hi:[1,0,1]
	s_nop 0
	v_mov_b32_e32 v15, v9
	v_pk_add_f32 v[6:7], v[6:7], v[14:15]
	s_nop 0
	v_mov_b32_e32 v9, v7
.LBB512_25:
	v_mov_b32_e32 v7, v9
	flat_store_dwordx2 v[4:5], v[6:7]
.LBB512_26:
	s_or_b64 exec, exec, s[2:3]
	v_add_u32_e32 v10, 16, v10
	v_ashrrev_i32_e32 v4, 31, v10
	v_mul_lo_u32 v6, s28, v4
	v_mul_lo_u32 v7, s29, v10
	v_mad_u64_u32 v[4:5], s[8:9], s28, v10, 0
	v_cmp_gt_i32_e64 s[2:3], s24, v10
	v_add3_u32 v5, v5, v6, v7
	v_cmp_le_i32_e32 vcc, v0, v10
	v_lshl_add_u64 v[4:5], v[4:5], 3, s[4:5]
	s_and_b64 s[8:9], s[2:3], vcc
	s_and_saveexec_b64 s[4:5], s[8:9]
	s_cbranch_execz .LBB512_30
; %bb.27:
	v_pk_mul_f32 v[8:9], v[26:27], s[34:35] op_sel:[0,1] op_sel_hi:[0,0]
	v_pk_fma_f32 v[6:7], v[24:25], s[34:35], v[8:9] op_sel_hi:[0,1,1] neg_lo:[0,0,1] neg_hi:[0,0,1]
	v_pk_fma_f32 v[8:9], v[24:25], s[34:35], v[8:9] op_sel_hi:[0,1,1]
	s_and_b64 vcc, exec, s[0:1]
	v_lshl_add_u64 v[0:1], v[0:1], 3, v[4:5]
	s_cbranch_vccnz .LBB512_29
; %bb.28:
	flat_load_dwordx2 v[12:13], v[0:1]
	s_mov_b32 s8, s7
	v_mov_b32_e32 v7, v9
	s_waitcnt vmcnt(0) lgkmcnt(0)
	v_pk_mul_f32 v[8:9], v[12:13], s[8:9] op_sel:[1,0] op_sel_hi:[0,0]
	v_pk_fma_f32 v[14:15], v[12:13], s[6:7], v[8:9] neg_lo:[0,0,1] neg_hi:[0,0,1]
	v_pk_fma_f32 v[8:9], v[12:13], s[6:7], v[8:9] op_sel_hi:[1,0,1]
	s_nop 0
	v_mov_b32_e32 v15, v9
	v_pk_add_f32 v[6:7], v[6:7], v[14:15]
	s_nop 0
	v_mov_b32_e32 v9, v7
.LBB512_29:
	v_mov_b32_e32 v7, v9
	flat_store_dwordx2 v[0:1], v[6:7]
.LBB512_30:
	s_or_b64 exec, exec, s[4:5]
	v_cmp_le_i32_e32 vcc, v2, v10
	s_and_b64 s[2:3], s[2:3], vcc
	s_and_saveexec_b64 s[4:5], s[2:3]
	s_cbranch_execz .LBB512_34
; %bb.31:
	v_pk_mul_f32 v[6:7], v[22:23], s[34:35] op_sel:[0,1] op_sel_hi:[0,0]
	v_pk_fma_f32 v[0:1], v[20:21], s[34:35], v[6:7] op_sel_hi:[0,1,1] neg_lo:[0,0,1] neg_hi:[0,0,1]
	v_pk_fma_f32 v[6:7], v[20:21], s[34:35], v[6:7] op_sel_hi:[0,1,1]
	s_and_b64 vcc, exec, s[0:1]
	v_lshl_add_u64 v[2:3], v[2:3], 3, v[4:5]
	s_cbranch_vccnz .LBB512_33
; %bb.32:
	flat_load_dwordx2 v[4:5], v[2:3]
	s_mov_b32 s0, s7
	v_mov_b32_e32 v1, v7
	s_waitcnt vmcnt(0) lgkmcnt(0)
	v_pk_mul_f32 v[6:7], v[4:5], s[0:1] op_sel:[1,0] op_sel_hi:[0,0]
	v_pk_fma_f32 v[8:9], v[4:5], s[6:7], v[6:7] neg_lo:[0,0,1] neg_hi:[0,0,1]
	v_pk_fma_f32 v[4:5], v[4:5], s[6:7], v[6:7] op_sel_hi:[1,0,1]
	s_nop 0
	v_mov_b32_e32 v9, v5
	v_pk_add_f32 v[0:1], v[0:1], v[8:9]
	s_nop 0
	v_mov_b32_e32 v7, v1
.LBB512_33:
	v_mov_b32_e32 v1, v7
	flat_store_dwordx2 v[2:3], v[0:1]
.LBB512_34:
	s_endpgm
	.section	.rodata,"a",@progbits
	.p2align	6, 0x0
	.amdhsa_kernel _ZL29rocblas_internal_gemmt_kernelIlLi16ELi32ELi8ELc67ELc67ELc85ELb1ELb1E19rocblas_complex_numIfEPKS1_PKS3_PKPS1_EviT_T9_T10_S9_lSB_S9_lSA_T11_S9_li
		.amdhsa_group_segment_fixed_size 4096
		.amdhsa_private_segment_fixed_size 0
		.amdhsa_kernarg_size 108
		.amdhsa_user_sgpr_count 2
		.amdhsa_user_sgpr_dispatch_ptr 0
		.amdhsa_user_sgpr_queue_ptr 0
		.amdhsa_user_sgpr_kernarg_segment_ptr 1
		.amdhsa_user_sgpr_dispatch_id 0
		.amdhsa_user_sgpr_kernarg_preload_length 0
		.amdhsa_user_sgpr_kernarg_preload_offset 0
		.amdhsa_user_sgpr_private_segment_size 0
		.amdhsa_uses_dynamic_stack 0
		.amdhsa_enable_private_segment 0
		.amdhsa_system_sgpr_workgroup_id_x 1
		.amdhsa_system_sgpr_workgroup_id_y 1
		.amdhsa_system_sgpr_workgroup_id_z 1
		.amdhsa_system_sgpr_workgroup_info 0
		.amdhsa_system_vgpr_workitem_id 1
		.amdhsa_next_free_vgpr 53
		.amdhsa_next_free_sgpr 40
		.amdhsa_accum_offset 56
		.amdhsa_reserve_vcc 1
		.amdhsa_float_round_mode_32 0
		.amdhsa_float_round_mode_16_64 0
		.amdhsa_float_denorm_mode_32 3
		.amdhsa_float_denorm_mode_16_64 3
		.amdhsa_dx10_clamp 1
		.amdhsa_ieee_mode 1
		.amdhsa_fp16_overflow 0
		.amdhsa_tg_split 0
		.amdhsa_exception_fp_ieee_invalid_op 0
		.amdhsa_exception_fp_denorm_src 0
		.amdhsa_exception_fp_ieee_div_zero 0
		.amdhsa_exception_fp_ieee_overflow 0
		.amdhsa_exception_fp_ieee_underflow 0
		.amdhsa_exception_fp_ieee_inexact 0
		.amdhsa_exception_int_div_zero 0
	.end_amdhsa_kernel
	.section	.text._ZL29rocblas_internal_gemmt_kernelIlLi16ELi32ELi8ELc67ELc67ELc85ELb1ELb1E19rocblas_complex_numIfEPKS1_PKS3_PKPS1_EviT_T9_T10_S9_lSB_S9_lSA_T11_S9_li,"axG",@progbits,_ZL29rocblas_internal_gemmt_kernelIlLi16ELi32ELi8ELc67ELc67ELc85ELb1ELb1E19rocblas_complex_numIfEPKS1_PKS3_PKPS1_EviT_T9_T10_S9_lSB_S9_lSA_T11_S9_li,comdat
.Lfunc_end512:
	.size	_ZL29rocblas_internal_gemmt_kernelIlLi16ELi32ELi8ELc67ELc67ELc85ELb1ELb1E19rocblas_complex_numIfEPKS1_PKS3_PKPS1_EviT_T9_T10_S9_lSB_S9_lSA_T11_S9_li, .Lfunc_end512-_ZL29rocblas_internal_gemmt_kernelIlLi16ELi32ELi8ELc67ELc67ELc85ELb1ELb1E19rocblas_complex_numIfEPKS1_PKS3_PKPS1_EviT_T9_T10_S9_lSB_S9_lSA_T11_S9_li
                                        ; -- End function
	.set _ZL29rocblas_internal_gemmt_kernelIlLi16ELi32ELi8ELc67ELc67ELc85ELb1ELb1E19rocblas_complex_numIfEPKS1_PKS3_PKPS1_EviT_T9_T10_S9_lSB_S9_lSA_T11_S9_li.num_vgpr, 53
	.set _ZL29rocblas_internal_gemmt_kernelIlLi16ELi32ELi8ELc67ELc67ELc85ELb1ELb1E19rocblas_complex_numIfEPKS1_PKS3_PKPS1_EviT_T9_T10_S9_lSB_S9_lSA_T11_S9_li.num_agpr, 0
	.set _ZL29rocblas_internal_gemmt_kernelIlLi16ELi32ELi8ELc67ELc67ELc85ELb1ELb1E19rocblas_complex_numIfEPKS1_PKS3_PKPS1_EviT_T9_T10_S9_lSB_S9_lSA_T11_S9_li.numbered_sgpr, 40
	.set _ZL29rocblas_internal_gemmt_kernelIlLi16ELi32ELi8ELc67ELc67ELc85ELb1ELb1E19rocblas_complex_numIfEPKS1_PKS3_PKPS1_EviT_T9_T10_S9_lSB_S9_lSA_T11_S9_li.num_named_barrier, 0
	.set _ZL29rocblas_internal_gemmt_kernelIlLi16ELi32ELi8ELc67ELc67ELc85ELb1ELb1E19rocblas_complex_numIfEPKS1_PKS3_PKPS1_EviT_T9_T10_S9_lSB_S9_lSA_T11_S9_li.private_seg_size, 0
	.set _ZL29rocblas_internal_gemmt_kernelIlLi16ELi32ELi8ELc67ELc67ELc85ELb1ELb1E19rocblas_complex_numIfEPKS1_PKS3_PKPS1_EviT_T9_T10_S9_lSB_S9_lSA_T11_S9_li.uses_vcc, 1
	.set _ZL29rocblas_internal_gemmt_kernelIlLi16ELi32ELi8ELc67ELc67ELc85ELb1ELb1E19rocblas_complex_numIfEPKS1_PKS3_PKPS1_EviT_T9_T10_S9_lSB_S9_lSA_T11_S9_li.uses_flat_scratch, 0
	.set _ZL29rocblas_internal_gemmt_kernelIlLi16ELi32ELi8ELc67ELc67ELc85ELb1ELb1E19rocblas_complex_numIfEPKS1_PKS3_PKPS1_EviT_T9_T10_S9_lSB_S9_lSA_T11_S9_li.has_dyn_sized_stack, 0
	.set _ZL29rocblas_internal_gemmt_kernelIlLi16ELi32ELi8ELc67ELc67ELc85ELb1ELb1E19rocblas_complex_numIfEPKS1_PKS3_PKPS1_EviT_T9_T10_S9_lSB_S9_lSA_T11_S9_li.has_recursion, 0
	.set _ZL29rocblas_internal_gemmt_kernelIlLi16ELi32ELi8ELc67ELc67ELc85ELb1ELb1E19rocblas_complex_numIfEPKS1_PKS3_PKPS1_EviT_T9_T10_S9_lSB_S9_lSA_T11_S9_li.has_indirect_call, 0
	.section	.AMDGPU.csdata,"",@progbits
; Kernel info:
; codeLenInByte = 2652
; TotalNumSgprs: 46
; NumVgprs: 53
; NumAgprs: 0
; TotalNumVgprs: 53
; ScratchSize: 0
; MemoryBound: 0
; FloatMode: 240
; IeeeMode: 1
; LDSByteSize: 4096 bytes/workgroup (compile time only)
; SGPRBlocks: 5
; VGPRBlocks: 6
; NumSGPRsForWavesPerEU: 46
; NumVGPRsForWavesPerEU: 53
; AccumOffset: 56
; Occupancy: 8
; WaveLimiterHint : 1
; COMPUTE_PGM_RSRC2:SCRATCH_EN: 0
; COMPUTE_PGM_RSRC2:USER_SGPR: 2
; COMPUTE_PGM_RSRC2:TRAP_HANDLER: 0
; COMPUTE_PGM_RSRC2:TGID_X_EN: 1
; COMPUTE_PGM_RSRC2:TGID_Y_EN: 1
; COMPUTE_PGM_RSRC2:TGID_Z_EN: 1
; COMPUTE_PGM_RSRC2:TIDIG_COMP_CNT: 1
; COMPUTE_PGM_RSRC3_GFX90A:ACCUM_OFFSET: 13
; COMPUTE_PGM_RSRC3_GFX90A:TG_SPLIT: 0
	.section	.text._ZL29rocblas_internal_gemmt_kernelIlLi16ELi32ELi8ELc78ELc78ELc76ELb0ELb0E19rocblas_complex_numIfEPKS1_PKS3_PKPS1_EviT_T9_T10_S9_lSB_S9_lSA_T11_S9_li,"axG",@progbits,_ZL29rocblas_internal_gemmt_kernelIlLi16ELi32ELi8ELc78ELc78ELc76ELb0ELb0E19rocblas_complex_numIfEPKS1_PKS3_PKPS1_EviT_T9_T10_S9_lSB_S9_lSA_T11_S9_li,comdat
	.globl	_ZL29rocblas_internal_gemmt_kernelIlLi16ELi32ELi8ELc78ELc78ELc76ELb0ELb0E19rocblas_complex_numIfEPKS1_PKS3_PKPS1_EviT_T9_T10_S9_lSB_S9_lSA_T11_S9_li ; -- Begin function _ZL29rocblas_internal_gemmt_kernelIlLi16ELi32ELi8ELc78ELc78ELc76ELb0ELb0E19rocblas_complex_numIfEPKS1_PKS3_PKPS1_EviT_T9_T10_S9_lSB_S9_lSA_T11_S9_li
	.p2align	8
	.type	_ZL29rocblas_internal_gemmt_kernelIlLi16ELi32ELi8ELc78ELc78ELc76ELb0ELb0E19rocblas_complex_numIfEPKS1_PKS3_PKPS1_EviT_T9_T10_S9_lSB_S9_lSA_T11_S9_li,@function
_ZL29rocblas_internal_gemmt_kernelIlLi16ELi32ELi8ELc78ELc78ELc76ELb0ELb0E19rocblas_complex_numIfEPKS1_PKS3_PKPS1_EviT_T9_T10_S9_lSB_S9_lSA_T11_S9_li: ; @_ZL29rocblas_internal_gemmt_kernelIlLi16ELi32ELi8ELc78ELc78ELc76ELb0ELb0E19rocblas_complex_numIfEPKS1_PKS3_PKPS1_EviT_T9_T10_S9_lSB_S9_lSA_T11_S9_li
; %bb.0:
	s_load_dwordx8 s[24:31], s[0:1], 0x48
	s_load_dwordx16 s[8:23], s[0:1], 0x8
	s_waitcnt lgkmcnt(0)
	s_load_dwordx2 s[6:7], s[24:25], 0x0
	s_load_dwordx2 s[34:35], s[10:11], 0x0
	s_waitcnt lgkmcnt(0)
	s_and_b32 s5, s7, 0x7fffffff
	s_cmp_eq_u32 s5, 0
	v_cmp_eq_f32_e64 s[24:25], s6, 1.0
	s_cselect_b64 s[10:11], -1, 0
	s_and_b64 s[24:25], s[24:25], s[10:11]
	s_and_b64 vcc, exec, s[24:25]
	s_cbranch_vccnz .LBB513_2
; %bb.1:
	s_mov_b64 s[24:25], -1
	s_cbranch_execz .LBB513_3
	s_branch .LBB513_4
.LBB513_2:
	s_mov_b64 s[24:25], 0
.LBB513_3:
	s_cmp_lg_u64 s[8:9], 0
	v_cmp_neq_f32_e64 s[36:37], s34, 0
	v_cmp_neq_f32_e64 s[38:39], s35, 0
	s_cselect_b64 s[24:25], -1, 0
	s_or_b64 s[36:37], s[36:37], s[38:39]
	s_and_b64 s[24:25], s[24:25], s[36:37]
.LBB513_4:
	s_andn2_b64 vcc, exec, s[24:25]
	s_cbranch_vccnz .LBB513_30
; %bb.5:
	s_mov_b32 s5, 0
	s_load_dword s24, s[0:1], 0x0
	s_lshl_b64 s[0:1], s[4:5], 3
	s_add_u32 s4, s26, s0
	s_addc_u32 s5, s27, s1
	s_load_dwordx2 s[4:5], s[4:5], 0x0
	s_lshl_b32 s25, s2, 5
	s_lshl_b32 s26, s3, 5
	v_cmp_eq_f32_e64 s[2:3], s34, 0
	v_cmp_eq_f32_e64 s[36:37], s35, 0
	s_and_b64 s[2:3], s[2:3], s[36:37]
	v_cmp_lt_i64_e64 s[36:37], s[8:9], 1
	s_or_b64 s[2:3], s[2:3], s[36:37]
	v_and_b32_e32 v9, 0x3ff, v0
	v_bfe_u32 v11, v0, 10, 10
	v_mov_b32_e32 v30, 0
	s_and_b64 vcc, exec, s[2:3]
	v_mov_b32_e32 v32, 0
	v_mov_b32_e32 v26, 0
	;; [unrolled: 1-line block ×7, first 2 shown]
	s_cbranch_vccnz .LBB513_14
; %bb.6:
	s_add_u32 s2, s18, s0
	s_addc_u32 s3, s19, s1
	s_load_dwordx2 s[2:3], s[2:3], 0x0
	s_lshl_b64 s[18:19], s[22:23], 3
	v_lshl_add_u32 v0, v11, 4, v9
	v_and_b32_e32 v1, 31, v0
	v_lshrrev_b32_e32 v10, 5, v0
	s_waitcnt lgkmcnt(0)
	s_add_u32 s18, s2, s18
	s_addc_u32 s19, s3, s19
	s_add_u32 s0, s12, s0
	s_addc_u32 s1, s13, s1
	s_load_dwordx2 s[0:1], s[0:1], 0x0
	s_lshl_b64 s[2:3], s[16:17], 3
	v_lshrrev_b32_e32 v2, 3, v0
	v_or_b32_e32 v0, s25, v1
	v_lshlrev_b32_e32 v1, 3, v1
	s_waitcnt lgkmcnt(0)
	s_add_u32 s2, s0, s2
	v_and_b32_e32 v8, 7, v9
	s_addc_u32 s3, s1, s3
	v_lshl_or_b32 v19, v10, 8, v1
	v_ashrrev_i32_e32 v1, 31, v0
	v_cmp_gt_i32_e64 s[0:1], s24, v0
	v_lshl_add_u64 v[12:13], v[0:1], 3, s[2:3]
	v_lshlrev_b32_e32 v0, 3, v8
	v_add_u32_e32 v3, s26, v2
	v_lshl_or_b32 v0, v2, 6, v0
	v_add_u32_e32 v21, 0x800, v0
	v_ashrrev_i32_e32 v0, 31, v3
	v_mul_lo_u32 v2, s20, v0
	v_mul_lo_u32 v4, s21, v3
	v_mad_u64_u32 v[0:1], s[12:13], s20, v3, 0
	v_add3_u32 v1, v1, v2, v4
	v_lshl_add_u64 v[14:15], v[0:1], 3, s[18:19]
	v_mov_b32_e32 v0, 0x800
	v_cmp_gt_i32_e64 s[2:3], s24, v3
	v_lshlrev_b32_e32 v23, 3, v9
	v_lshl_add_u32 v25, v11, 6, v0
	v_mov_b32_e32 v17, 0
	s_mov_b64 s[12:13], 0
	v_mov_b32_e32 v20, 0
	v_mov_b32_e32 v18, 0
	;; [unrolled: 1-line block ×8, first 2 shown]
	s_branch .LBB513_8
.LBB513_7:                              ;   in Loop: Header=BB513_8 Depth=1
	s_or_b64 exec, exec, s[16:17]
	s_waitcnt vmcnt(0) lgkmcnt(0)
	ds_write_b64 v21, v[0:1]
	s_waitcnt lgkmcnt(0)
	s_barrier
	ds_read2_b64 v[34:37], v23 offset1:16
	ds_read_b128 v[38:41], v25
	ds_read_b128 v[42:45], v25 offset:16
	ds_read_b128 v[4:7], v25 offset:32
	;; [unrolled: 1-line block ×3, first 2 shown]
	s_add_u32 s12, s12, 8
	s_waitcnt lgkmcnt(3)
	v_mul_f32_e32 v16, v39, v35
	v_mul_f32_e32 v27, v38, v35
	v_fma_f32 v16, v38, v34, -v16
	v_fmac_f32_e32 v27, v39, v34
	v_add_f32_e32 v16, v30, v16
	v_add_f32_e32 v50, v32, v27
	ds_read_b128 v[30:33], v25 offset:1024
	v_mul_f32_e32 v27, v39, v37
	v_mul_f32_e32 v29, v38, v37
	v_fma_f32 v27, v38, v36, -v27
	v_fmac_f32_e32 v29, v39, v36
	v_add_f32_e32 v38, v26, v27
	v_add_f32_e32 v39, v28, v29
	ds_read_b128 v[26:29], v25 offset:1040
	s_waitcnt lgkmcnt(1)
	v_mul_f32_e32 v46, v31, v35
	v_fma_f32 v46, v30, v34, -v46
	v_add_f32_e32 v22, v22, v46
	ds_read2_b64 v[46:49], v23 offset0:32 offset1:48
	v_mul_f32_e32 v35, v30, v35
	v_fmac_f32_e32 v35, v31, v34
	v_mul_f32_e32 v34, v31, v37
	v_fma_f32 v34, v30, v36, -v34
	v_mul_f32_e32 v30, v30, v37
	v_fmac_f32_e32 v30, v31, v36
	v_add_f32_e32 v20, v20, v30
	s_waitcnt lgkmcnt(0)
	v_mul_f32_e32 v30, v41, v47
	v_mul_f32_e32 v31, v40, v47
	v_fma_f32 v30, v40, v46, -v30
	v_fmac_f32_e32 v31, v41, v46
	v_add_f32_e32 v18, v18, v34
	v_add_f32_e32 v16, v16, v30
	;; [unrolled: 1-line block ×3, first 2 shown]
	v_mul_f32_e32 v31, v41, v49
	v_mul_f32_e32 v34, v40, v49
	v_fma_f32 v31, v40, v48, -v31
	v_fmac_f32_e32 v34, v41, v48
	v_add_f32_e32 v31, v38, v31
	v_add_f32_e32 v38, v39, v34
	v_mul_f32_e32 v34, v33, v47
	v_add_f32_e32 v24, v24, v35
	v_fma_f32 v34, v32, v46, -v34
	v_mul_f32_e32 v35, v32, v47
	v_fmac_f32_e32 v35, v33, v46
	v_add_f32_e32 v22, v22, v34
	v_mul_f32_e32 v34, v33, v49
	v_add_f32_e32 v24, v24, v35
	v_fma_f32 v39, v32, v48, -v34
	ds_read2_b64 v[34:37], v23 offset0:64 offset1:80
	v_mul_f32_e32 v32, v32, v49
	v_fmac_f32_e32 v32, v33, v48
	v_add_f32_e32 v18, v18, v39
	v_add_f32_e32 v20, v20, v32
	s_waitcnt lgkmcnt(0)
	v_mul_f32_e32 v33, v42, v35
	v_fmac_f32_e32 v33, v43, v34
	v_add_f32_e32 v39, v30, v33
	v_mul_f32_e32 v30, v43, v37
	v_mul_f32_e32 v32, v43, v35
	v_fma_f32 v30, v42, v36, -v30
	v_fma_f32 v32, v42, v34, -v32
	v_add_f32_e32 v40, v31, v30
	v_mul_f32_e32 v30, v27, v35
	v_add_f32_e32 v16, v16, v32
	v_mul_f32_e32 v32, v42, v37
	v_fma_f32 v30, v26, v34, -v30
	v_mul_f32_e32 v31, v26, v35
	v_fmac_f32_e32 v32, v43, v36
	v_fmac_f32_e32 v31, v27, v34
	v_add_f32_e32 v22, v22, v30
	v_mul_f32_e32 v30, v27, v37
	v_add_f32_e32 v38, v38, v32
	v_add_f32_e32 v24, v24, v31
	v_fma_f32 v34, v26, v36, -v30
	ds_read2_b64 v[30:33], v23 offset0:96 offset1:112
	v_mul_f32_e32 v26, v26, v37
	v_fmac_f32_e32 v26, v27, v36
	v_add_f32_e32 v20, v20, v26
	v_add_f32_e32 v18, v18, v34
	s_waitcnt lgkmcnt(0)
	v_mul_f32_e32 v26, v45, v31
	v_mul_f32_e32 v27, v44, v31
	v_fma_f32 v26, v44, v30, -v26
	v_fmac_f32_e32 v27, v45, v30
	v_add_f32_e32 v16, v16, v26
	v_add_f32_e32 v26, v39, v27
	v_mul_f32_e32 v27, v45, v33
	v_mul_f32_e32 v34, v44, v33
	v_fma_f32 v27, v44, v32, -v27
	v_fmac_f32_e32 v34, v45, v32
	v_add_f32_e32 v39, v40, v27
	v_add_f32_e32 v38, v38, v34
	v_mul_f32_e32 v27, v29, v31
	ds_read2_b64 v[34:37], v23 offset0:128 offset1:144
	v_fma_f32 v27, v28, v30, -v27
	v_add_f32_e32 v22, v22, v27
	v_mul_f32_e32 v27, v29, v33
	v_mul_f32_e32 v31, v28, v31
	v_fma_f32 v27, v28, v32, -v27
	v_mul_f32_e32 v28, v28, v33
	v_fmac_f32_e32 v28, v29, v32
	v_add_f32_e32 v20, v20, v28
	s_waitcnt lgkmcnt(0)
	v_mul_f32_e32 v28, v4, v35
	v_add_f32_e32 v18, v18, v27
	v_mul_f32_e32 v27, v5, v35
	v_fmac_f32_e32 v28, v5, v34
	v_fma_f32 v27, v4, v34, -v27
	v_add_f32_e32 v42, v26, v28
	v_mul_f32_e32 v26, v5, v37
	v_fmac_f32_e32 v31, v29, v30
	v_add_f32_e32 v16, v16, v27
	v_fma_f32 v30, v4, v36, -v26
	ds_read_b128 v[26:29], v25 offset:1056
	v_mul_f32_e32 v4, v4, v37
	v_fmac_f32_e32 v4, v5, v36
	v_add_f32_e32 v5, v39, v30
	v_add_f32_e32 v4, v38, v4
	ds_read_b128 v[38:41], v25 offset:1072
	s_waitcnt lgkmcnt(1)
	v_mul_f32_e32 v30, v27, v35
	v_add_f32_e32 v24, v24, v31
	v_fma_f32 v30, v26, v34, -v30
	v_mul_f32_e32 v31, v26, v35
	v_fmac_f32_e32 v31, v27, v34
	v_add_f32_e32 v22, v22, v30
	v_mul_f32_e32 v30, v27, v37
	v_add_f32_e32 v24, v24, v31
	v_fma_f32 v34, v26, v36, -v30
	ds_read2_b64 v[30:33], v23 offset0:160 offset1:176
	v_mul_f32_e32 v26, v26, v37
	v_fmac_f32_e32 v26, v27, v36
	v_add_f32_e32 v20, v20, v26
	v_add_f32_e32 v18, v18, v34
	s_waitcnt lgkmcnt(0)
	v_mul_f32_e32 v26, v7, v31
	v_mul_f32_e32 v27, v6, v31
	v_fma_f32 v26, v6, v30, -v26
	v_fmac_f32_e32 v27, v7, v30
	v_add_f32_e32 v16, v16, v26
	v_add_f32_e32 v26, v42, v27
	v_mul_f32_e32 v27, v7, v33
	v_fma_f32 v27, v6, v32, -v27
	v_mul_f32_e32 v6, v6, v33
	v_fmac_f32_e32 v6, v7, v32
	v_add_f32_e32 v34, v4, v6
	v_mul_f32_e32 v4, v29, v31
	v_add_f32_e32 v27, v5, v27
	v_fma_f32 v4, v28, v30, -v4
	v_mul_f32_e32 v5, v28, v31
	v_fmac_f32_e32 v5, v29, v30
	v_add_f32_e32 v22, v22, v4
	v_mul_f32_e32 v4, v29, v33
	v_add_f32_e32 v24, v24, v5
	v_fma_f32 v30, v28, v32, -v4
	ds_read2_b64 v[4:7], v23 offset0:192 offset1:208
	v_mul_f32_e32 v28, v28, v33
	v_fmac_f32_e32 v28, v29, v32
	v_add_f32_e32 v20, v20, v28
	v_add_f32_e32 v18, v18, v30
	s_waitcnt lgkmcnt(0)
	v_mul_f32_e32 v28, v1, v5
	v_fma_f32 v28, v0, v4, -v28
	v_add_f32_e32 v16, v16, v28
	v_mul_f32_e32 v28, v1, v7
	v_mul_f32_e32 v29, v0, v5
	v_fma_f32 v28, v0, v6, -v28
	v_mul_f32_e32 v0, v0, v7
	v_fmac_f32_e32 v0, v1, v6
	v_add_f32_e32 v0, v34, v0
	ds_read2_b64 v[34:37], v23 offset0:224 offset1:240
	v_fmac_f32_e32 v29, v1, v4
	v_add_f32_e32 v1, v27, v28
	v_mul_f32_e32 v27, v39, v5
	v_fma_f32 v27, v38, v4, -v27
	v_mul_f32_e32 v5, v38, v5
	v_fmac_f32_e32 v5, v39, v4
	v_add_f32_e32 v4, v22, v27
	v_mul_f32_e32 v22, v39, v7
	v_fma_f32 v22, v38, v6, -v22
	v_mul_f32_e32 v7, v38, v7
	v_fmac_f32_e32 v7, v39, v6
	v_add_f32_e32 v6, v18, v22
	s_waitcnt lgkmcnt(0)
	v_mul_f32_e32 v18, v3, v35
	v_fma_f32 v18, v2, v34, -v18
	v_add_f32_e32 v30, v16, v18
	v_mul_f32_e32 v16, v3, v37
	v_add_f32_e32 v7, v20, v7
	v_mul_f32_e32 v20, v2, v35
	v_fma_f32 v16, v2, v36, -v16
	v_mul_f32_e32 v2, v2, v37
	v_add_f32_e32 v26, v26, v29
	v_fmac_f32_e32 v20, v3, v34
	v_fmac_f32_e32 v2, v3, v36
	v_add_f32_e32 v32, v26, v20
	v_add_f32_e32 v26, v1, v16
	v_add_f32_e32 v28, v0, v2
	v_mul_f32_e32 v0, v41, v35
	v_mul_f32_e32 v1, v40, v35
	v_add_f32_e32 v5, v24, v5
	v_fma_f32 v0, v40, v34, -v0
	v_fmac_f32_e32 v1, v41, v34
	v_add_f32_e32 v22, v4, v0
	v_add_f32_e32 v24, v5, v1
	v_mul_f32_e32 v0, v41, v37
	v_mul_f32_e32 v1, v40, v37
	v_fma_f32 v0, v40, v36, -v0
	v_fmac_f32_e32 v1, v41, v36
	s_addc_u32 s13, s13, 0
	v_add_f32_e32 v18, v6, v0
	v_add_f32_e32 v20, v7, v1
	v_mov_b64_e32 v[0:1], s[12:13]
	v_cmp_gt_i64_e32 vcc, s[8:9], v[0:1]
	s_barrier
	s_cbranch_vccz .LBB513_14
.LBB513_8:                              ; =>This Inner Loop Header: Depth=1
	v_mov_b32_e32 v0, 0
	v_mov_b32_e32 v1, 0
	s_and_saveexec_b64 s[16:17], s[0:1]
	s_cbranch_execz .LBB513_12
; %bb.9:                                ;   in Loop: Header=BB513_8 Depth=1
	v_add_u32_e32 v16, s12, v10
	v_cmp_gt_u64_e32 vcc, s[8:9], v[16:17]
	v_mov_b32_e32 v1, 0
	v_mov_b32_e32 v0, 0
	s_and_saveexec_b64 s[18:19], vcc
	s_cbranch_execz .LBB513_11
; %bb.10:                               ;   in Loop: Header=BB513_8 Depth=1
	v_mad_u64_u32 v[0:1], s[20:21], s14, v16, 0
	v_mov_b32_e32 v2, v1
	v_mad_u64_u32 v[2:3], s[20:21], s15, v16, v[2:3]
	v_mov_b32_e32 v1, v2
	v_lshl_add_u64 v[0:1], v[0:1], 3, v[12:13]
	flat_load_dwordx2 v[0:1], v[0:1]
.LBB513_11:                             ;   in Loop: Header=BB513_8 Depth=1
	s_or_b64 exec, exec, s[18:19]
.LBB513_12:                             ;   in Loop: Header=BB513_8 Depth=1
	s_or_b64 exec, exec, s[16:17]
	v_add_u32_e32 v16, s12, v8
	v_cmp_gt_u64_e32 vcc, s[8:9], v[16:17]
	s_waitcnt vmcnt(0) lgkmcnt(0)
	ds_write_b64 v19, v[0:1]
	s_and_b64 s[18:19], vcc, s[2:3]
	v_mov_b32_e32 v0, 0
	v_mov_b32_e32 v1, 0
	s_and_saveexec_b64 s[16:17], s[18:19]
	s_cbranch_execz .LBB513_7
; %bb.13:                               ;   in Loop: Header=BB513_8 Depth=1
	v_lshl_add_u64 v[0:1], v[16:17], 3, v[14:15]
	flat_load_dwordx2 v[0:1], v[0:1]
	s_branch .LBB513_7
.LBB513_14:
	s_lshl_b64 s[0:1], s[30:31], 3
	v_add_u32_e32 v10, s26, v11
	s_waitcnt lgkmcnt(0)
	s_add_u32 s8, s4, s0
	v_ashrrev_i32_e32 v1, 31, v10
	s_addc_u32 s9, s5, s1
	v_cmp_neq_f32_e64 s[0:1], s6, 0
	s_xor_b64 s[4:5], s[10:11], -1
	v_mul_lo_u32 v1, s28, v1
	v_mul_lo_u32 v4, s29, v10
	v_mad_u64_u32 v[2:3], s[2:3], s28, v10, 0
	v_add_u32_e32 v0, s25, v9
	v_add3_u32 v3, v3, v1, v4
	s_or_b64 s[0:1], s[0:1], s[4:5]
	v_lshl_add_u64 v[4:5], v[2:3], 3, s[8:9]
	v_cmp_le_i32_e32 vcc, v10, v0
	v_cmp_gt_i32_e64 s[2:3], s24, v0
	v_cndmask_b32_e64 v2, 0, 1, s[0:1]
	s_and_b64 s[10:11], vcc, s[2:3]
	v_ashrrev_i32_e32 v1, 31, v0
	v_cmp_ne_u32_e64 s[0:1], 1, v2
	s_and_saveexec_b64 s[4:5], s[10:11]
	s_cbranch_execz .LBB513_18
; %bb.15:
	v_pk_mul_f32 v[6:7], v[32:33], s[34:35] op_sel:[0,1] op_sel_hi:[0,0]
	v_pk_fma_f32 v[2:3], v[30:31], s[34:35], v[6:7] op_sel_hi:[0,1,1] neg_lo:[0,0,1] neg_hi:[0,0,1]
	v_pk_fma_f32 v[8:9], v[30:31], s[34:35], v[6:7] op_sel_hi:[0,1,1]
	s_and_b64 vcc, exec, s[0:1]
	v_lshl_add_u64 v[6:7], v[0:1], 3, v[4:5]
	s_cbranch_vccnz .LBB513_17
; %bb.16:
	flat_load_dwordx2 v[12:13], v[6:7]
	s_mov_b32 s10, s7
	v_mov_b32_e32 v3, v9
	s_waitcnt vmcnt(0) lgkmcnt(0)
	v_pk_mul_f32 v[8:9], v[12:13], s[10:11] op_sel:[1,0] op_sel_hi:[0,0]
	v_pk_fma_f32 v[14:15], v[12:13], s[6:7], v[8:9] neg_lo:[0,0,1] neg_hi:[0,0,1]
	v_pk_fma_f32 v[8:9], v[12:13], s[6:7], v[8:9] op_sel_hi:[1,0,1]
	s_nop 0
	v_mov_b32_e32 v15, v9
	v_pk_add_f32 v[2:3], v[2:3], v[14:15]
	s_nop 0
	v_mov_b32_e32 v9, v3
.LBB513_17:
	v_mov_b32_e32 v3, v9
	flat_store_dwordx2 v[6:7], v[2:3]
.LBB513_18:
	s_or_b64 exec, exec, s[4:5]
	v_add_u32_e32 v2, 16, v0
	v_cmp_le_i32_e32 vcc, v10, v2
	v_cmp_gt_i32_e64 s[4:5], s24, v2
	s_and_b64 s[12:13], vcc, s[4:5]
	v_ashrrev_i32_e32 v3, 31, v2
	s_and_saveexec_b64 s[10:11], s[12:13]
	s_cbranch_execz .LBB513_22
; %bb.19:
	v_pk_mul_f32 v[8:9], v[28:29], s[34:35] op_sel:[0,1] op_sel_hi:[0,0]
	v_pk_fma_f32 v[6:7], v[26:27], s[34:35], v[8:9] op_sel_hi:[0,1,1] neg_lo:[0,0,1] neg_hi:[0,0,1]
	v_pk_fma_f32 v[8:9], v[26:27], s[34:35], v[8:9] op_sel_hi:[0,1,1]
	s_and_b64 vcc, exec, s[0:1]
	v_lshl_add_u64 v[4:5], v[2:3], 3, v[4:5]
	s_cbranch_vccnz .LBB513_21
; %bb.20:
	flat_load_dwordx2 v[12:13], v[4:5]
	s_mov_b32 s12, s7
	v_mov_b32_e32 v7, v9
	s_waitcnt vmcnt(0) lgkmcnt(0)
	v_pk_mul_f32 v[8:9], v[12:13], s[12:13] op_sel:[1,0] op_sel_hi:[0,0]
	v_pk_fma_f32 v[14:15], v[12:13], s[6:7], v[8:9] neg_lo:[0,0,1] neg_hi:[0,0,1]
	v_pk_fma_f32 v[8:9], v[12:13], s[6:7], v[8:9] op_sel_hi:[1,0,1]
	s_nop 0
	v_mov_b32_e32 v15, v9
	v_pk_add_f32 v[6:7], v[6:7], v[14:15]
	s_nop 0
	v_mov_b32_e32 v9, v7
.LBB513_21:
	v_mov_b32_e32 v7, v9
	flat_store_dwordx2 v[4:5], v[6:7]
.LBB513_22:
	s_or_b64 exec, exec, s[10:11]
	v_add_u32_e32 v10, 16, v10
	v_ashrrev_i32_e32 v4, 31, v10
	v_mul_lo_u32 v6, s28, v4
	v_mul_lo_u32 v7, s29, v10
	v_mad_u64_u32 v[4:5], s[10:11], s28, v10, 0
	v_add3_u32 v5, v5, v6, v7
	v_cmp_le_i32_e32 vcc, v10, v0
	v_lshl_add_u64 v[4:5], v[4:5], 3, s[8:9]
	s_and_b64 s[8:9], vcc, s[2:3]
	s_and_saveexec_b64 s[2:3], s[8:9]
	s_cbranch_execz .LBB513_26
; %bb.23:
	v_pk_mul_f32 v[8:9], v[24:25], s[34:35] op_sel:[0,1] op_sel_hi:[0,0]
	v_pk_fma_f32 v[6:7], v[22:23], s[34:35], v[8:9] op_sel_hi:[0,1,1] neg_lo:[0,0,1] neg_hi:[0,0,1]
	v_pk_fma_f32 v[8:9], v[22:23], s[34:35], v[8:9] op_sel_hi:[0,1,1]
	s_and_b64 vcc, exec, s[0:1]
	v_lshl_add_u64 v[0:1], v[0:1], 3, v[4:5]
	s_cbranch_vccnz .LBB513_25
; %bb.24:
	flat_load_dwordx2 v[12:13], v[0:1]
	s_mov_b32 s8, s7
	v_mov_b32_e32 v7, v9
	s_waitcnt vmcnt(0) lgkmcnt(0)
	v_pk_mul_f32 v[8:9], v[12:13], s[8:9] op_sel:[1,0] op_sel_hi:[0,0]
	v_pk_fma_f32 v[14:15], v[12:13], s[6:7], v[8:9] neg_lo:[0,0,1] neg_hi:[0,0,1]
	v_pk_fma_f32 v[8:9], v[12:13], s[6:7], v[8:9] op_sel_hi:[1,0,1]
	s_nop 0
	v_mov_b32_e32 v15, v9
	v_pk_add_f32 v[6:7], v[6:7], v[14:15]
	s_nop 0
	v_mov_b32_e32 v9, v7
.LBB513_25:
	v_mov_b32_e32 v7, v9
	flat_store_dwordx2 v[0:1], v[6:7]
.LBB513_26:
	s_or_b64 exec, exec, s[2:3]
	v_cmp_le_i32_e32 vcc, v10, v2
	s_and_b64 s[2:3], vcc, s[4:5]
	s_and_saveexec_b64 s[4:5], s[2:3]
	s_cbranch_execz .LBB513_30
; %bb.27:
	v_pk_mul_f32 v[6:7], v[20:21], s[34:35] op_sel:[0,1] op_sel_hi:[0,0]
	v_pk_fma_f32 v[0:1], v[18:19], s[34:35], v[6:7] op_sel_hi:[0,1,1] neg_lo:[0,0,1] neg_hi:[0,0,1]
	v_pk_fma_f32 v[6:7], v[18:19], s[34:35], v[6:7] op_sel_hi:[0,1,1]
	s_and_b64 vcc, exec, s[0:1]
	v_lshl_add_u64 v[2:3], v[2:3], 3, v[4:5]
	s_cbranch_vccnz .LBB513_29
; %bb.28:
	flat_load_dwordx2 v[4:5], v[2:3]
	s_mov_b32 s0, s7
	v_mov_b32_e32 v1, v7
	s_waitcnt vmcnt(0) lgkmcnt(0)
	v_pk_mul_f32 v[6:7], v[4:5], s[0:1] op_sel:[1,0] op_sel_hi:[0,0]
	v_pk_fma_f32 v[8:9], v[4:5], s[6:7], v[6:7] neg_lo:[0,0,1] neg_hi:[0,0,1]
	v_pk_fma_f32 v[4:5], v[4:5], s[6:7], v[6:7] op_sel_hi:[1,0,1]
	s_nop 0
	v_mov_b32_e32 v9, v5
	v_pk_add_f32 v[0:1], v[0:1], v[8:9]
	s_nop 0
	v_mov_b32_e32 v7, v1
.LBB513_29:
	v_mov_b32_e32 v1, v7
	flat_store_dwordx2 v[2:3], v[0:1]
.LBB513_30:
	s_endpgm
	.section	.rodata,"a",@progbits
	.p2align	6, 0x0
	.amdhsa_kernel _ZL29rocblas_internal_gemmt_kernelIlLi16ELi32ELi8ELc78ELc78ELc76ELb0ELb0E19rocblas_complex_numIfEPKS1_PKS3_PKPS1_EviT_T9_T10_S9_lSB_S9_lSA_T11_S9_li
		.amdhsa_group_segment_fixed_size 4096
		.amdhsa_private_segment_fixed_size 0
		.amdhsa_kernarg_size 108
		.amdhsa_user_sgpr_count 2
		.amdhsa_user_sgpr_dispatch_ptr 0
		.amdhsa_user_sgpr_queue_ptr 0
		.amdhsa_user_sgpr_kernarg_segment_ptr 1
		.amdhsa_user_sgpr_dispatch_id 0
		.amdhsa_user_sgpr_kernarg_preload_length 0
		.amdhsa_user_sgpr_kernarg_preload_offset 0
		.amdhsa_user_sgpr_private_segment_size 0
		.amdhsa_uses_dynamic_stack 0
		.amdhsa_enable_private_segment 0
		.amdhsa_system_sgpr_workgroup_id_x 1
		.amdhsa_system_sgpr_workgroup_id_y 1
		.amdhsa_system_sgpr_workgroup_id_z 1
		.amdhsa_system_sgpr_workgroup_info 0
		.amdhsa_system_vgpr_workitem_id 1
		.amdhsa_next_free_vgpr 51
		.amdhsa_next_free_sgpr 40
		.amdhsa_accum_offset 52
		.amdhsa_reserve_vcc 1
		.amdhsa_float_round_mode_32 0
		.amdhsa_float_round_mode_16_64 0
		.amdhsa_float_denorm_mode_32 3
		.amdhsa_float_denorm_mode_16_64 3
		.amdhsa_dx10_clamp 1
		.amdhsa_ieee_mode 1
		.amdhsa_fp16_overflow 0
		.amdhsa_tg_split 0
		.amdhsa_exception_fp_ieee_invalid_op 0
		.amdhsa_exception_fp_denorm_src 0
		.amdhsa_exception_fp_ieee_div_zero 0
		.amdhsa_exception_fp_ieee_overflow 0
		.amdhsa_exception_fp_ieee_underflow 0
		.amdhsa_exception_fp_ieee_inexact 0
		.amdhsa_exception_int_div_zero 0
	.end_amdhsa_kernel
	.section	.text._ZL29rocblas_internal_gemmt_kernelIlLi16ELi32ELi8ELc78ELc78ELc76ELb0ELb0E19rocblas_complex_numIfEPKS1_PKS3_PKPS1_EviT_T9_T10_S9_lSB_S9_lSA_T11_S9_li,"axG",@progbits,_ZL29rocblas_internal_gemmt_kernelIlLi16ELi32ELi8ELc78ELc78ELc76ELb0ELb0E19rocblas_complex_numIfEPKS1_PKS3_PKPS1_EviT_T9_T10_S9_lSB_S9_lSA_T11_S9_li,comdat
.Lfunc_end513:
	.size	_ZL29rocblas_internal_gemmt_kernelIlLi16ELi32ELi8ELc78ELc78ELc76ELb0ELb0E19rocblas_complex_numIfEPKS1_PKS3_PKPS1_EviT_T9_T10_S9_lSB_S9_lSA_T11_S9_li, .Lfunc_end513-_ZL29rocblas_internal_gemmt_kernelIlLi16ELi32ELi8ELc78ELc78ELc76ELb0ELb0E19rocblas_complex_numIfEPKS1_PKS3_PKPS1_EviT_T9_T10_S9_lSB_S9_lSA_T11_S9_li
                                        ; -- End function
	.set _ZL29rocblas_internal_gemmt_kernelIlLi16ELi32ELi8ELc78ELc78ELc76ELb0ELb0E19rocblas_complex_numIfEPKS1_PKS3_PKPS1_EviT_T9_T10_S9_lSB_S9_lSA_T11_S9_li.num_vgpr, 51
	.set _ZL29rocblas_internal_gemmt_kernelIlLi16ELi32ELi8ELc78ELc78ELc76ELb0ELb0E19rocblas_complex_numIfEPKS1_PKS3_PKPS1_EviT_T9_T10_S9_lSB_S9_lSA_T11_S9_li.num_agpr, 0
	.set _ZL29rocblas_internal_gemmt_kernelIlLi16ELi32ELi8ELc78ELc78ELc76ELb0ELb0E19rocblas_complex_numIfEPKS1_PKS3_PKPS1_EviT_T9_T10_S9_lSB_S9_lSA_T11_S9_li.numbered_sgpr, 40
	.set _ZL29rocblas_internal_gemmt_kernelIlLi16ELi32ELi8ELc78ELc78ELc76ELb0ELb0E19rocblas_complex_numIfEPKS1_PKS3_PKPS1_EviT_T9_T10_S9_lSB_S9_lSA_T11_S9_li.num_named_barrier, 0
	.set _ZL29rocblas_internal_gemmt_kernelIlLi16ELi32ELi8ELc78ELc78ELc76ELb0ELb0E19rocblas_complex_numIfEPKS1_PKS3_PKPS1_EviT_T9_T10_S9_lSB_S9_lSA_T11_S9_li.private_seg_size, 0
	.set _ZL29rocblas_internal_gemmt_kernelIlLi16ELi32ELi8ELc78ELc78ELc76ELb0ELb0E19rocblas_complex_numIfEPKS1_PKS3_PKPS1_EviT_T9_T10_S9_lSB_S9_lSA_T11_S9_li.uses_vcc, 1
	.set _ZL29rocblas_internal_gemmt_kernelIlLi16ELi32ELi8ELc78ELc78ELc76ELb0ELb0E19rocblas_complex_numIfEPKS1_PKS3_PKPS1_EviT_T9_T10_S9_lSB_S9_lSA_T11_S9_li.uses_flat_scratch, 0
	.set _ZL29rocblas_internal_gemmt_kernelIlLi16ELi32ELi8ELc78ELc78ELc76ELb0ELb0E19rocblas_complex_numIfEPKS1_PKS3_PKPS1_EviT_T9_T10_S9_lSB_S9_lSA_T11_S9_li.has_dyn_sized_stack, 0
	.set _ZL29rocblas_internal_gemmt_kernelIlLi16ELi32ELi8ELc78ELc78ELc76ELb0ELb0E19rocblas_complex_numIfEPKS1_PKS3_PKPS1_EviT_T9_T10_S9_lSB_S9_lSA_T11_S9_li.has_recursion, 0
	.set _ZL29rocblas_internal_gemmt_kernelIlLi16ELi32ELi8ELc78ELc78ELc76ELb0ELb0E19rocblas_complex_numIfEPKS1_PKS3_PKPS1_EviT_T9_T10_S9_lSB_S9_lSA_T11_S9_li.has_indirect_call, 0
	.section	.AMDGPU.csdata,"",@progbits
; Kernel info:
; codeLenInByte = 2520
; TotalNumSgprs: 46
; NumVgprs: 51
; NumAgprs: 0
; TotalNumVgprs: 51
; ScratchSize: 0
; MemoryBound: 0
; FloatMode: 240
; IeeeMode: 1
; LDSByteSize: 4096 bytes/workgroup (compile time only)
; SGPRBlocks: 5
; VGPRBlocks: 6
; NumSGPRsForWavesPerEU: 46
; NumVGPRsForWavesPerEU: 51
; AccumOffset: 52
; Occupancy: 8
; WaveLimiterHint : 1
; COMPUTE_PGM_RSRC2:SCRATCH_EN: 0
; COMPUTE_PGM_RSRC2:USER_SGPR: 2
; COMPUTE_PGM_RSRC2:TRAP_HANDLER: 0
; COMPUTE_PGM_RSRC2:TGID_X_EN: 1
; COMPUTE_PGM_RSRC2:TGID_Y_EN: 1
; COMPUTE_PGM_RSRC2:TGID_Z_EN: 1
; COMPUTE_PGM_RSRC2:TIDIG_COMP_CNT: 1
; COMPUTE_PGM_RSRC3_GFX90A:ACCUM_OFFSET: 12
; COMPUTE_PGM_RSRC3_GFX90A:TG_SPLIT: 0
	.section	.text._ZL29rocblas_internal_gemmt_kernelIlLi16ELi32ELi8ELc78ELc84ELc76ELb0ELb0E19rocblas_complex_numIfEPKS1_PKS3_PKPS1_EviT_T9_T10_S9_lSB_S9_lSA_T11_S9_li,"axG",@progbits,_ZL29rocblas_internal_gemmt_kernelIlLi16ELi32ELi8ELc78ELc84ELc76ELb0ELb0E19rocblas_complex_numIfEPKS1_PKS3_PKPS1_EviT_T9_T10_S9_lSB_S9_lSA_T11_S9_li,comdat
	.globl	_ZL29rocblas_internal_gemmt_kernelIlLi16ELi32ELi8ELc78ELc84ELc76ELb0ELb0E19rocblas_complex_numIfEPKS1_PKS3_PKPS1_EviT_T9_T10_S9_lSB_S9_lSA_T11_S9_li ; -- Begin function _ZL29rocblas_internal_gemmt_kernelIlLi16ELi32ELi8ELc78ELc84ELc76ELb0ELb0E19rocblas_complex_numIfEPKS1_PKS3_PKPS1_EviT_T9_T10_S9_lSB_S9_lSA_T11_S9_li
	.p2align	8
	.type	_ZL29rocblas_internal_gemmt_kernelIlLi16ELi32ELi8ELc78ELc84ELc76ELb0ELb0E19rocblas_complex_numIfEPKS1_PKS3_PKPS1_EviT_T9_T10_S9_lSB_S9_lSA_T11_S9_li,@function
_ZL29rocblas_internal_gemmt_kernelIlLi16ELi32ELi8ELc78ELc84ELc76ELb0ELb0E19rocblas_complex_numIfEPKS1_PKS3_PKPS1_EviT_T9_T10_S9_lSB_S9_lSA_T11_S9_li: ; @_ZL29rocblas_internal_gemmt_kernelIlLi16ELi32ELi8ELc78ELc84ELc76ELb0ELb0E19rocblas_complex_numIfEPKS1_PKS3_PKPS1_EviT_T9_T10_S9_lSB_S9_lSA_T11_S9_li
; %bb.0:
	s_load_dwordx8 s[24:31], s[0:1], 0x48
	s_load_dwordx16 s[8:23], s[0:1], 0x8
	s_waitcnt lgkmcnt(0)
	s_load_dwordx2 s[6:7], s[24:25], 0x0
	s_load_dwordx2 s[34:35], s[10:11], 0x0
	s_waitcnt lgkmcnt(0)
	s_and_b32 s5, s7, 0x7fffffff
	s_cmp_eq_u32 s5, 0
	v_cmp_eq_f32_e64 s[24:25], s6, 1.0
	s_cselect_b64 s[10:11], -1, 0
	s_and_b64 s[24:25], s[24:25], s[10:11]
	s_and_b64 vcc, exec, s[24:25]
	s_cbranch_vccnz .LBB514_2
; %bb.1:
	s_mov_b64 s[24:25], -1
	s_cbranch_execz .LBB514_3
	s_branch .LBB514_4
.LBB514_2:
	s_mov_b64 s[24:25], 0
.LBB514_3:
	s_cmp_lg_u64 s[8:9], 0
	v_cmp_neq_f32_e64 s[36:37], s34, 0
	v_cmp_neq_f32_e64 s[38:39], s35, 0
	s_cselect_b64 s[24:25], -1, 0
	s_or_b64 s[36:37], s[36:37], s[38:39]
	s_and_b64 s[24:25], s[24:25], s[36:37]
.LBB514_4:
	s_andn2_b64 vcc, exec, s[24:25]
	s_cbranch_vccnz .LBB514_30
; %bb.5:
	s_mov_b32 s5, 0
	s_load_dword s24, s[0:1], 0x0
	s_lshl_b64 s[0:1], s[4:5], 3
	s_add_u32 s4, s26, s0
	s_addc_u32 s5, s27, s1
	s_load_dwordx2 s[4:5], s[4:5], 0x0
	s_lshl_b32 s25, s2, 5
	s_lshl_b32 s26, s3, 5
	v_cmp_eq_f32_e64 s[2:3], s34, 0
	v_cmp_eq_f32_e64 s[36:37], s35, 0
	s_and_b64 s[2:3], s[2:3], s[36:37]
	v_cmp_lt_i64_e64 s[36:37], s[8:9], 1
	s_or_b64 s[2:3], s[2:3], s[36:37]
	v_and_b32_e32 v9, 0x3ff, v0
	v_bfe_u32 v11, v0, 10, 10
	v_mov_b32_e32 v30, 0
	s_and_b64 vcc, exec, s[2:3]
	v_mov_b32_e32 v32, 0
	v_mov_b32_e32 v26, 0
	;; [unrolled: 1-line block ×7, first 2 shown]
	s_cbranch_vccnz .LBB514_14
; %bb.6:
	s_add_u32 s2, s18, s0
	s_addc_u32 s3, s19, s1
	s_load_dwordx2 s[2:3], s[2:3], 0x0
	s_lshl_b64 s[18:19], s[22:23], 3
	v_lshl_add_u32 v1, v11, 4, v9
	v_lshrrev_b32_e32 v10, 5, v1
	v_lshrrev_b32_e32 v4, 3, v1
	s_waitcnt lgkmcnt(0)
	s_add_u32 s18, s2, s18
	s_addc_u32 s19, s3, s19
	s_add_u32 s0, s12, s0
	s_addc_u32 s1, s13, s1
	s_load_dwordx2 s[0:1], s[0:1], 0x0
	v_and_b32_e32 v1, 31, v1
	v_and_b32_e32 v8, 7, v9
	v_or_b32_e32 v2, s25, v1
	v_lshlrev_b32_e32 v1, 3, v1
	s_lshl_b64 s[2:3], s[16:17], 3
	v_lshl_or_b32 v19, v10, 8, v1
	v_lshlrev_b32_e32 v1, 3, v8
	v_add_u32_e32 v0, s26, v4
	s_waitcnt lgkmcnt(0)
	s_add_u32 s2, s0, s2
	v_lshl_or_b32 v1, v4, 6, v1
	s_addc_u32 s3, s1, s3
	v_ashrrev_i32_e32 v3, 31, v2
	v_add_u32_e32 v21, 0x800, v1
	v_ashrrev_i32_e32 v1, 31, v0
	v_lshl_add_u64 v[12:13], v[2:3], 3, s[2:3]
	v_cmp_gt_i32_e64 s[2:3], s24, v0
	v_lshl_add_u64 v[14:15], v[0:1], 3, s[18:19]
	v_mov_b32_e32 v0, 0x800
	v_cmp_gt_i32_e64 s[0:1], s24, v2
	v_lshlrev_b32_e32 v23, 3, v9
	v_lshl_add_u32 v25, v11, 6, v0
	v_mov_b32_e32 v17, 0
	s_mov_b64 s[12:13], 0
	v_mov_b32_e32 v20, 0
	v_mov_b32_e32 v18, 0
	v_mov_b32_e32 v24, 0
	v_mov_b32_e32 v22, 0
	v_mov_b32_e32 v28, 0
	v_mov_b32_e32 v26, 0
	v_mov_b32_e32 v32, 0
	v_mov_b32_e32 v30, 0
	s_branch .LBB514_8
.LBB514_7:                              ;   in Loop: Header=BB514_8 Depth=1
	s_or_b64 exec, exec, s[16:17]
	s_waitcnt vmcnt(0) lgkmcnt(0)
	ds_write_b64 v21, v[0:1]
	s_waitcnt lgkmcnt(0)
	s_barrier
	ds_read2_b64 v[34:37], v23 offset1:16
	ds_read_b128 v[38:41], v25
	ds_read_b128 v[42:45], v25 offset:16
	ds_read_b128 v[4:7], v25 offset:32
	;; [unrolled: 1-line block ×3, first 2 shown]
	s_add_u32 s12, s12, 8
	s_waitcnt lgkmcnt(3)
	v_mul_f32_e32 v16, v39, v35
	v_mul_f32_e32 v27, v38, v35
	v_fma_f32 v16, v38, v34, -v16
	v_fmac_f32_e32 v27, v39, v34
	v_add_f32_e32 v16, v30, v16
	v_add_f32_e32 v50, v32, v27
	ds_read_b128 v[30:33], v25 offset:1024
	v_mul_f32_e32 v27, v39, v37
	v_mul_f32_e32 v29, v38, v37
	v_fma_f32 v27, v38, v36, -v27
	v_fmac_f32_e32 v29, v39, v36
	v_add_f32_e32 v38, v26, v27
	v_add_f32_e32 v39, v28, v29
	ds_read_b128 v[26:29], v25 offset:1040
	s_waitcnt lgkmcnt(1)
	v_mul_f32_e32 v46, v31, v35
	v_fma_f32 v46, v30, v34, -v46
	v_add_f32_e32 v22, v22, v46
	ds_read2_b64 v[46:49], v23 offset0:32 offset1:48
	v_mul_f32_e32 v35, v30, v35
	v_fmac_f32_e32 v35, v31, v34
	v_mul_f32_e32 v34, v31, v37
	v_fma_f32 v34, v30, v36, -v34
	v_mul_f32_e32 v30, v30, v37
	v_fmac_f32_e32 v30, v31, v36
	v_add_f32_e32 v20, v20, v30
	s_waitcnt lgkmcnt(0)
	v_mul_f32_e32 v30, v41, v47
	v_mul_f32_e32 v31, v40, v47
	v_fma_f32 v30, v40, v46, -v30
	v_fmac_f32_e32 v31, v41, v46
	v_add_f32_e32 v18, v18, v34
	v_add_f32_e32 v16, v16, v30
	;; [unrolled: 1-line block ×3, first 2 shown]
	v_mul_f32_e32 v31, v41, v49
	v_mul_f32_e32 v34, v40, v49
	v_fma_f32 v31, v40, v48, -v31
	v_fmac_f32_e32 v34, v41, v48
	v_add_f32_e32 v31, v38, v31
	v_add_f32_e32 v38, v39, v34
	v_mul_f32_e32 v34, v33, v47
	v_add_f32_e32 v24, v24, v35
	v_fma_f32 v34, v32, v46, -v34
	v_mul_f32_e32 v35, v32, v47
	v_fmac_f32_e32 v35, v33, v46
	v_add_f32_e32 v22, v22, v34
	v_mul_f32_e32 v34, v33, v49
	v_add_f32_e32 v24, v24, v35
	v_fma_f32 v39, v32, v48, -v34
	ds_read2_b64 v[34:37], v23 offset0:64 offset1:80
	v_mul_f32_e32 v32, v32, v49
	v_fmac_f32_e32 v32, v33, v48
	v_add_f32_e32 v18, v18, v39
	v_add_f32_e32 v20, v20, v32
	s_waitcnt lgkmcnt(0)
	v_mul_f32_e32 v33, v42, v35
	v_fmac_f32_e32 v33, v43, v34
	v_add_f32_e32 v39, v30, v33
	v_mul_f32_e32 v30, v43, v37
	v_mul_f32_e32 v32, v43, v35
	v_fma_f32 v30, v42, v36, -v30
	v_fma_f32 v32, v42, v34, -v32
	v_add_f32_e32 v40, v31, v30
	v_mul_f32_e32 v30, v27, v35
	v_add_f32_e32 v16, v16, v32
	v_mul_f32_e32 v32, v42, v37
	v_fma_f32 v30, v26, v34, -v30
	v_mul_f32_e32 v31, v26, v35
	v_fmac_f32_e32 v32, v43, v36
	v_fmac_f32_e32 v31, v27, v34
	v_add_f32_e32 v22, v22, v30
	v_mul_f32_e32 v30, v27, v37
	v_add_f32_e32 v38, v38, v32
	v_add_f32_e32 v24, v24, v31
	v_fma_f32 v34, v26, v36, -v30
	ds_read2_b64 v[30:33], v23 offset0:96 offset1:112
	v_mul_f32_e32 v26, v26, v37
	v_fmac_f32_e32 v26, v27, v36
	v_add_f32_e32 v20, v20, v26
	v_add_f32_e32 v18, v18, v34
	s_waitcnt lgkmcnt(0)
	v_mul_f32_e32 v26, v45, v31
	v_mul_f32_e32 v27, v44, v31
	v_fma_f32 v26, v44, v30, -v26
	v_fmac_f32_e32 v27, v45, v30
	v_add_f32_e32 v16, v16, v26
	v_add_f32_e32 v26, v39, v27
	v_mul_f32_e32 v27, v45, v33
	v_mul_f32_e32 v34, v44, v33
	v_fma_f32 v27, v44, v32, -v27
	v_fmac_f32_e32 v34, v45, v32
	v_add_f32_e32 v39, v40, v27
	v_add_f32_e32 v38, v38, v34
	v_mul_f32_e32 v27, v29, v31
	ds_read2_b64 v[34:37], v23 offset0:128 offset1:144
	v_fma_f32 v27, v28, v30, -v27
	v_add_f32_e32 v22, v22, v27
	v_mul_f32_e32 v27, v29, v33
	v_mul_f32_e32 v31, v28, v31
	v_fma_f32 v27, v28, v32, -v27
	v_mul_f32_e32 v28, v28, v33
	v_fmac_f32_e32 v28, v29, v32
	v_add_f32_e32 v20, v20, v28
	s_waitcnt lgkmcnt(0)
	v_mul_f32_e32 v28, v4, v35
	v_add_f32_e32 v18, v18, v27
	v_mul_f32_e32 v27, v5, v35
	v_fmac_f32_e32 v28, v5, v34
	v_fma_f32 v27, v4, v34, -v27
	v_add_f32_e32 v42, v26, v28
	v_mul_f32_e32 v26, v5, v37
	v_fmac_f32_e32 v31, v29, v30
	v_add_f32_e32 v16, v16, v27
	v_fma_f32 v30, v4, v36, -v26
	ds_read_b128 v[26:29], v25 offset:1056
	v_mul_f32_e32 v4, v4, v37
	v_fmac_f32_e32 v4, v5, v36
	v_add_f32_e32 v5, v39, v30
	v_add_f32_e32 v4, v38, v4
	ds_read_b128 v[38:41], v25 offset:1072
	s_waitcnt lgkmcnt(1)
	v_mul_f32_e32 v30, v27, v35
	v_add_f32_e32 v24, v24, v31
	v_fma_f32 v30, v26, v34, -v30
	v_mul_f32_e32 v31, v26, v35
	v_fmac_f32_e32 v31, v27, v34
	v_add_f32_e32 v22, v22, v30
	v_mul_f32_e32 v30, v27, v37
	v_add_f32_e32 v24, v24, v31
	v_fma_f32 v34, v26, v36, -v30
	ds_read2_b64 v[30:33], v23 offset0:160 offset1:176
	v_mul_f32_e32 v26, v26, v37
	v_fmac_f32_e32 v26, v27, v36
	v_add_f32_e32 v20, v20, v26
	v_add_f32_e32 v18, v18, v34
	s_waitcnt lgkmcnt(0)
	v_mul_f32_e32 v26, v7, v31
	v_mul_f32_e32 v27, v6, v31
	v_fma_f32 v26, v6, v30, -v26
	v_fmac_f32_e32 v27, v7, v30
	v_add_f32_e32 v16, v16, v26
	v_add_f32_e32 v26, v42, v27
	v_mul_f32_e32 v27, v7, v33
	v_fma_f32 v27, v6, v32, -v27
	v_mul_f32_e32 v6, v6, v33
	v_fmac_f32_e32 v6, v7, v32
	v_add_f32_e32 v34, v4, v6
	v_mul_f32_e32 v4, v29, v31
	v_add_f32_e32 v27, v5, v27
	v_fma_f32 v4, v28, v30, -v4
	v_mul_f32_e32 v5, v28, v31
	v_fmac_f32_e32 v5, v29, v30
	v_add_f32_e32 v22, v22, v4
	v_mul_f32_e32 v4, v29, v33
	v_add_f32_e32 v24, v24, v5
	v_fma_f32 v30, v28, v32, -v4
	ds_read2_b64 v[4:7], v23 offset0:192 offset1:208
	v_mul_f32_e32 v28, v28, v33
	v_fmac_f32_e32 v28, v29, v32
	v_add_f32_e32 v20, v20, v28
	v_add_f32_e32 v18, v18, v30
	s_waitcnt lgkmcnt(0)
	v_mul_f32_e32 v28, v1, v5
	v_fma_f32 v28, v0, v4, -v28
	v_add_f32_e32 v16, v16, v28
	v_mul_f32_e32 v28, v1, v7
	v_mul_f32_e32 v29, v0, v5
	v_fma_f32 v28, v0, v6, -v28
	v_mul_f32_e32 v0, v0, v7
	v_fmac_f32_e32 v0, v1, v6
	v_add_f32_e32 v0, v34, v0
	ds_read2_b64 v[34:37], v23 offset0:224 offset1:240
	v_fmac_f32_e32 v29, v1, v4
	v_add_f32_e32 v1, v27, v28
	v_mul_f32_e32 v27, v39, v5
	v_fma_f32 v27, v38, v4, -v27
	v_mul_f32_e32 v5, v38, v5
	v_fmac_f32_e32 v5, v39, v4
	v_add_f32_e32 v4, v22, v27
	v_mul_f32_e32 v22, v39, v7
	v_fma_f32 v22, v38, v6, -v22
	v_mul_f32_e32 v7, v38, v7
	v_fmac_f32_e32 v7, v39, v6
	v_add_f32_e32 v6, v18, v22
	s_waitcnt lgkmcnt(0)
	v_mul_f32_e32 v18, v3, v35
	v_fma_f32 v18, v2, v34, -v18
	v_add_f32_e32 v30, v16, v18
	v_mul_f32_e32 v16, v3, v37
	v_add_f32_e32 v7, v20, v7
	v_mul_f32_e32 v20, v2, v35
	v_fma_f32 v16, v2, v36, -v16
	v_mul_f32_e32 v2, v2, v37
	v_add_f32_e32 v26, v26, v29
	v_fmac_f32_e32 v20, v3, v34
	v_fmac_f32_e32 v2, v3, v36
	v_add_f32_e32 v32, v26, v20
	v_add_f32_e32 v26, v1, v16
	;; [unrolled: 1-line block ×3, first 2 shown]
	v_mul_f32_e32 v0, v41, v35
	v_mul_f32_e32 v1, v40, v35
	v_add_f32_e32 v5, v24, v5
	v_fma_f32 v0, v40, v34, -v0
	v_fmac_f32_e32 v1, v41, v34
	v_add_f32_e32 v22, v4, v0
	v_add_f32_e32 v24, v5, v1
	v_mul_f32_e32 v0, v41, v37
	v_mul_f32_e32 v1, v40, v37
	v_fma_f32 v0, v40, v36, -v0
	v_fmac_f32_e32 v1, v41, v36
	s_addc_u32 s13, s13, 0
	v_add_f32_e32 v18, v6, v0
	v_add_f32_e32 v20, v7, v1
	v_mov_b64_e32 v[0:1], s[12:13]
	v_cmp_gt_i64_e32 vcc, s[8:9], v[0:1]
	s_barrier
	s_cbranch_vccz .LBB514_14
.LBB514_8:                              ; =>This Inner Loop Header: Depth=1
	v_mov_b32_e32 v0, 0
	v_mov_b32_e32 v1, 0
	s_and_saveexec_b64 s[16:17], s[0:1]
	s_cbranch_execz .LBB514_12
; %bb.9:                                ;   in Loop: Header=BB514_8 Depth=1
	v_add_u32_e32 v16, s12, v10
	v_cmp_gt_u64_e32 vcc, s[8:9], v[16:17]
	v_mov_b32_e32 v1, 0
	v_mov_b32_e32 v0, 0
	s_and_saveexec_b64 s[18:19], vcc
	s_cbranch_execz .LBB514_11
; %bb.10:                               ;   in Loop: Header=BB514_8 Depth=1
	v_mad_u64_u32 v[0:1], s[22:23], s14, v16, 0
	v_mov_b32_e32 v2, v1
	v_mad_u64_u32 v[2:3], s[22:23], s15, v16, v[2:3]
	v_mov_b32_e32 v1, v2
	v_lshl_add_u64 v[0:1], v[0:1], 3, v[12:13]
	flat_load_dwordx2 v[0:1], v[0:1]
.LBB514_11:                             ;   in Loop: Header=BB514_8 Depth=1
	s_or_b64 exec, exec, s[18:19]
.LBB514_12:                             ;   in Loop: Header=BB514_8 Depth=1
	s_or_b64 exec, exec, s[16:17]
	v_add_u32_e32 v16, s12, v8
	v_cmp_gt_u64_e32 vcc, s[8:9], v[16:17]
	s_waitcnt vmcnt(0) lgkmcnt(0)
	ds_write_b64 v19, v[0:1]
	s_and_b64 s[18:19], vcc, s[2:3]
	v_mov_b32_e32 v0, 0
	v_mov_b32_e32 v1, 0
	s_and_saveexec_b64 s[16:17], s[18:19]
	s_cbranch_execz .LBB514_7
; %bb.13:                               ;   in Loop: Header=BB514_8 Depth=1
	v_mad_u64_u32 v[0:1], s[18:19], s20, v16, 0
	v_mov_b32_e32 v2, v1
	v_mad_u64_u32 v[2:3], s[18:19], s21, v16, v[2:3]
	v_mov_b32_e32 v1, v2
	v_lshl_add_u64 v[0:1], v[0:1], 3, v[14:15]
	flat_load_dwordx2 v[0:1], v[0:1]
	s_branch .LBB514_7
.LBB514_14:
	s_lshl_b64 s[0:1], s[30:31], 3
	v_add_u32_e32 v10, s26, v11
	s_waitcnt lgkmcnt(0)
	s_add_u32 s8, s4, s0
	v_ashrrev_i32_e32 v1, 31, v10
	s_addc_u32 s9, s5, s1
	v_cmp_neq_f32_e64 s[0:1], s6, 0
	s_xor_b64 s[4:5], s[10:11], -1
	v_mul_lo_u32 v1, s28, v1
	v_mul_lo_u32 v4, s29, v10
	v_mad_u64_u32 v[2:3], s[2:3], s28, v10, 0
	v_add_u32_e32 v0, s25, v9
	v_add3_u32 v3, v3, v1, v4
	s_or_b64 s[0:1], s[0:1], s[4:5]
	v_lshl_add_u64 v[4:5], v[2:3], 3, s[8:9]
	v_cmp_le_i32_e32 vcc, v10, v0
	v_cmp_gt_i32_e64 s[2:3], s24, v0
	v_cndmask_b32_e64 v2, 0, 1, s[0:1]
	s_and_b64 s[10:11], vcc, s[2:3]
	v_ashrrev_i32_e32 v1, 31, v0
	v_cmp_ne_u32_e64 s[0:1], 1, v2
	s_and_saveexec_b64 s[4:5], s[10:11]
	s_cbranch_execz .LBB514_18
; %bb.15:
	v_pk_mul_f32 v[6:7], v[32:33], s[34:35] op_sel:[0,1] op_sel_hi:[0,0]
	v_pk_fma_f32 v[2:3], v[30:31], s[34:35], v[6:7] op_sel_hi:[0,1,1] neg_lo:[0,0,1] neg_hi:[0,0,1]
	v_pk_fma_f32 v[8:9], v[30:31], s[34:35], v[6:7] op_sel_hi:[0,1,1]
	s_and_b64 vcc, exec, s[0:1]
	v_lshl_add_u64 v[6:7], v[0:1], 3, v[4:5]
	s_cbranch_vccnz .LBB514_17
; %bb.16:
	flat_load_dwordx2 v[12:13], v[6:7]
	s_mov_b32 s10, s7
	v_mov_b32_e32 v3, v9
	s_waitcnt vmcnt(0) lgkmcnt(0)
	v_pk_mul_f32 v[8:9], v[12:13], s[10:11] op_sel:[1,0] op_sel_hi:[0,0]
	v_pk_fma_f32 v[14:15], v[12:13], s[6:7], v[8:9] neg_lo:[0,0,1] neg_hi:[0,0,1]
	v_pk_fma_f32 v[8:9], v[12:13], s[6:7], v[8:9] op_sel_hi:[1,0,1]
	s_nop 0
	v_mov_b32_e32 v15, v9
	v_pk_add_f32 v[2:3], v[2:3], v[14:15]
	s_nop 0
	v_mov_b32_e32 v9, v3
.LBB514_17:
	v_mov_b32_e32 v3, v9
	flat_store_dwordx2 v[6:7], v[2:3]
.LBB514_18:
	s_or_b64 exec, exec, s[4:5]
	v_add_u32_e32 v2, 16, v0
	v_cmp_le_i32_e32 vcc, v10, v2
	v_cmp_gt_i32_e64 s[4:5], s24, v2
	s_and_b64 s[12:13], vcc, s[4:5]
	v_ashrrev_i32_e32 v3, 31, v2
	s_and_saveexec_b64 s[10:11], s[12:13]
	s_cbranch_execz .LBB514_22
; %bb.19:
	v_pk_mul_f32 v[8:9], v[28:29], s[34:35] op_sel:[0,1] op_sel_hi:[0,0]
	v_pk_fma_f32 v[6:7], v[26:27], s[34:35], v[8:9] op_sel_hi:[0,1,1] neg_lo:[0,0,1] neg_hi:[0,0,1]
	v_pk_fma_f32 v[8:9], v[26:27], s[34:35], v[8:9] op_sel_hi:[0,1,1]
	s_and_b64 vcc, exec, s[0:1]
	v_lshl_add_u64 v[4:5], v[2:3], 3, v[4:5]
	s_cbranch_vccnz .LBB514_21
; %bb.20:
	flat_load_dwordx2 v[12:13], v[4:5]
	s_mov_b32 s12, s7
	v_mov_b32_e32 v7, v9
	s_waitcnt vmcnt(0) lgkmcnt(0)
	v_pk_mul_f32 v[8:9], v[12:13], s[12:13] op_sel:[1,0] op_sel_hi:[0,0]
	v_pk_fma_f32 v[14:15], v[12:13], s[6:7], v[8:9] neg_lo:[0,0,1] neg_hi:[0,0,1]
	v_pk_fma_f32 v[8:9], v[12:13], s[6:7], v[8:9] op_sel_hi:[1,0,1]
	s_nop 0
	v_mov_b32_e32 v15, v9
	v_pk_add_f32 v[6:7], v[6:7], v[14:15]
	s_nop 0
	v_mov_b32_e32 v9, v7
.LBB514_21:
	v_mov_b32_e32 v7, v9
	flat_store_dwordx2 v[4:5], v[6:7]
.LBB514_22:
	s_or_b64 exec, exec, s[10:11]
	v_add_u32_e32 v10, 16, v10
	v_ashrrev_i32_e32 v4, 31, v10
	v_mul_lo_u32 v6, s28, v4
	v_mul_lo_u32 v7, s29, v10
	v_mad_u64_u32 v[4:5], s[10:11], s28, v10, 0
	v_add3_u32 v5, v5, v6, v7
	v_cmp_le_i32_e32 vcc, v10, v0
	v_lshl_add_u64 v[4:5], v[4:5], 3, s[8:9]
	s_and_b64 s[8:9], vcc, s[2:3]
	s_and_saveexec_b64 s[2:3], s[8:9]
	s_cbranch_execz .LBB514_26
; %bb.23:
	v_pk_mul_f32 v[8:9], v[24:25], s[34:35] op_sel:[0,1] op_sel_hi:[0,0]
	v_pk_fma_f32 v[6:7], v[22:23], s[34:35], v[8:9] op_sel_hi:[0,1,1] neg_lo:[0,0,1] neg_hi:[0,0,1]
	v_pk_fma_f32 v[8:9], v[22:23], s[34:35], v[8:9] op_sel_hi:[0,1,1]
	s_and_b64 vcc, exec, s[0:1]
	v_lshl_add_u64 v[0:1], v[0:1], 3, v[4:5]
	s_cbranch_vccnz .LBB514_25
; %bb.24:
	flat_load_dwordx2 v[12:13], v[0:1]
	s_mov_b32 s8, s7
	v_mov_b32_e32 v7, v9
	s_waitcnt vmcnt(0) lgkmcnt(0)
	v_pk_mul_f32 v[8:9], v[12:13], s[8:9] op_sel:[1,0] op_sel_hi:[0,0]
	v_pk_fma_f32 v[14:15], v[12:13], s[6:7], v[8:9] neg_lo:[0,0,1] neg_hi:[0,0,1]
	v_pk_fma_f32 v[8:9], v[12:13], s[6:7], v[8:9] op_sel_hi:[1,0,1]
	s_nop 0
	v_mov_b32_e32 v15, v9
	v_pk_add_f32 v[6:7], v[6:7], v[14:15]
	s_nop 0
	v_mov_b32_e32 v9, v7
.LBB514_25:
	v_mov_b32_e32 v7, v9
	flat_store_dwordx2 v[0:1], v[6:7]
.LBB514_26:
	s_or_b64 exec, exec, s[2:3]
	v_cmp_le_i32_e32 vcc, v10, v2
	s_and_b64 s[2:3], vcc, s[4:5]
	s_and_saveexec_b64 s[4:5], s[2:3]
	s_cbranch_execz .LBB514_30
; %bb.27:
	v_pk_mul_f32 v[6:7], v[20:21], s[34:35] op_sel:[0,1] op_sel_hi:[0,0]
	v_pk_fma_f32 v[0:1], v[18:19], s[34:35], v[6:7] op_sel_hi:[0,1,1] neg_lo:[0,0,1] neg_hi:[0,0,1]
	v_pk_fma_f32 v[6:7], v[18:19], s[34:35], v[6:7] op_sel_hi:[0,1,1]
	s_and_b64 vcc, exec, s[0:1]
	v_lshl_add_u64 v[2:3], v[2:3], 3, v[4:5]
	s_cbranch_vccnz .LBB514_29
; %bb.28:
	flat_load_dwordx2 v[4:5], v[2:3]
	s_mov_b32 s0, s7
	v_mov_b32_e32 v1, v7
	s_waitcnt vmcnt(0) lgkmcnt(0)
	v_pk_mul_f32 v[6:7], v[4:5], s[0:1] op_sel:[1,0] op_sel_hi:[0,0]
	v_pk_fma_f32 v[8:9], v[4:5], s[6:7], v[6:7] neg_lo:[0,0,1] neg_hi:[0,0,1]
	v_pk_fma_f32 v[4:5], v[4:5], s[6:7], v[6:7] op_sel_hi:[1,0,1]
	s_nop 0
	v_mov_b32_e32 v9, v5
	v_pk_add_f32 v[0:1], v[0:1], v[8:9]
	s_nop 0
	v_mov_b32_e32 v7, v1
.LBB514_29:
	v_mov_b32_e32 v1, v7
	flat_store_dwordx2 v[2:3], v[0:1]
.LBB514_30:
	s_endpgm
	.section	.rodata,"a",@progbits
	.p2align	6, 0x0
	.amdhsa_kernel _ZL29rocblas_internal_gemmt_kernelIlLi16ELi32ELi8ELc78ELc84ELc76ELb0ELb0E19rocblas_complex_numIfEPKS1_PKS3_PKPS1_EviT_T9_T10_S9_lSB_S9_lSA_T11_S9_li
		.amdhsa_group_segment_fixed_size 4096
		.amdhsa_private_segment_fixed_size 0
		.amdhsa_kernarg_size 108
		.amdhsa_user_sgpr_count 2
		.amdhsa_user_sgpr_dispatch_ptr 0
		.amdhsa_user_sgpr_queue_ptr 0
		.amdhsa_user_sgpr_kernarg_segment_ptr 1
		.amdhsa_user_sgpr_dispatch_id 0
		.amdhsa_user_sgpr_kernarg_preload_length 0
		.amdhsa_user_sgpr_kernarg_preload_offset 0
		.amdhsa_user_sgpr_private_segment_size 0
		.amdhsa_uses_dynamic_stack 0
		.amdhsa_enable_private_segment 0
		.amdhsa_system_sgpr_workgroup_id_x 1
		.amdhsa_system_sgpr_workgroup_id_y 1
		.amdhsa_system_sgpr_workgroup_id_z 1
		.amdhsa_system_sgpr_workgroup_info 0
		.amdhsa_system_vgpr_workitem_id 1
		.amdhsa_next_free_vgpr 51
		.amdhsa_next_free_sgpr 40
		.amdhsa_accum_offset 52
		.amdhsa_reserve_vcc 1
		.amdhsa_float_round_mode_32 0
		.amdhsa_float_round_mode_16_64 0
		.amdhsa_float_denorm_mode_32 3
		.amdhsa_float_denorm_mode_16_64 3
		.amdhsa_dx10_clamp 1
		.amdhsa_ieee_mode 1
		.amdhsa_fp16_overflow 0
		.amdhsa_tg_split 0
		.amdhsa_exception_fp_ieee_invalid_op 0
		.amdhsa_exception_fp_denorm_src 0
		.amdhsa_exception_fp_ieee_div_zero 0
		.amdhsa_exception_fp_ieee_overflow 0
		.amdhsa_exception_fp_ieee_underflow 0
		.amdhsa_exception_fp_ieee_inexact 0
		.amdhsa_exception_int_div_zero 0
	.end_amdhsa_kernel
	.section	.text._ZL29rocblas_internal_gemmt_kernelIlLi16ELi32ELi8ELc78ELc84ELc76ELb0ELb0E19rocblas_complex_numIfEPKS1_PKS3_PKPS1_EviT_T9_T10_S9_lSB_S9_lSA_T11_S9_li,"axG",@progbits,_ZL29rocblas_internal_gemmt_kernelIlLi16ELi32ELi8ELc78ELc84ELc76ELb0ELb0E19rocblas_complex_numIfEPKS1_PKS3_PKPS1_EviT_T9_T10_S9_lSB_S9_lSA_T11_S9_li,comdat
.Lfunc_end514:
	.size	_ZL29rocblas_internal_gemmt_kernelIlLi16ELi32ELi8ELc78ELc84ELc76ELb0ELb0E19rocblas_complex_numIfEPKS1_PKS3_PKPS1_EviT_T9_T10_S9_lSB_S9_lSA_T11_S9_li, .Lfunc_end514-_ZL29rocblas_internal_gemmt_kernelIlLi16ELi32ELi8ELc78ELc84ELc76ELb0ELb0E19rocblas_complex_numIfEPKS1_PKS3_PKPS1_EviT_T9_T10_S9_lSB_S9_lSA_T11_S9_li
                                        ; -- End function
	.set _ZL29rocblas_internal_gemmt_kernelIlLi16ELi32ELi8ELc78ELc84ELc76ELb0ELb0E19rocblas_complex_numIfEPKS1_PKS3_PKPS1_EviT_T9_T10_S9_lSB_S9_lSA_T11_S9_li.num_vgpr, 51
	.set _ZL29rocblas_internal_gemmt_kernelIlLi16ELi32ELi8ELc78ELc84ELc76ELb0ELb0E19rocblas_complex_numIfEPKS1_PKS3_PKPS1_EviT_T9_T10_S9_lSB_S9_lSA_T11_S9_li.num_agpr, 0
	.set _ZL29rocblas_internal_gemmt_kernelIlLi16ELi32ELi8ELc78ELc84ELc76ELb0ELb0E19rocblas_complex_numIfEPKS1_PKS3_PKPS1_EviT_T9_T10_S9_lSB_S9_lSA_T11_S9_li.numbered_sgpr, 40
	.set _ZL29rocblas_internal_gemmt_kernelIlLi16ELi32ELi8ELc78ELc84ELc76ELb0ELb0E19rocblas_complex_numIfEPKS1_PKS3_PKPS1_EviT_T9_T10_S9_lSB_S9_lSA_T11_S9_li.num_named_barrier, 0
	.set _ZL29rocblas_internal_gemmt_kernelIlLi16ELi32ELi8ELc78ELc84ELc76ELb0ELb0E19rocblas_complex_numIfEPKS1_PKS3_PKPS1_EviT_T9_T10_S9_lSB_S9_lSA_T11_S9_li.private_seg_size, 0
	.set _ZL29rocblas_internal_gemmt_kernelIlLi16ELi32ELi8ELc78ELc84ELc76ELb0ELb0E19rocblas_complex_numIfEPKS1_PKS3_PKPS1_EviT_T9_T10_S9_lSB_S9_lSA_T11_S9_li.uses_vcc, 1
	.set _ZL29rocblas_internal_gemmt_kernelIlLi16ELi32ELi8ELc78ELc84ELc76ELb0ELb0E19rocblas_complex_numIfEPKS1_PKS3_PKPS1_EviT_T9_T10_S9_lSB_S9_lSA_T11_S9_li.uses_flat_scratch, 0
	.set _ZL29rocblas_internal_gemmt_kernelIlLi16ELi32ELi8ELc78ELc84ELc76ELb0ELb0E19rocblas_complex_numIfEPKS1_PKS3_PKPS1_EviT_T9_T10_S9_lSB_S9_lSA_T11_S9_li.has_dyn_sized_stack, 0
	.set _ZL29rocblas_internal_gemmt_kernelIlLi16ELi32ELi8ELc78ELc84ELc76ELb0ELb0E19rocblas_complex_numIfEPKS1_PKS3_PKPS1_EviT_T9_T10_S9_lSB_S9_lSA_T11_S9_li.has_recursion, 0
	.set _ZL29rocblas_internal_gemmt_kernelIlLi16ELi32ELi8ELc78ELc84ELc76ELb0ELb0E19rocblas_complex_numIfEPKS1_PKS3_PKPS1_EviT_T9_T10_S9_lSB_S9_lSA_T11_S9_li.has_indirect_call, 0
	.section	.AMDGPU.csdata,"",@progbits
; Kernel info:
; codeLenInByte = 2512
; TotalNumSgprs: 46
; NumVgprs: 51
; NumAgprs: 0
; TotalNumVgprs: 51
; ScratchSize: 0
; MemoryBound: 0
; FloatMode: 240
; IeeeMode: 1
; LDSByteSize: 4096 bytes/workgroup (compile time only)
; SGPRBlocks: 5
; VGPRBlocks: 6
; NumSGPRsForWavesPerEU: 46
; NumVGPRsForWavesPerEU: 51
; AccumOffset: 52
; Occupancy: 8
; WaveLimiterHint : 1
; COMPUTE_PGM_RSRC2:SCRATCH_EN: 0
; COMPUTE_PGM_RSRC2:USER_SGPR: 2
; COMPUTE_PGM_RSRC2:TRAP_HANDLER: 0
; COMPUTE_PGM_RSRC2:TGID_X_EN: 1
; COMPUTE_PGM_RSRC2:TGID_Y_EN: 1
; COMPUTE_PGM_RSRC2:TGID_Z_EN: 1
; COMPUTE_PGM_RSRC2:TIDIG_COMP_CNT: 1
; COMPUTE_PGM_RSRC3_GFX90A:ACCUM_OFFSET: 12
; COMPUTE_PGM_RSRC3_GFX90A:TG_SPLIT: 0
	.section	.text._ZL29rocblas_internal_gemmt_kernelIlLi16ELi32ELi8ELc78ELc67ELc76ELb0ELb1E19rocblas_complex_numIfEPKS1_PKS3_PKPS1_EviT_T9_T10_S9_lSB_S9_lSA_T11_S9_li,"axG",@progbits,_ZL29rocblas_internal_gemmt_kernelIlLi16ELi32ELi8ELc78ELc67ELc76ELb0ELb1E19rocblas_complex_numIfEPKS1_PKS3_PKPS1_EviT_T9_T10_S9_lSB_S9_lSA_T11_S9_li,comdat
	.globl	_ZL29rocblas_internal_gemmt_kernelIlLi16ELi32ELi8ELc78ELc67ELc76ELb0ELb1E19rocblas_complex_numIfEPKS1_PKS3_PKPS1_EviT_T9_T10_S9_lSB_S9_lSA_T11_S9_li ; -- Begin function _ZL29rocblas_internal_gemmt_kernelIlLi16ELi32ELi8ELc78ELc67ELc76ELb0ELb1E19rocblas_complex_numIfEPKS1_PKS3_PKPS1_EviT_T9_T10_S9_lSB_S9_lSA_T11_S9_li
	.p2align	8
	.type	_ZL29rocblas_internal_gemmt_kernelIlLi16ELi32ELi8ELc78ELc67ELc76ELb0ELb1E19rocblas_complex_numIfEPKS1_PKS3_PKPS1_EviT_T9_T10_S9_lSB_S9_lSA_T11_S9_li,@function
_ZL29rocblas_internal_gemmt_kernelIlLi16ELi32ELi8ELc78ELc67ELc76ELb0ELb1E19rocblas_complex_numIfEPKS1_PKS3_PKPS1_EviT_T9_T10_S9_lSB_S9_lSA_T11_S9_li: ; @_ZL29rocblas_internal_gemmt_kernelIlLi16ELi32ELi8ELc78ELc67ELc76ELb0ELb1E19rocblas_complex_numIfEPKS1_PKS3_PKPS1_EviT_T9_T10_S9_lSB_S9_lSA_T11_S9_li
; %bb.0:
	s_load_dwordx8 s[24:31], s[0:1], 0x48
	s_load_dwordx16 s[8:23], s[0:1], 0x8
	s_waitcnt lgkmcnt(0)
	s_load_dwordx2 s[6:7], s[24:25], 0x0
	s_load_dwordx2 s[34:35], s[10:11], 0x0
	s_waitcnt lgkmcnt(0)
	s_and_b32 s5, s7, 0x7fffffff
	s_cmp_eq_u32 s5, 0
	v_cmp_eq_f32_e64 s[24:25], s6, 1.0
	s_cselect_b64 s[10:11], -1, 0
	s_and_b64 s[24:25], s[24:25], s[10:11]
	s_and_b64 vcc, exec, s[24:25]
	s_cbranch_vccnz .LBB515_2
; %bb.1:
	s_mov_b64 s[24:25], -1
	s_cbranch_execz .LBB515_3
	s_branch .LBB515_4
.LBB515_2:
	s_mov_b64 s[24:25], 0
.LBB515_3:
	s_cmp_lg_u64 s[8:9], 0
	v_cmp_neq_f32_e64 s[36:37], s34, 0
	v_cmp_neq_f32_e64 s[38:39], s35, 0
	s_cselect_b64 s[24:25], -1, 0
	s_or_b64 s[36:37], s[36:37], s[38:39]
	s_and_b64 s[24:25], s[24:25], s[36:37]
.LBB515_4:
	s_andn2_b64 vcc, exec, s[24:25]
	s_cbranch_vccnz .LBB515_32
; %bb.5:
	s_mov_b32 s5, 0
	s_load_dword s24, s[0:1], 0x0
	s_lshl_b64 s[0:1], s[4:5], 3
	s_add_u32 s4, s26, s0
	s_addc_u32 s5, s27, s1
	s_load_dwordx2 s[4:5], s[4:5], 0x0
	s_lshl_b32 s25, s2, 5
	s_lshl_b32 s26, s3, 5
	v_cmp_eq_f32_e64 s[2:3], s34, 0
	v_cmp_eq_f32_e64 s[36:37], s35, 0
	s_and_b64 s[2:3], s[2:3], s[36:37]
	v_cmp_lt_i64_e64 s[36:37], s[8:9], 1
	s_or_b64 s[2:3], s[2:3], s[36:37]
	v_and_b32_e32 v9, 0x3ff, v0
	v_bfe_u32 v11, v0, 10, 10
	v_mov_b32_e32 v30, 0
	s_and_b64 vcc, exec, s[2:3]
	v_mov_b32_e32 v32, 0
	v_mov_b32_e32 v26, 0
	v_mov_b32_e32 v28, 0
	v_mov_b32_e32 v22, 0
	v_mov_b32_e32 v24, 0
	v_mov_b32_e32 v18, 0
	v_mov_b32_e32 v20, 0
	s_cbranch_vccnz .LBB515_16
; %bb.6:
	s_add_u32 s2, s18, s0
	s_addc_u32 s3, s19, s1
	s_load_dwordx2 s[2:3], s[2:3], 0x0
	s_lshl_b64 s[18:19], s[22:23], 3
	v_lshl_add_u32 v1, v11, 4, v9
	v_lshrrev_b32_e32 v10, 5, v1
	v_lshrrev_b32_e32 v4, 3, v1
	s_waitcnt lgkmcnt(0)
	s_add_u32 s2, s2, s18
	s_addc_u32 s3, s3, s19
	s_add_u32 s0, s12, s0
	s_addc_u32 s1, s13, s1
	s_load_dwordx2 s[0:1], s[0:1], 0x0
	v_and_b32_e32 v1, 31, v1
	v_and_b32_e32 v8, 7, v9
	v_or_b32_e32 v2, s25, v1
	v_lshlrev_b32_e32 v1, 3, v1
	v_lshl_or_b32 v19, v10, 8, v1
	v_lshlrev_b32_e32 v1, 3, v8
	v_add_u32_e32 v0, s26, v4
	s_lshl_b64 s[12:13], s[16:17], 3
	v_lshl_or_b32 v1, v4, 6, v1
	s_waitcnt lgkmcnt(0)
	s_add_u32 s12, s0, s12
	v_add_u32_e32 v21, 0x800, v1
	v_ashrrev_i32_e32 v1, 31, v0
	s_addc_u32 s13, s1, s13
	v_ashrrev_i32_e32 v3, 31, v2
	v_cmp_gt_i32_e32 vcc, s24, v0
	v_lshl_add_u64 v[14:15], v[0:1], 3, s[2:3]
	v_mov_b32_e32 v0, 0x800
	v_cmp_gt_i32_e64 s[0:1], s24, v2
	v_lshl_add_u64 v[12:13], v[2:3], 3, s[12:13]
	v_lshlrev_b32_e32 v23, 3, v9
	v_lshl_add_u32 v25, v11, 6, v0
	v_mov_b32_e32 v17, 0
	s_mov_b64 s[2:3], 0
	s_xor_b64 s[12:13], vcc, -1
	v_mov_b32_e32 v20, 0
	v_mov_b32_e32 v18, 0
	;; [unrolled: 1-line block ×8, first 2 shown]
	s_branch .LBB515_8
.LBB515_7:                              ;   in Loop: Header=BB515_8 Depth=1
	s_or_b64 exec, exec, s[16:17]
	ds_write_b32 v21, v0 offset:4
	s_waitcnt lgkmcnt(0)
	s_barrier
	ds_read2_b64 v[34:37], v23 offset1:16
	ds_read_b128 v[38:41], v25
	ds_read_b128 v[42:45], v25 offset:16
	ds_read_b128 v[4:7], v25 offset:32
	;; [unrolled: 1-line block ×3, first 2 shown]
	s_add_u32 s2, s2, 8
	s_waitcnt lgkmcnt(3)
	v_mul_f32_e32 v16, v39, v35
	v_mul_f32_e32 v27, v38, v35
	v_fma_f32 v16, v38, v34, -v16
	v_fmac_f32_e32 v27, v39, v34
	v_add_f32_e32 v16, v30, v16
	v_add_f32_e32 v50, v32, v27
	ds_read_b128 v[30:33], v25 offset:1024
	v_mul_f32_e32 v27, v39, v37
	v_mul_f32_e32 v29, v38, v37
	v_fma_f32 v27, v38, v36, -v27
	v_fmac_f32_e32 v29, v39, v36
	v_add_f32_e32 v38, v26, v27
	v_add_f32_e32 v39, v28, v29
	ds_read_b128 v[26:29], v25 offset:1040
	s_waitcnt lgkmcnt(1)
	v_mul_f32_e32 v46, v31, v35
	v_fma_f32 v46, v30, v34, -v46
	v_add_f32_e32 v22, v22, v46
	ds_read2_b64 v[46:49], v23 offset0:32 offset1:48
	v_mul_f32_e32 v35, v30, v35
	v_fmac_f32_e32 v35, v31, v34
	v_mul_f32_e32 v34, v31, v37
	v_fma_f32 v34, v30, v36, -v34
	v_mul_f32_e32 v30, v30, v37
	v_fmac_f32_e32 v30, v31, v36
	v_add_f32_e32 v20, v20, v30
	s_waitcnt lgkmcnt(0)
	v_mul_f32_e32 v30, v41, v47
	v_mul_f32_e32 v31, v40, v47
	v_fma_f32 v30, v40, v46, -v30
	v_fmac_f32_e32 v31, v41, v46
	v_add_f32_e32 v18, v18, v34
	v_add_f32_e32 v16, v16, v30
	;; [unrolled: 1-line block ×3, first 2 shown]
	v_mul_f32_e32 v31, v41, v49
	v_mul_f32_e32 v34, v40, v49
	v_fma_f32 v31, v40, v48, -v31
	v_fmac_f32_e32 v34, v41, v48
	v_add_f32_e32 v31, v38, v31
	v_add_f32_e32 v38, v39, v34
	v_mul_f32_e32 v34, v33, v47
	v_add_f32_e32 v24, v24, v35
	v_fma_f32 v34, v32, v46, -v34
	v_mul_f32_e32 v35, v32, v47
	v_fmac_f32_e32 v35, v33, v46
	v_add_f32_e32 v22, v22, v34
	v_mul_f32_e32 v34, v33, v49
	v_add_f32_e32 v24, v24, v35
	v_fma_f32 v39, v32, v48, -v34
	ds_read2_b64 v[34:37], v23 offset0:64 offset1:80
	v_mul_f32_e32 v32, v32, v49
	v_fmac_f32_e32 v32, v33, v48
	v_add_f32_e32 v18, v18, v39
	v_add_f32_e32 v20, v20, v32
	s_waitcnt lgkmcnt(0)
	v_mul_f32_e32 v33, v42, v35
	v_fmac_f32_e32 v33, v43, v34
	v_add_f32_e32 v39, v30, v33
	v_mul_f32_e32 v30, v43, v37
	v_mul_f32_e32 v32, v43, v35
	v_fma_f32 v30, v42, v36, -v30
	v_fma_f32 v32, v42, v34, -v32
	v_add_f32_e32 v40, v31, v30
	v_mul_f32_e32 v30, v27, v35
	v_add_f32_e32 v16, v16, v32
	v_mul_f32_e32 v32, v42, v37
	v_fma_f32 v30, v26, v34, -v30
	v_mul_f32_e32 v31, v26, v35
	v_fmac_f32_e32 v32, v43, v36
	v_fmac_f32_e32 v31, v27, v34
	v_add_f32_e32 v22, v22, v30
	v_mul_f32_e32 v30, v27, v37
	v_add_f32_e32 v38, v38, v32
	v_add_f32_e32 v24, v24, v31
	v_fma_f32 v34, v26, v36, -v30
	ds_read2_b64 v[30:33], v23 offset0:96 offset1:112
	v_mul_f32_e32 v26, v26, v37
	v_fmac_f32_e32 v26, v27, v36
	v_add_f32_e32 v20, v20, v26
	v_add_f32_e32 v18, v18, v34
	s_waitcnt lgkmcnt(0)
	v_mul_f32_e32 v26, v45, v31
	v_mul_f32_e32 v27, v44, v31
	v_fma_f32 v26, v44, v30, -v26
	v_fmac_f32_e32 v27, v45, v30
	v_add_f32_e32 v16, v16, v26
	v_add_f32_e32 v26, v39, v27
	v_mul_f32_e32 v27, v45, v33
	v_mul_f32_e32 v34, v44, v33
	v_fma_f32 v27, v44, v32, -v27
	v_fmac_f32_e32 v34, v45, v32
	v_add_f32_e32 v39, v40, v27
	v_add_f32_e32 v38, v38, v34
	v_mul_f32_e32 v27, v29, v31
	ds_read2_b64 v[34:37], v23 offset0:128 offset1:144
	v_fma_f32 v27, v28, v30, -v27
	v_add_f32_e32 v22, v22, v27
	v_mul_f32_e32 v27, v29, v33
	v_mul_f32_e32 v31, v28, v31
	v_fma_f32 v27, v28, v32, -v27
	v_mul_f32_e32 v28, v28, v33
	v_fmac_f32_e32 v28, v29, v32
	v_add_f32_e32 v20, v20, v28
	s_waitcnt lgkmcnt(0)
	v_mul_f32_e32 v28, v4, v35
	v_add_f32_e32 v18, v18, v27
	v_mul_f32_e32 v27, v5, v35
	v_fmac_f32_e32 v28, v5, v34
	v_fma_f32 v27, v4, v34, -v27
	v_add_f32_e32 v42, v26, v28
	v_mul_f32_e32 v26, v5, v37
	v_fmac_f32_e32 v31, v29, v30
	v_add_f32_e32 v16, v16, v27
	v_fma_f32 v30, v4, v36, -v26
	ds_read_b128 v[26:29], v25 offset:1056
	v_mul_f32_e32 v4, v4, v37
	v_fmac_f32_e32 v4, v5, v36
	v_add_f32_e32 v5, v39, v30
	v_add_f32_e32 v4, v38, v4
	ds_read_b128 v[38:41], v25 offset:1072
	s_waitcnt lgkmcnt(1)
	v_mul_f32_e32 v30, v27, v35
	v_add_f32_e32 v24, v24, v31
	v_fma_f32 v30, v26, v34, -v30
	v_mul_f32_e32 v31, v26, v35
	v_fmac_f32_e32 v31, v27, v34
	v_add_f32_e32 v22, v22, v30
	v_mul_f32_e32 v30, v27, v37
	v_add_f32_e32 v24, v24, v31
	v_fma_f32 v34, v26, v36, -v30
	ds_read2_b64 v[30:33], v23 offset0:160 offset1:176
	v_mul_f32_e32 v26, v26, v37
	v_fmac_f32_e32 v26, v27, v36
	v_add_f32_e32 v20, v20, v26
	v_add_f32_e32 v18, v18, v34
	s_waitcnt lgkmcnt(0)
	v_mul_f32_e32 v26, v7, v31
	v_mul_f32_e32 v27, v6, v31
	v_fma_f32 v26, v6, v30, -v26
	v_fmac_f32_e32 v27, v7, v30
	v_add_f32_e32 v16, v16, v26
	v_add_f32_e32 v26, v42, v27
	v_mul_f32_e32 v27, v7, v33
	v_fma_f32 v27, v6, v32, -v27
	v_mul_f32_e32 v6, v6, v33
	v_fmac_f32_e32 v6, v7, v32
	v_add_f32_e32 v34, v4, v6
	v_mul_f32_e32 v4, v29, v31
	v_add_f32_e32 v27, v5, v27
	v_fma_f32 v4, v28, v30, -v4
	v_mul_f32_e32 v5, v28, v31
	v_fmac_f32_e32 v5, v29, v30
	v_add_f32_e32 v22, v22, v4
	v_mul_f32_e32 v4, v29, v33
	v_add_f32_e32 v24, v24, v5
	v_fma_f32 v30, v28, v32, -v4
	ds_read2_b64 v[4:7], v23 offset0:192 offset1:208
	v_mul_f32_e32 v28, v28, v33
	v_fmac_f32_e32 v28, v29, v32
	v_add_f32_e32 v20, v20, v28
	v_add_f32_e32 v18, v18, v30
	s_waitcnt lgkmcnt(0)
	v_mul_f32_e32 v28, v1, v5
	v_fma_f32 v28, v0, v4, -v28
	v_add_f32_e32 v16, v16, v28
	v_mul_f32_e32 v28, v1, v7
	v_mul_f32_e32 v29, v0, v5
	v_fma_f32 v28, v0, v6, -v28
	v_mul_f32_e32 v0, v0, v7
	v_fmac_f32_e32 v0, v1, v6
	v_add_f32_e32 v0, v34, v0
	ds_read2_b64 v[34:37], v23 offset0:224 offset1:240
	v_fmac_f32_e32 v29, v1, v4
	v_add_f32_e32 v1, v27, v28
	v_mul_f32_e32 v27, v39, v5
	v_fma_f32 v27, v38, v4, -v27
	v_mul_f32_e32 v5, v38, v5
	v_fmac_f32_e32 v5, v39, v4
	v_add_f32_e32 v4, v22, v27
	v_mul_f32_e32 v22, v39, v7
	v_fma_f32 v22, v38, v6, -v22
	v_mul_f32_e32 v7, v38, v7
	v_fmac_f32_e32 v7, v39, v6
	v_add_f32_e32 v6, v18, v22
	s_waitcnt lgkmcnt(0)
	v_mul_f32_e32 v18, v3, v35
	v_fma_f32 v18, v2, v34, -v18
	v_add_f32_e32 v30, v16, v18
	v_mul_f32_e32 v16, v3, v37
	v_add_f32_e32 v7, v20, v7
	v_mul_f32_e32 v20, v2, v35
	v_fma_f32 v16, v2, v36, -v16
	v_mul_f32_e32 v2, v2, v37
	v_add_f32_e32 v26, v26, v29
	v_fmac_f32_e32 v20, v3, v34
	v_fmac_f32_e32 v2, v3, v36
	v_add_f32_e32 v32, v26, v20
	v_add_f32_e32 v26, v1, v16
	;; [unrolled: 1-line block ×3, first 2 shown]
	v_mul_f32_e32 v0, v41, v35
	v_mul_f32_e32 v1, v40, v35
	v_add_f32_e32 v5, v24, v5
	v_fma_f32 v0, v40, v34, -v0
	v_fmac_f32_e32 v1, v41, v34
	v_add_f32_e32 v22, v4, v0
	v_add_f32_e32 v24, v5, v1
	v_mul_f32_e32 v0, v41, v37
	v_mul_f32_e32 v1, v40, v37
	v_fma_f32 v0, v40, v36, -v0
	v_fmac_f32_e32 v1, v41, v36
	s_addc_u32 s3, s3, 0
	v_add_f32_e32 v18, v6, v0
	v_add_f32_e32 v20, v7, v1
	v_mov_b64_e32 v[0:1], s[2:3]
	v_cmp_gt_i64_e32 vcc, s[8:9], v[0:1]
	s_barrier
	s_cbranch_vccz .LBB515_16
.LBB515_8:                              ; =>This Inner Loop Header: Depth=1
	v_mov_b32_e32 v0, 0
	v_mov_b32_e32 v1, 0
	s_and_saveexec_b64 s[16:17], s[0:1]
	s_cbranch_execz .LBB515_12
; %bb.9:                                ;   in Loop: Header=BB515_8 Depth=1
	v_add_u32_e32 v16, s2, v10
	v_cmp_gt_u64_e32 vcc, s[8:9], v[16:17]
	v_mov_b32_e32 v1, 0
	v_mov_b32_e32 v0, 0
	s_and_saveexec_b64 s[18:19], vcc
	s_cbranch_execz .LBB515_11
; %bb.10:                               ;   in Loop: Header=BB515_8 Depth=1
	v_mad_u64_u32 v[0:1], s[22:23], s14, v16, 0
	v_mov_b32_e32 v2, v1
	v_mad_u64_u32 v[2:3], s[22:23], s15, v16, v[2:3]
	v_mov_b32_e32 v1, v2
	v_lshl_add_u64 v[0:1], v[0:1], 3, v[12:13]
	flat_load_dwordx2 v[0:1], v[0:1]
.LBB515_11:                             ;   in Loop: Header=BB515_8 Depth=1
	s_or_b64 exec, exec, s[18:19]
.LBB515_12:                             ;   in Loop: Header=BB515_8 Depth=1
	s_or_b64 exec, exec, s[16:17]
	v_add_u32_e32 v16, s2, v8
	v_cmp_le_u64_e32 vcc, s[8:9], v[16:17]
	s_or_b64 s[16:17], vcc, s[12:13]
	s_waitcnt vmcnt(0) lgkmcnt(0)
	ds_write_b64 v19, v[0:1]
	s_and_saveexec_b64 s[18:19], s[16:17]
	s_xor_b64 s[16:17], exec, s[18:19]
; %bb.13:                               ;   in Loop: Header=BB515_8 Depth=1
	ds_write_b32 v21, v17
; %bb.14:                               ;   in Loop: Header=BB515_8 Depth=1
	s_or_saveexec_b64 s[16:17], s[16:17]
	v_mov_b32_e32 v0, 0
	s_xor_b64 exec, exec, s[16:17]
	s_cbranch_execz .LBB515_7
; %bb.15:                               ;   in Loop: Header=BB515_8 Depth=1
	v_mad_u64_u32 v[0:1], s[18:19], s20, v16, 0
	v_mov_b32_e32 v2, v1
	v_mad_u64_u32 v[2:3], s[18:19], s21, v16, v[2:3]
	v_mov_b32_e32 v1, v2
	v_lshl_add_u64 v[0:1], v[0:1], 3, v[14:15]
	flat_load_dwordx2 v[2:3], v[0:1]
	s_waitcnt vmcnt(0) lgkmcnt(0)
	v_xor_b32_e32 v0, 0x80000000, v3
	ds_write_b32 v21, v2
	s_branch .LBB515_7
.LBB515_16:
	s_lshl_b64 s[0:1], s[30:31], 3
	v_add_u32_e32 v10, s26, v11
	s_waitcnt lgkmcnt(0)
	s_add_u32 s8, s4, s0
	v_ashrrev_i32_e32 v1, 31, v10
	s_addc_u32 s9, s5, s1
	v_cmp_neq_f32_e64 s[0:1], s6, 0
	s_xor_b64 s[4:5], s[10:11], -1
	v_mul_lo_u32 v1, s28, v1
	v_mul_lo_u32 v4, s29, v10
	v_mad_u64_u32 v[2:3], s[2:3], s28, v10, 0
	v_add_u32_e32 v0, s25, v9
	v_add3_u32 v3, v3, v1, v4
	s_or_b64 s[0:1], s[0:1], s[4:5]
	v_lshl_add_u64 v[4:5], v[2:3], 3, s[8:9]
	v_cmp_le_i32_e32 vcc, v10, v0
	v_cmp_gt_i32_e64 s[2:3], s24, v0
	v_cndmask_b32_e64 v2, 0, 1, s[0:1]
	s_and_b64 s[10:11], vcc, s[2:3]
	v_ashrrev_i32_e32 v1, 31, v0
	v_cmp_ne_u32_e64 s[0:1], 1, v2
	s_and_saveexec_b64 s[4:5], s[10:11]
	s_cbranch_execz .LBB515_20
; %bb.17:
	v_pk_mul_f32 v[6:7], v[32:33], s[34:35] op_sel:[0,1] op_sel_hi:[0,0]
	v_pk_fma_f32 v[2:3], v[30:31], s[34:35], v[6:7] op_sel_hi:[0,1,1] neg_lo:[0,0,1] neg_hi:[0,0,1]
	v_pk_fma_f32 v[8:9], v[30:31], s[34:35], v[6:7] op_sel_hi:[0,1,1]
	s_and_b64 vcc, exec, s[0:1]
	v_lshl_add_u64 v[6:7], v[0:1], 3, v[4:5]
	s_cbranch_vccnz .LBB515_19
; %bb.18:
	flat_load_dwordx2 v[12:13], v[6:7]
	s_mov_b32 s10, s7
	v_mov_b32_e32 v3, v9
	s_waitcnt vmcnt(0) lgkmcnt(0)
	v_pk_mul_f32 v[8:9], v[12:13], s[10:11] op_sel:[1,0] op_sel_hi:[0,0]
	v_pk_fma_f32 v[14:15], v[12:13], s[6:7], v[8:9] neg_lo:[0,0,1] neg_hi:[0,0,1]
	v_pk_fma_f32 v[8:9], v[12:13], s[6:7], v[8:9] op_sel_hi:[1,0,1]
	s_nop 0
	v_mov_b32_e32 v15, v9
	v_pk_add_f32 v[2:3], v[2:3], v[14:15]
	s_nop 0
	v_mov_b32_e32 v9, v3
.LBB515_19:
	v_mov_b32_e32 v3, v9
	flat_store_dwordx2 v[6:7], v[2:3]
.LBB515_20:
	s_or_b64 exec, exec, s[4:5]
	v_add_u32_e32 v2, 16, v0
	v_cmp_le_i32_e32 vcc, v10, v2
	v_cmp_gt_i32_e64 s[4:5], s24, v2
	s_and_b64 s[12:13], vcc, s[4:5]
	v_ashrrev_i32_e32 v3, 31, v2
	s_and_saveexec_b64 s[10:11], s[12:13]
	s_cbranch_execz .LBB515_24
; %bb.21:
	v_pk_mul_f32 v[8:9], v[28:29], s[34:35] op_sel:[0,1] op_sel_hi:[0,0]
	v_pk_fma_f32 v[6:7], v[26:27], s[34:35], v[8:9] op_sel_hi:[0,1,1] neg_lo:[0,0,1] neg_hi:[0,0,1]
	v_pk_fma_f32 v[8:9], v[26:27], s[34:35], v[8:9] op_sel_hi:[0,1,1]
	s_and_b64 vcc, exec, s[0:1]
	v_lshl_add_u64 v[4:5], v[2:3], 3, v[4:5]
	s_cbranch_vccnz .LBB515_23
; %bb.22:
	flat_load_dwordx2 v[12:13], v[4:5]
	s_mov_b32 s12, s7
	v_mov_b32_e32 v7, v9
	s_waitcnt vmcnt(0) lgkmcnt(0)
	v_pk_mul_f32 v[8:9], v[12:13], s[12:13] op_sel:[1,0] op_sel_hi:[0,0]
	v_pk_fma_f32 v[14:15], v[12:13], s[6:7], v[8:9] neg_lo:[0,0,1] neg_hi:[0,0,1]
	v_pk_fma_f32 v[8:9], v[12:13], s[6:7], v[8:9] op_sel_hi:[1,0,1]
	s_nop 0
	v_mov_b32_e32 v15, v9
	v_pk_add_f32 v[6:7], v[6:7], v[14:15]
	s_nop 0
	v_mov_b32_e32 v9, v7
.LBB515_23:
	v_mov_b32_e32 v7, v9
	flat_store_dwordx2 v[4:5], v[6:7]
.LBB515_24:
	s_or_b64 exec, exec, s[10:11]
	v_add_u32_e32 v10, 16, v10
	v_ashrrev_i32_e32 v4, 31, v10
	v_mul_lo_u32 v6, s28, v4
	v_mul_lo_u32 v7, s29, v10
	v_mad_u64_u32 v[4:5], s[10:11], s28, v10, 0
	v_add3_u32 v5, v5, v6, v7
	v_cmp_le_i32_e32 vcc, v10, v0
	v_lshl_add_u64 v[4:5], v[4:5], 3, s[8:9]
	s_and_b64 s[8:9], vcc, s[2:3]
	s_and_saveexec_b64 s[2:3], s[8:9]
	s_cbranch_execz .LBB515_28
; %bb.25:
	v_pk_mul_f32 v[8:9], v[24:25], s[34:35] op_sel:[0,1] op_sel_hi:[0,0]
	v_pk_fma_f32 v[6:7], v[22:23], s[34:35], v[8:9] op_sel_hi:[0,1,1] neg_lo:[0,0,1] neg_hi:[0,0,1]
	v_pk_fma_f32 v[8:9], v[22:23], s[34:35], v[8:9] op_sel_hi:[0,1,1]
	s_and_b64 vcc, exec, s[0:1]
	v_lshl_add_u64 v[0:1], v[0:1], 3, v[4:5]
	s_cbranch_vccnz .LBB515_27
; %bb.26:
	flat_load_dwordx2 v[12:13], v[0:1]
	s_mov_b32 s8, s7
	v_mov_b32_e32 v7, v9
	s_waitcnt vmcnt(0) lgkmcnt(0)
	v_pk_mul_f32 v[8:9], v[12:13], s[8:9] op_sel:[1,0] op_sel_hi:[0,0]
	v_pk_fma_f32 v[14:15], v[12:13], s[6:7], v[8:9] neg_lo:[0,0,1] neg_hi:[0,0,1]
	v_pk_fma_f32 v[8:9], v[12:13], s[6:7], v[8:9] op_sel_hi:[1,0,1]
	s_nop 0
	v_mov_b32_e32 v15, v9
	v_pk_add_f32 v[6:7], v[6:7], v[14:15]
	s_nop 0
	v_mov_b32_e32 v9, v7
.LBB515_27:
	v_mov_b32_e32 v7, v9
	flat_store_dwordx2 v[0:1], v[6:7]
.LBB515_28:
	s_or_b64 exec, exec, s[2:3]
	v_cmp_le_i32_e32 vcc, v10, v2
	s_and_b64 s[2:3], vcc, s[4:5]
	s_and_saveexec_b64 s[4:5], s[2:3]
	s_cbranch_execz .LBB515_32
; %bb.29:
	v_pk_mul_f32 v[6:7], v[20:21], s[34:35] op_sel:[0,1] op_sel_hi:[0,0]
	v_pk_fma_f32 v[0:1], v[18:19], s[34:35], v[6:7] op_sel_hi:[0,1,1] neg_lo:[0,0,1] neg_hi:[0,0,1]
	v_pk_fma_f32 v[6:7], v[18:19], s[34:35], v[6:7] op_sel_hi:[0,1,1]
	s_and_b64 vcc, exec, s[0:1]
	v_lshl_add_u64 v[2:3], v[2:3], 3, v[4:5]
	s_cbranch_vccnz .LBB515_31
; %bb.30:
	flat_load_dwordx2 v[4:5], v[2:3]
	s_mov_b32 s0, s7
	v_mov_b32_e32 v1, v7
	s_waitcnt vmcnt(0) lgkmcnt(0)
	v_pk_mul_f32 v[6:7], v[4:5], s[0:1] op_sel:[1,0] op_sel_hi:[0,0]
	v_pk_fma_f32 v[8:9], v[4:5], s[6:7], v[6:7] neg_lo:[0,0,1] neg_hi:[0,0,1]
	v_pk_fma_f32 v[4:5], v[4:5], s[6:7], v[6:7] op_sel_hi:[1,0,1]
	s_nop 0
	v_mov_b32_e32 v9, v5
	v_pk_add_f32 v[0:1], v[0:1], v[8:9]
	s_nop 0
	v_mov_b32_e32 v7, v1
.LBB515_31:
	v_mov_b32_e32 v1, v7
	flat_store_dwordx2 v[2:3], v[0:1]
.LBB515_32:
	s_endpgm
	.section	.rodata,"a",@progbits
	.p2align	6, 0x0
	.amdhsa_kernel _ZL29rocblas_internal_gemmt_kernelIlLi16ELi32ELi8ELc78ELc67ELc76ELb0ELb1E19rocblas_complex_numIfEPKS1_PKS3_PKPS1_EviT_T9_T10_S9_lSB_S9_lSA_T11_S9_li
		.amdhsa_group_segment_fixed_size 4096
		.amdhsa_private_segment_fixed_size 0
		.amdhsa_kernarg_size 108
		.amdhsa_user_sgpr_count 2
		.amdhsa_user_sgpr_dispatch_ptr 0
		.amdhsa_user_sgpr_queue_ptr 0
		.amdhsa_user_sgpr_kernarg_segment_ptr 1
		.amdhsa_user_sgpr_dispatch_id 0
		.amdhsa_user_sgpr_kernarg_preload_length 0
		.amdhsa_user_sgpr_kernarg_preload_offset 0
		.amdhsa_user_sgpr_private_segment_size 0
		.amdhsa_uses_dynamic_stack 0
		.amdhsa_enable_private_segment 0
		.amdhsa_system_sgpr_workgroup_id_x 1
		.amdhsa_system_sgpr_workgroup_id_y 1
		.amdhsa_system_sgpr_workgroup_id_z 1
		.amdhsa_system_sgpr_workgroup_info 0
		.amdhsa_system_vgpr_workitem_id 1
		.amdhsa_next_free_vgpr 51
		.amdhsa_next_free_sgpr 40
		.amdhsa_accum_offset 52
		.amdhsa_reserve_vcc 1
		.amdhsa_float_round_mode_32 0
		.amdhsa_float_round_mode_16_64 0
		.amdhsa_float_denorm_mode_32 3
		.amdhsa_float_denorm_mode_16_64 3
		.amdhsa_dx10_clamp 1
		.amdhsa_ieee_mode 1
		.amdhsa_fp16_overflow 0
		.amdhsa_tg_split 0
		.amdhsa_exception_fp_ieee_invalid_op 0
		.amdhsa_exception_fp_denorm_src 0
		.amdhsa_exception_fp_ieee_div_zero 0
		.amdhsa_exception_fp_ieee_overflow 0
		.amdhsa_exception_fp_ieee_underflow 0
		.amdhsa_exception_fp_ieee_inexact 0
		.amdhsa_exception_int_div_zero 0
	.end_amdhsa_kernel
	.section	.text._ZL29rocblas_internal_gemmt_kernelIlLi16ELi32ELi8ELc78ELc67ELc76ELb0ELb1E19rocblas_complex_numIfEPKS1_PKS3_PKPS1_EviT_T9_T10_S9_lSB_S9_lSA_T11_S9_li,"axG",@progbits,_ZL29rocblas_internal_gemmt_kernelIlLi16ELi32ELi8ELc78ELc67ELc76ELb0ELb1E19rocblas_complex_numIfEPKS1_PKS3_PKPS1_EviT_T9_T10_S9_lSB_S9_lSA_T11_S9_li,comdat
.Lfunc_end515:
	.size	_ZL29rocblas_internal_gemmt_kernelIlLi16ELi32ELi8ELc78ELc67ELc76ELb0ELb1E19rocblas_complex_numIfEPKS1_PKS3_PKPS1_EviT_T9_T10_S9_lSB_S9_lSA_T11_S9_li, .Lfunc_end515-_ZL29rocblas_internal_gemmt_kernelIlLi16ELi32ELi8ELc78ELc67ELc76ELb0ELb1E19rocblas_complex_numIfEPKS1_PKS3_PKPS1_EviT_T9_T10_S9_lSB_S9_lSA_T11_S9_li
                                        ; -- End function
	.set _ZL29rocblas_internal_gemmt_kernelIlLi16ELi32ELi8ELc78ELc67ELc76ELb0ELb1E19rocblas_complex_numIfEPKS1_PKS3_PKPS1_EviT_T9_T10_S9_lSB_S9_lSA_T11_S9_li.num_vgpr, 51
	.set _ZL29rocblas_internal_gemmt_kernelIlLi16ELi32ELi8ELc78ELc67ELc76ELb0ELb1E19rocblas_complex_numIfEPKS1_PKS3_PKPS1_EviT_T9_T10_S9_lSB_S9_lSA_T11_S9_li.num_agpr, 0
	.set _ZL29rocblas_internal_gemmt_kernelIlLi16ELi32ELi8ELc78ELc67ELc76ELb0ELb1E19rocblas_complex_numIfEPKS1_PKS3_PKPS1_EviT_T9_T10_S9_lSB_S9_lSA_T11_S9_li.numbered_sgpr, 40
	.set _ZL29rocblas_internal_gemmt_kernelIlLi16ELi32ELi8ELc78ELc67ELc76ELb0ELb1E19rocblas_complex_numIfEPKS1_PKS3_PKPS1_EviT_T9_T10_S9_lSB_S9_lSA_T11_S9_li.num_named_barrier, 0
	.set _ZL29rocblas_internal_gemmt_kernelIlLi16ELi32ELi8ELc78ELc67ELc76ELb0ELb1E19rocblas_complex_numIfEPKS1_PKS3_PKPS1_EviT_T9_T10_S9_lSB_S9_lSA_T11_S9_li.private_seg_size, 0
	.set _ZL29rocblas_internal_gemmt_kernelIlLi16ELi32ELi8ELc78ELc67ELc76ELb0ELb1E19rocblas_complex_numIfEPKS1_PKS3_PKPS1_EviT_T9_T10_S9_lSB_S9_lSA_T11_S9_li.uses_vcc, 1
	.set _ZL29rocblas_internal_gemmt_kernelIlLi16ELi32ELi8ELc78ELc67ELc76ELb0ELb1E19rocblas_complex_numIfEPKS1_PKS3_PKPS1_EviT_T9_T10_S9_lSB_S9_lSA_T11_S9_li.uses_flat_scratch, 0
	.set _ZL29rocblas_internal_gemmt_kernelIlLi16ELi32ELi8ELc78ELc67ELc76ELb0ELb1E19rocblas_complex_numIfEPKS1_PKS3_PKPS1_EviT_T9_T10_S9_lSB_S9_lSA_T11_S9_li.has_dyn_sized_stack, 0
	.set _ZL29rocblas_internal_gemmt_kernelIlLi16ELi32ELi8ELc78ELc67ELc76ELb0ELb1E19rocblas_complex_numIfEPKS1_PKS3_PKPS1_EviT_T9_T10_S9_lSB_S9_lSA_T11_S9_li.has_recursion, 0
	.set _ZL29rocblas_internal_gemmt_kernelIlLi16ELi32ELi8ELc78ELc67ELc76ELb0ELb1E19rocblas_complex_numIfEPKS1_PKS3_PKPS1_EviT_T9_T10_S9_lSB_S9_lSA_T11_S9_li.has_indirect_call, 0
	.section	.AMDGPU.csdata,"",@progbits
; Kernel info:
; codeLenInByte = 2544
; TotalNumSgprs: 46
; NumVgprs: 51
; NumAgprs: 0
; TotalNumVgprs: 51
; ScratchSize: 0
; MemoryBound: 0
; FloatMode: 240
; IeeeMode: 1
; LDSByteSize: 4096 bytes/workgroup (compile time only)
; SGPRBlocks: 5
; VGPRBlocks: 6
; NumSGPRsForWavesPerEU: 46
; NumVGPRsForWavesPerEU: 51
; AccumOffset: 52
; Occupancy: 8
; WaveLimiterHint : 1
; COMPUTE_PGM_RSRC2:SCRATCH_EN: 0
; COMPUTE_PGM_RSRC2:USER_SGPR: 2
; COMPUTE_PGM_RSRC2:TRAP_HANDLER: 0
; COMPUTE_PGM_RSRC2:TGID_X_EN: 1
; COMPUTE_PGM_RSRC2:TGID_Y_EN: 1
; COMPUTE_PGM_RSRC2:TGID_Z_EN: 1
; COMPUTE_PGM_RSRC2:TIDIG_COMP_CNT: 1
; COMPUTE_PGM_RSRC3_GFX90A:ACCUM_OFFSET: 12
; COMPUTE_PGM_RSRC3_GFX90A:TG_SPLIT: 0
	.section	.text._ZL29rocblas_internal_gemmt_kernelIlLi16ELi32ELi8ELc84ELc78ELc76ELb0ELb0E19rocblas_complex_numIfEPKS1_PKS3_PKPS1_EviT_T9_T10_S9_lSB_S9_lSA_T11_S9_li,"axG",@progbits,_ZL29rocblas_internal_gemmt_kernelIlLi16ELi32ELi8ELc84ELc78ELc76ELb0ELb0E19rocblas_complex_numIfEPKS1_PKS3_PKPS1_EviT_T9_T10_S9_lSB_S9_lSA_T11_S9_li,comdat
	.globl	_ZL29rocblas_internal_gemmt_kernelIlLi16ELi32ELi8ELc84ELc78ELc76ELb0ELb0E19rocblas_complex_numIfEPKS1_PKS3_PKPS1_EviT_T9_T10_S9_lSB_S9_lSA_T11_S9_li ; -- Begin function _ZL29rocblas_internal_gemmt_kernelIlLi16ELi32ELi8ELc84ELc78ELc76ELb0ELb0E19rocblas_complex_numIfEPKS1_PKS3_PKPS1_EviT_T9_T10_S9_lSB_S9_lSA_T11_S9_li
	.p2align	8
	.type	_ZL29rocblas_internal_gemmt_kernelIlLi16ELi32ELi8ELc84ELc78ELc76ELb0ELb0E19rocblas_complex_numIfEPKS1_PKS3_PKPS1_EviT_T9_T10_S9_lSB_S9_lSA_T11_S9_li,@function
_ZL29rocblas_internal_gemmt_kernelIlLi16ELi32ELi8ELc84ELc78ELc76ELb0ELb0E19rocblas_complex_numIfEPKS1_PKS3_PKPS1_EviT_T9_T10_S9_lSB_S9_lSA_T11_S9_li: ; @_ZL29rocblas_internal_gemmt_kernelIlLi16ELi32ELi8ELc84ELc78ELc76ELb0ELb0E19rocblas_complex_numIfEPKS1_PKS3_PKPS1_EviT_T9_T10_S9_lSB_S9_lSA_T11_S9_li
; %bb.0:
	s_load_dwordx8 s[24:31], s[0:1], 0x48
	s_load_dwordx16 s[8:23], s[0:1], 0x8
	s_waitcnt lgkmcnt(0)
	s_load_dwordx2 s[6:7], s[24:25], 0x0
	s_load_dwordx2 s[34:35], s[10:11], 0x0
	s_waitcnt lgkmcnt(0)
	s_and_b32 s5, s7, 0x7fffffff
	s_cmp_eq_u32 s5, 0
	v_cmp_eq_f32_e64 s[24:25], s6, 1.0
	s_cselect_b64 s[10:11], -1, 0
	s_and_b64 s[24:25], s[24:25], s[10:11]
	s_and_b64 vcc, exec, s[24:25]
	s_cbranch_vccnz .LBB516_2
; %bb.1:
	s_mov_b64 s[24:25], -1
	s_cbranch_execz .LBB516_3
	s_branch .LBB516_4
.LBB516_2:
	s_mov_b64 s[24:25], 0
.LBB516_3:
	s_cmp_lg_u64 s[8:9], 0
	v_cmp_neq_f32_e64 s[36:37], s34, 0
	v_cmp_neq_f32_e64 s[38:39], s35, 0
	s_cselect_b64 s[24:25], -1, 0
	s_or_b64 s[36:37], s[36:37], s[38:39]
	s_and_b64 s[24:25], s[24:25], s[36:37]
.LBB516_4:
	s_andn2_b64 vcc, exec, s[24:25]
	s_cbranch_vccnz .LBB516_30
; %bb.5:
	s_mov_b32 s5, 0
	s_load_dword s24, s[0:1], 0x0
	s_lshl_b64 s[0:1], s[4:5], 3
	s_add_u32 s4, s26, s0
	s_addc_u32 s5, s27, s1
	s_load_dwordx2 s[4:5], s[4:5], 0x0
	s_lshl_b32 s25, s2, 5
	s_lshl_b32 s26, s3, 5
	v_cmp_eq_f32_e64 s[2:3], s34, 0
	v_cmp_eq_f32_e64 s[36:37], s35, 0
	s_and_b64 s[2:3], s[2:3], s[36:37]
	v_cmp_lt_i64_e64 s[36:37], s[8:9], 1
	s_or_b64 s[2:3], s[2:3], s[36:37]
	v_and_b32_e32 v9, 0x3ff, v0
	v_bfe_u32 v11, v0, 10, 10
	v_mov_b32_e32 v30, 0
	s_and_b64 vcc, exec, s[2:3]
	v_mov_b32_e32 v32, 0
	v_mov_b32_e32 v26, 0
	;; [unrolled: 1-line block ×7, first 2 shown]
	s_cbranch_vccnz .LBB516_14
; %bb.6:
	s_add_u32 s2, s18, s0
	s_addc_u32 s3, s19, s1
	s_load_dwordx2 s[2:3], s[2:3], 0x0
	s_lshl_b64 s[18:19], s[22:23], 3
	v_lshl_add_u32 v0, v11, 4, v9
	v_lshrrev_b32_e32 v10, 5, v0
	v_lshrrev_b32_e32 v2, 3, v0
	s_waitcnt lgkmcnt(0)
	s_add_u32 s18, s2, s18
	s_addc_u32 s19, s3, s19
	s_add_u32 s0, s12, s0
	s_addc_u32 s1, s13, s1
	s_load_dwordx2 s[0:1], s[0:1], 0x0
	v_and_b32_e32 v0, 31, v0
	s_lshl_b64 s[2:3], s[16:17], 3
	v_or_b32_e32 v1, s25, v0
	v_lshlrev_b32_e32 v0, 3, v0
	s_waitcnt lgkmcnt(0)
	s_add_u32 s2, s0, s2
	s_addc_u32 s3, s1, s3
	v_cmp_gt_i32_e64 s[0:1], s24, v1
	v_lshl_or_b32 v19, v10, 8, v0
	s_ashr_i32 s16, s25, 31
	v_mul_lo_u32 v4, s15, v1
	v_mad_u64_u32 v[0:1], s[12:13], s14, v1, 0
	s_mul_i32 s12, s14, s16
	v_and_b32_e32 v8, 7, v9
	v_add3_u32 v1, v1, s12, v4
	v_lshl_add_u64 v[12:13], v[0:1], 3, s[2:3]
	v_lshlrev_b32_e32 v0, 3, v8
	v_add_u32_e32 v3, s26, v2
	v_lshl_or_b32 v0, v2, 6, v0
	v_add_u32_e32 v21, 0x800, v0
	v_ashrrev_i32_e32 v0, 31, v3
	v_mul_lo_u32 v2, s20, v0
	v_mul_lo_u32 v4, s21, v3
	v_mad_u64_u32 v[0:1], s[12:13], s20, v3, 0
	v_add3_u32 v1, v1, v2, v4
	v_lshl_add_u64 v[14:15], v[0:1], 3, s[18:19]
	v_mov_b32_e32 v0, 0x800
	v_cmp_gt_i32_e64 s[2:3], s24, v3
	v_lshlrev_b32_e32 v23, 3, v9
	v_lshl_add_u32 v25, v11, 6, v0
	v_mov_b32_e32 v17, 0
	s_mov_b64 s[12:13], 0
	v_mov_b32_e32 v20, 0
	v_mov_b32_e32 v18, 0
	;; [unrolled: 1-line block ×8, first 2 shown]
	s_branch .LBB516_8
.LBB516_7:                              ;   in Loop: Header=BB516_8 Depth=1
	s_or_b64 exec, exec, s[14:15]
	s_waitcnt vmcnt(0) lgkmcnt(0)
	ds_write_b64 v21, v[0:1]
	s_waitcnt lgkmcnt(0)
	s_barrier
	ds_read2_b64 v[34:37], v23 offset1:16
	ds_read_b128 v[38:41], v25
	ds_read_b128 v[42:45], v25 offset:16
	ds_read_b128 v[4:7], v25 offset:32
	ds_read_b128 v[0:3], v25 offset:48
	s_add_u32 s12, s12, 8
	s_waitcnt lgkmcnt(3)
	v_mul_f32_e32 v16, v39, v35
	v_mul_f32_e32 v27, v38, v35
	v_fma_f32 v16, v38, v34, -v16
	v_fmac_f32_e32 v27, v39, v34
	v_add_f32_e32 v16, v30, v16
	v_add_f32_e32 v50, v32, v27
	ds_read_b128 v[30:33], v25 offset:1024
	v_mul_f32_e32 v27, v39, v37
	v_mul_f32_e32 v29, v38, v37
	v_fma_f32 v27, v38, v36, -v27
	v_fmac_f32_e32 v29, v39, v36
	v_add_f32_e32 v38, v26, v27
	v_add_f32_e32 v39, v28, v29
	ds_read_b128 v[26:29], v25 offset:1040
	s_waitcnt lgkmcnt(1)
	v_mul_f32_e32 v46, v31, v35
	v_fma_f32 v46, v30, v34, -v46
	v_add_f32_e32 v22, v22, v46
	ds_read2_b64 v[46:49], v23 offset0:32 offset1:48
	v_mul_f32_e32 v35, v30, v35
	v_fmac_f32_e32 v35, v31, v34
	v_mul_f32_e32 v34, v31, v37
	v_fma_f32 v34, v30, v36, -v34
	v_mul_f32_e32 v30, v30, v37
	v_fmac_f32_e32 v30, v31, v36
	v_add_f32_e32 v20, v20, v30
	s_waitcnt lgkmcnt(0)
	v_mul_f32_e32 v30, v41, v47
	v_mul_f32_e32 v31, v40, v47
	v_fma_f32 v30, v40, v46, -v30
	v_fmac_f32_e32 v31, v41, v46
	v_add_f32_e32 v18, v18, v34
	v_add_f32_e32 v16, v16, v30
	;; [unrolled: 1-line block ×3, first 2 shown]
	v_mul_f32_e32 v31, v41, v49
	v_mul_f32_e32 v34, v40, v49
	v_fma_f32 v31, v40, v48, -v31
	v_fmac_f32_e32 v34, v41, v48
	v_add_f32_e32 v31, v38, v31
	v_add_f32_e32 v38, v39, v34
	v_mul_f32_e32 v34, v33, v47
	v_add_f32_e32 v24, v24, v35
	v_fma_f32 v34, v32, v46, -v34
	v_mul_f32_e32 v35, v32, v47
	v_fmac_f32_e32 v35, v33, v46
	v_add_f32_e32 v22, v22, v34
	v_mul_f32_e32 v34, v33, v49
	v_add_f32_e32 v24, v24, v35
	v_fma_f32 v39, v32, v48, -v34
	ds_read2_b64 v[34:37], v23 offset0:64 offset1:80
	v_mul_f32_e32 v32, v32, v49
	v_fmac_f32_e32 v32, v33, v48
	v_add_f32_e32 v18, v18, v39
	v_add_f32_e32 v20, v20, v32
	s_waitcnt lgkmcnt(0)
	v_mul_f32_e32 v33, v42, v35
	v_fmac_f32_e32 v33, v43, v34
	v_add_f32_e32 v39, v30, v33
	v_mul_f32_e32 v30, v43, v37
	v_mul_f32_e32 v32, v43, v35
	v_fma_f32 v30, v42, v36, -v30
	v_fma_f32 v32, v42, v34, -v32
	v_add_f32_e32 v40, v31, v30
	v_mul_f32_e32 v30, v27, v35
	v_add_f32_e32 v16, v16, v32
	v_mul_f32_e32 v32, v42, v37
	v_fma_f32 v30, v26, v34, -v30
	v_mul_f32_e32 v31, v26, v35
	v_fmac_f32_e32 v32, v43, v36
	v_fmac_f32_e32 v31, v27, v34
	v_add_f32_e32 v22, v22, v30
	v_mul_f32_e32 v30, v27, v37
	v_add_f32_e32 v38, v38, v32
	v_add_f32_e32 v24, v24, v31
	v_fma_f32 v34, v26, v36, -v30
	ds_read2_b64 v[30:33], v23 offset0:96 offset1:112
	v_mul_f32_e32 v26, v26, v37
	v_fmac_f32_e32 v26, v27, v36
	v_add_f32_e32 v20, v20, v26
	v_add_f32_e32 v18, v18, v34
	s_waitcnt lgkmcnt(0)
	v_mul_f32_e32 v26, v45, v31
	v_mul_f32_e32 v27, v44, v31
	v_fma_f32 v26, v44, v30, -v26
	v_fmac_f32_e32 v27, v45, v30
	v_add_f32_e32 v16, v16, v26
	v_add_f32_e32 v26, v39, v27
	v_mul_f32_e32 v27, v45, v33
	v_mul_f32_e32 v34, v44, v33
	v_fma_f32 v27, v44, v32, -v27
	v_fmac_f32_e32 v34, v45, v32
	v_add_f32_e32 v39, v40, v27
	v_add_f32_e32 v38, v38, v34
	v_mul_f32_e32 v27, v29, v31
	ds_read2_b64 v[34:37], v23 offset0:128 offset1:144
	v_fma_f32 v27, v28, v30, -v27
	v_add_f32_e32 v22, v22, v27
	v_mul_f32_e32 v27, v29, v33
	v_mul_f32_e32 v31, v28, v31
	v_fma_f32 v27, v28, v32, -v27
	v_mul_f32_e32 v28, v28, v33
	v_fmac_f32_e32 v28, v29, v32
	v_add_f32_e32 v20, v20, v28
	s_waitcnt lgkmcnt(0)
	v_mul_f32_e32 v28, v4, v35
	v_add_f32_e32 v18, v18, v27
	v_mul_f32_e32 v27, v5, v35
	v_fmac_f32_e32 v28, v5, v34
	v_fma_f32 v27, v4, v34, -v27
	v_add_f32_e32 v42, v26, v28
	v_mul_f32_e32 v26, v5, v37
	v_fmac_f32_e32 v31, v29, v30
	v_add_f32_e32 v16, v16, v27
	v_fma_f32 v30, v4, v36, -v26
	ds_read_b128 v[26:29], v25 offset:1056
	v_mul_f32_e32 v4, v4, v37
	v_fmac_f32_e32 v4, v5, v36
	v_add_f32_e32 v5, v39, v30
	v_add_f32_e32 v4, v38, v4
	ds_read_b128 v[38:41], v25 offset:1072
	s_waitcnt lgkmcnt(1)
	v_mul_f32_e32 v30, v27, v35
	v_add_f32_e32 v24, v24, v31
	v_fma_f32 v30, v26, v34, -v30
	v_mul_f32_e32 v31, v26, v35
	v_fmac_f32_e32 v31, v27, v34
	v_add_f32_e32 v22, v22, v30
	v_mul_f32_e32 v30, v27, v37
	v_add_f32_e32 v24, v24, v31
	v_fma_f32 v34, v26, v36, -v30
	ds_read2_b64 v[30:33], v23 offset0:160 offset1:176
	v_mul_f32_e32 v26, v26, v37
	v_fmac_f32_e32 v26, v27, v36
	v_add_f32_e32 v20, v20, v26
	v_add_f32_e32 v18, v18, v34
	s_waitcnt lgkmcnt(0)
	v_mul_f32_e32 v26, v7, v31
	v_mul_f32_e32 v27, v6, v31
	v_fma_f32 v26, v6, v30, -v26
	v_fmac_f32_e32 v27, v7, v30
	v_add_f32_e32 v16, v16, v26
	v_add_f32_e32 v26, v42, v27
	v_mul_f32_e32 v27, v7, v33
	v_fma_f32 v27, v6, v32, -v27
	v_mul_f32_e32 v6, v6, v33
	v_fmac_f32_e32 v6, v7, v32
	v_add_f32_e32 v34, v4, v6
	v_mul_f32_e32 v4, v29, v31
	v_add_f32_e32 v27, v5, v27
	v_fma_f32 v4, v28, v30, -v4
	v_mul_f32_e32 v5, v28, v31
	v_fmac_f32_e32 v5, v29, v30
	v_add_f32_e32 v22, v22, v4
	v_mul_f32_e32 v4, v29, v33
	v_add_f32_e32 v24, v24, v5
	v_fma_f32 v30, v28, v32, -v4
	ds_read2_b64 v[4:7], v23 offset0:192 offset1:208
	v_mul_f32_e32 v28, v28, v33
	v_fmac_f32_e32 v28, v29, v32
	v_add_f32_e32 v20, v20, v28
	v_add_f32_e32 v18, v18, v30
	s_waitcnt lgkmcnt(0)
	v_mul_f32_e32 v28, v1, v5
	v_fma_f32 v28, v0, v4, -v28
	v_add_f32_e32 v16, v16, v28
	v_mul_f32_e32 v28, v1, v7
	v_mul_f32_e32 v29, v0, v5
	v_fma_f32 v28, v0, v6, -v28
	v_mul_f32_e32 v0, v0, v7
	v_fmac_f32_e32 v0, v1, v6
	v_add_f32_e32 v0, v34, v0
	ds_read2_b64 v[34:37], v23 offset0:224 offset1:240
	v_fmac_f32_e32 v29, v1, v4
	v_add_f32_e32 v1, v27, v28
	v_mul_f32_e32 v27, v39, v5
	v_fma_f32 v27, v38, v4, -v27
	v_mul_f32_e32 v5, v38, v5
	v_fmac_f32_e32 v5, v39, v4
	v_add_f32_e32 v4, v22, v27
	v_mul_f32_e32 v22, v39, v7
	v_fma_f32 v22, v38, v6, -v22
	v_mul_f32_e32 v7, v38, v7
	v_fmac_f32_e32 v7, v39, v6
	v_add_f32_e32 v6, v18, v22
	s_waitcnt lgkmcnt(0)
	v_mul_f32_e32 v18, v3, v35
	v_fma_f32 v18, v2, v34, -v18
	v_add_f32_e32 v30, v16, v18
	v_mul_f32_e32 v16, v3, v37
	v_add_f32_e32 v7, v20, v7
	v_mul_f32_e32 v20, v2, v35
	v_fma_f32 v16, v2, v36, -v16
	v_mul_f32_e32 v2, v2, v37
	v_add_f32_e32 v26, v26, v29
	v_fmac_f32_e32 v20, v3, v34
	v_fmac_f32_e32 v2, v3, v36
	v_add_f32_e32 v32, v26, v20
	v_add_f32_e32 v26, v1, v16
	;; [unrolled: 1-line block ×3, first 2 shown]
	v_mul_f32_e32 v0, v41, v35
	v_mul_f32_e32 v1, v40, v35
	v_add_f32_e32 v5, v24, v5
	v_fma_f32 v0, v40, v34, -v0
	v_fmac_f32_e32 v1, v41, v34
	v_add_f32_e32 v22, v4, v0
	v_add_f32_e32 v24, v5, v1
	v_mul_f32_e32 v0, v41, v37
	v_mul_f32_e32 v1, v40, v37
	v_fma_f32 v0, v40, v36, -v0
	v_fmac_f32_e32 v1, v41, v36
	s_addc_u32 s13, s13, 0
	v_add_f32_e32 v18, v6, v0
	v_add_f32_e32 v20, v7, v1
	v_mov_b64_e32 v[0:1], s[12:13]
	v_cmp_gt_i64_e32 vcc, s[8:9], v[0:1]
	s_barrier
	s_cbranch_vccz .LBB516_14
.LBB516_8:                              ; =>This Inner Loop Header: Depth=1
	v_mov_b32_e32 v0, 0
	v_mov_b32_e32 v1, 0
	s_and_saveexec_b64 s[14:15], s[0:1]
	s_cbranch_execz .LBB516_12
; %bb.9:                                ;   in Loop: Header=BB516_8 Depth=1
	v_add_u32_e32 v16, s12, v10
	v_cmp_gt_u64_e32 vcc, s[8:9], v[16:17]
	v_mov_b32_e32 v1, 0
	v_mov_b32_e32 v0, 0
	s_and_saveexec_b64 s[16:17], vcc
	s_cbranch_execz .LBB516_11
; %bb.10:                               ;   in Loop: Header=BB516_8 Depth=1
	v_lshl_add_u64 v[0:1], v[16:17], 3, v[12:13]
	flat_load_dwordx2 v[0:1], v[0:1]
.LBB516_11:                             ;   in Loop: Header=BB516_8 Depth=1
	s_or_b64 exec, exec, s[16:17]
.LBB516_12:                             ;   in Loop: Header=BB516_8 Depth=1
	s_or_b64 exec, exec, s[14:15]
	v_add_u32_e32 v16, s12, v8
	v_cmp_gt_u64_e32 vcc, s[8:9], v[16:17]
	s_waitcnt vmcnt(0) lgkmcnt(0)
	ds_write_b64 v19, v[0:1]
	s_and_b64 s[16:17], vcc, s[2:3]
	v_mov_b32_e32 v0, 0
	v_mov_b32_e32 v1, 0
	s_and_saveexec_b64 s[14:15], s[16:17]
	s_cbranch_execz .LBB516_7
; %bb.13:                               ;   in Loop: Header=BB516_8 Depth=1
	v_lshl_add_u64 v[0:1], v[16:17], 3, v[14:15]
	flat_load_dwordx2 v[0:1], v[0:1]
	s_branch .LBB516_7
.LBB516_14:
	s_lshl_b64 s[0:1], s[30:31], 3
	v_add_u32_e32 v10, s26, v11
	s_waitcnt lgkmcnt(0)
	s_add_u32 s8, s4, s0
	v_ashrrev_i32_e32 v1, 31, v10
	s_addc_u32 s9, s5, s1
	v_cmp_neq_f32_e64 s[0:1], s6, 0
	s_xor_b64 s[4:5], s[10:11], -1
	v_mul_lo_u32 v1, s28, v1
	v_mul_lo_u32 v4, s29, v10
	v_mad_u64_u32 v[2:3], s[2:3], s28, v10, 0
	v_add_u32_e32 v0, s25, v9
	v_add3_u32 v3, v3, v1, v4
	s_or_b64 s[0:1], s[0:1], s[4:5]
	v_lshl_add_u64 v[4:5], v[2:3], 3, s[8:9]
	v_cmp_le_i32_e32 vcc, v10, v0
	v_cmp_gt_i32_e64 s[2:3], s24, v0
	v_cndmask_b32_e64 v2, 0, 1, s[0:1]
	s_and_b64 s[10:11], vcc, s[2:3]
	v_ashrrev_i32_e32 v1, 31, v0
	v_cmp_ne_u32_e64 s[0:1], 1, v2
	s_and_saveexec_b64 s[4:5], s[10:11]
	s_cbranch_execz .LBB516_18
; %bb.15:
	v_pk_mul_f32 v[6:7], v[32:33], s[34:35] op_sel:[0,1] op_sel_hi:[0,0]
	v_pk_fma_f32 v[2:3], v[30:31], s[34:35], v[6:7] op_sel_hi:[0,1,1] neg_lo:[0,0,1] neg_hi:[0,0,1]
	v_pk_fma_f32 v[8:9], v[30:31], s[34:35], v[6:7] op_sel_hi:[0,1,1]
	s_and_b64 vcc, exec, s[0:1]
	v_lshl_add_u64 v[6:7], v[0:1], 3, v[4:5]
	s_cbranch_vccnz .LBB516_17
; %bb.16:
	flat_load_dwordx2 v[12:13], v[6:7]
	s_mov_b32 s10, s7
	v_mov_b32_e32 v3, v9
	s_waitcnt vmcnt(0) lgkmcnt(0)
	v_pk_mul_f32 v[8:9], v[12:13], s[10:11] op_sel:[1,0] op_sel_hi:[0,0]
	v_pk_fma_f32 v[14:15], v[12:13], s[6:7], v[8:9] neg_lo:[0,0,1] neg_hi:[0,0,1]
	v_pk_fma_f32 v[8:9], v[12:13], s[6:7], v[8:9] op_sel_hi:[1,0,1]
	s_nop 0
	v_mov_b32_e32 v15, v9
	v_pk_add_f32 v[2:3], v[2:3], v[14:15]
	s_nop 0
	v_mov_b32_e32 v9, v3
.LBB516_17:
	v_mov_b32_e32 v3, v9
	flat_store_dwordx2 v[6:7], v[2:3]
.LBB516_18:
	s_or_b64 exec, exec, s[4:5]
	v_add_u32_e32 v2, 16, v0
	v_cmp_le_i32_e32 vcc, v10, v2
	v_cmp_gt_i32_e64 s[4:5], s24, v2
	s_and_b64 s[12:13], vcc, s[4:5]
	v_ashrrev_i32_e32 v3, 31, v2
	s_and_saveexec_b64 s[10:11], s[12:13]
	s_cbranch_execz .LBB516_22
; %bb.19:
	v_pk_mul_f32 v[8:9], v[28:29], s[34:35] op_sel:[0,1] op_sel_hi:[0,0]
	v_pk_fma_f32 v[6:7], v[26:27], s[34:35], v[8:9] op_sel_hi:[0,1,1] neg_lo:[0,0,1] neg_hi:[0,0,1]
	v_pk_fma_f32 v[8:9], v[26:27], s[34:35], v[8:9] op_sel_hi:[0,1,1]
	s_and_b64 vcc, exec, s[0:1]
	v_lshl_add_u64 v[4:5], v[2:3], 3, v[4:5]
	s_cbranch_vccnz .LBB516_21
; %bb.20:
	flat_load_dwordx2 v[12:13], v[4:5]
	s_mov_b32 s12, s7
	v_mov_b32_e32 v7, v9
	s_waitcnt vmcnt(0) lgkmcnt(0)
	v_pk_mul_f32 v[8:9], v[12:13], s[12:13] op_sel:[1,0] op_sel_hi:[0,0]
	v_pk_fma_f32 v[14:15], v[12:13], s[6:7], v[8:9] neg_lo:[0,0,1] neg_hi:[0,0,1]
	v_pk_fma_f32 v[8:9], v[12:13], s[6:7], v[8:9] op_sel_hi:[1,0,1]
	s_nop 0
	v_mov_b32_e32 v15, v9
	v_pk_add_f32 v[6:7], v[6:7], v[14:15]
	s_nop 0
	v_mov_b32_e32 v9, v7
.LBB516_21:
	v_mov_b32_e32 v7, v9
	flat_store_dwordx2 v[4:5], v[6:7]
.LBB516_22:
	s_or_b64 exec, exec, s[10:11]
	v_add_u32_e32 v10, 16, v10
	v_ashrrev_i32_e32 v4, 31, v10
	v_mul_lo_u32 v6, s28, v4
	v_mul_lo_u32 v7, s29, v10
	v_mad_u64_u32 v[4:5], s[10:11], s28, v10, 0
	v_add3_u32 v5, v5, v6, v7
	v_cmp_le_i32_e32 vcc, v10, v0
	v_lshl_add_u64 v[4:5], v[4:5], 3, s[8:9]
	s_and_b64 s[8:9], vcc, s[2:3]
	s_and_saveexec_b64 s[2:3], s[8:9]
	s_cbranch_execz .LBB516_26
; %bb.23:
	v_pk_mul_f32 v[8:9], v[24:25], s[34:35] op_sel:[0,1] op_sel_hi:[0,0]
	v_pk_fma_f32 v[6:7], v[22:23], s[34:35], v[8:9] op_sel_hi:[0,1,1] neg_lo:[0,0,1] neg_hi:[0,0,1]
	v_pk_fma_f32 v[8:9], v[22:23], s[34:35], v[8:9] op_sel_hi:[0,1,1]
	s_and_b64 vcc, exec, s[0:1]
	v_lshl_add_u64 v[0:1], v[0:1], 3, v[4:5]
	s_cbranch_vccnz .LBB516_25
; %bb.24:
	flat_load_dwordx2 v[12:13], v[0:1]
	s_mov_b32 s8, s7
	v_mov_b32_e32 v7, v9
	s_waitcnt vmcnt(0) lgkmcnt(0)
	v_pk_mul_f32 v[8:9], v[12:13], s[8:9] op_sel:[1,0] op_sel_hi:[0,0]
	v_pk_fma_f32 v[14:15], v[12:13], s[6:7], v[8:9] neg_lo:[0,0,1] neg_hi:[0,0,1]
	v_pk_fma_f32 v[8:9], v[12:13], s[6:7], v[8:9] op_sel_hi:[1,0,1]
	s_nop 0
	v_mov_b32_e32 v15, v9
	v_pk_add_f32 v[6:7], v[6:7], v[14:15]
	s_nop 0
	v_mov_b32_e32 v9, v7
.LBB516_25:
	v_mov_b32_e32 v7, v9
	flat_store_dwordx2 v[0:1], v[6:7]
.LBB516_26:
	s_or_b64 exec, exec, s[2:3]
	v_cmp_le_i32_e32 vcc, v10, v2
	s_and_b64 s[2:3], vcc, s[4:5]
	s_and_saveexec_b64 s[4:5], s[2:3]
	s_cbranch_execz .LBB516_30
; %bb.27:
	v_pk_mul_f32 v[6:7], v[20:21], s[34:35] op_sel:[0,1] op_sel_hi:[0,0]
	v_pk_fma_f32 v[0:1], v[18:19], s[34:35], v[6:7] op_sel_hi:[0,1,1] neg_lo:[0,0,1] neg_hi:[0,0,1]
	v_pk_fma_f32 v[6:7], v[18:19], s[34:35], v[6:7] op_sel_hi:[0,1,1]
	s_and_b64 vcc, exec, s[0:1]
	v_lshl_add_u64 v[2:3], v[2:3], 3, v[4:5]
	s_cbranch_vccnz .LBB516_29
; %bb.28:
	flat_load_dwordx2 v[4:5], v[2:3]
	s_mov_b32 s0, s7
	v_mov_b32_e32 v1, v7
	s_waitcnt vmcnt(0) lgkmcnt(0)
	v_pk_mul_f32 v[6:7], v[4:5], s[0:1] op_sel:[1,0] op_sel_hi:[0,0]
	v_pk_fma_f32 v[8:9], v[4:5], s[6:7], v[6:7] neg_lo:[0,0,1] neg_hi:[0,0,1]
	v_pk_fma_f32 v[4:5], v[4:5], s[6:7], v[6:7] op_sel_hi:[1,0,1]
	s_nop 0
	v_mov_b32_e32 v9, v5
	v_pk_add_f32 v[0:1], v[0:1], v[8:9]
	s_nop 0
	v_mov_b32_e32 v7, v1
.LBB516_29:
	v_mov_b32_e32 v1, v7
	flat_store_dwordx2 v[2:3], v[0:1]
.LBB516_30:
	s_endpgm
	.section	.rodata,"a",@progbits
	.p2align	6, 0x0
	.amdhsa_kernel _ZL29rocblas_internal_gemmt_kernelIlLi16ELi32ELi8ELc84ELc78ELc76ELb0ELb0E19rocblas_complex_numIfEPKS1_PKS3_PKPS1_EviT_T9_T10_S9_lSB_S9_lSA_T11_S9_li
		.amdhsa_group_segment_fixed_size 4096
		.amdhsa_private_segment_fixed_size 0
		.amdhsa_kernarg_size 108
		.amdhsa_user_sgpr_count 2
		.amdhsa_user_sgpr_dispatch_ptr 0
		.amdhsa_user_sgpr_queue_ptr 0
		.amdhsa_user_sgpr_kernarg_segment_ptr 1
		.amdhsa_user_sgpr_dispatch_id 0
		.amdhsa_user_sgpr_kernarg_preload_length 0
		.amdhsa_user_sgpr_kernarg_preload_offset 0
		.amdhsa_user_sgpr_private_segment_size 0
		.amdhsa_uses_dynamic_stack 0
		.amdhsa_enable_private_segment 0
		.amdhsa_system_sgpr_workgroup_id_x 1
		.amdhsa_system_sgpr_workgroup_id_y 1
		.amdhsa_system_sgpr_workgroup_id_z 1
		.amdhsa_system_sgpr_workgroup_info 0
		.amdhsa_system_vgpr_workitem_id 1
		.amdhsa_next_free_vgpr 51
		.amdhsa_next_free_sgpr 40
		.amdhsa_accum_offset 52
		.amdhsa_reserve_vcc 1
		.amdhsa_float_round_mode_32 0
		.amdhsa_float_round_mode_16_64 0
		.amdhsa_float_denorm_mode_32 3
		.amdhsa_float_denorm_mode_16_64 3
		.amdhsa_dx10_clamp 1
		.amdhsa_ieee_mode 1
		.amdhsa_fp16_overflow 0
		.amdhsa_tg_split 0
		.amdhsa_exception_fp_ieee_invalid_op 0
		.amdhsa_exception_fp_denorm_src 0
		.amdhsa_exception_fp_ieee_div_zero 0
		.amdhsa_exception_fp_ieee_overflow 0
		.amdhsa_exception_fp_ieee_underflow 0
		.amdhsa_exception_fp_ieee_inexact 0
		.amdhsa_exception_int_div_zero 0
	.end_amdhsa_kernel
	.section	.text._ZL29rocblas_internal_gemmt_kernelIlLi16ELi32ELi8ELc84ELc78ELc76ELb0ELb0E19rocblas_complex_numIfEPKS1_PKS3_PKPS1_EviT_T9_T10_S9_lSB_S9_lSA_T11_S9_li,"axG",@progbits,_ZL29rocblas_internal_gemmt_kernelIlLi16ELi32ELi8ELc84ELc78ELc76ELb0ELb0E19rocblas_complex_numIfEPKS1_PKS3_PKPS1_EviT_T9_T10_S9_lSB_S9_lSA_T11_S9_li,comdat
.Lfunc_end516:
	.size	_ZL29rocblas_internal_gemmt_kernelIlLi16ELi32ELi8ELc84ELc78ELc76ELb0ELb0E19rocblas_complex_numIfEPKS1_PKS3_PKPS1_EviT_T9_T10_S9_lSB_S9_lSA_T11_S9_li, .Lfunc_end516-_ZL29rocblas_internal_gemmt_kernelIlLi16ELi32ELi8ELc84ELc78ELc76ELb0ELb0E19rocblas_complex_numIfEPKS1_PKS3_PKPS1_EviT_T9_T10_S9_lSB_S9_lSA_T11_S9_li
                                        ; -- End function
	.set _ZL29rocblas_internal_gemmt_kernelIlLi16ELi32ELi8ELc84ELc78ELc76ELb0ELb0E19rocblas_complex_numIfEPKS1_PKS3_PKPS1_EviT_T9_T10_S9_lSB_S9_lSA_T11_S9_li.num_vgpr, 51
	.set _ZL29rocblas_internal_gemmt_kernelIlLi16ELi32ELi8ELc84ELc78ELc76ELb0ELb0E19rocblas_complex_numIfEPKS1_PKS3_PKPS1_EviT_T9_T10_S9_lSB_S9_lSA_T11_S9_li.num_agpr, 0
	.set _ZL29rocblas_internal_gemmt_kernelIlLi16ELi32ELi8ELc84ELc78ELc76ELb0ELb0E19rocblas_complex_numIfEPKS1_PKS3_PKPS1_EviT_T9_T10_S9_lSB_S9_lSA_T11_S9_li.numbered_sgpr, 40
	.set _ZL29rocblas_internal_gemmt_kernelIlLi16ELi32ELi8ELc84ELc78ELc76ELb0ELb0E19rocblas_complex_numIfEPKS1_PKS3_PKPS1_EviT_T9_T10_S9_lSB_S9_lSA_T11_S9_li.num_named_barrier, 0
	.set _ZL29rocblas_internal_gemmt_kernelIlLi16ELi32ELi8ELc84ELc78ELc76ELb0ELb0E19rocblas_complex_numIfEPKS1_PKS3_PKPS1_EviT_T9_T10_S9_lSB_S9_lSA_T11_S9_li.private_seg_size, 0
	.set _ZL29rocblas_internal_gemmt_kernelIlLi16ELi32ELi8ELc84ELc78ELc76ELb0ELb0E19rocblas_complex_numIfEPKS1_PKS3_PKPS1_EviT_T9_T10_S9_lSB_S9_lSA_T11_S9_li.uses_vcc, 1
	.set _ZL29rocblas_internal_gemmt_kernelIlLi16ELi32ELi8ELc84ELc78ELc76ELb0ELb0E19rocblas_complex_numIfEPKS1_PKS3_PKPS1_EviT_T9_T10_S9_lSB_S9_lSA_T11_S9_li.uses_flat_scratch, 0
	.set _ZL29rocblas_internal_gemmt_kernelIlLi16ELi32ELi8ELc84ELc78ELc76ELb0ELb0E19rocblas_complex_numIfEPKS1_PKS3_PKPS1_EviT_T9_T10_S9_lSB_S9_lSA_T11_S9_li.has_dyn_sized_stack, 0
	.set _ZL29rocblas_internal_gemmt_kernelIlLi16ELi32ELi8ELc84ELc78ELc76ELb0ELb0E19rocblas_complex_numIfEPKS1_PKS3_PKPS1_EviT_T9_T10_S9_lSB_S9_lSA_T11_S9_li.has_recursion, 0
	.set _ZL29rocblas_internal_gemmt_kernelIlLi16ELi32ELi8ELc84ELc78ELc76ELb0ELb0E19rocblas_complex_numIfEPKS1_PKS3_PKPS1_EviT_T9_T10_S9_lSB_S9_lSA_T11_S9_li.has_indirect_call, 0
	.section	.AMDGPU.csdata,"",@progbits
; Kernel info:
; codeLenInByte = 2524
; TotalNumSgprs: 46
; NumVgprs: 51
; NumAgprs: 0
; TotalNumVgprs: 51
; ScratchSize: 0
; MemoryBound: 0
; FloatMode: 240
; IeeeMode: 1
; LDSByteSize: 4096 bytes/workgroup (compile time only)
; SGPRBlocks: 5
; VGPRBlocks: 6
; NumSGPRsForWavesPerEU: 46
; NumVGPRsForWavesPerEU: 51
; AccumOffset: 52
; Occupancy: 8
; WaveLimiterHint : 1
; COMPUTE_PGM_RSRC2:SCRATCH_EN: 0
; COMPUTE_PGM_RSRC2:USER_SGPR: 2
; COMPUTE_PGM_RSRC2:TRAP_HANDLER: 0
; COMPUTE_PGM_RSRC2:TGID_X_EN: 1
; COMPUTE_PGM_RSRC2:TGID_Y_EN: 1
; COMPUTE_PGM_RSRC2:TGID_Z_EN: 1
; COMPUTE_PGM_RSRC2:TIDIG_COMP_CNT: 1
; COMPUTE_PGM_RSRC3_GFX90A:ACCUM_OFFSET: 12
; COMPUTE_PGM_RSRC3_GFX90A:TG_SPLIT: 0
	.section	.text._ZL29rocblas_internal_gemmt_kernelIlLi16ELi32ELi8ELc84ELc84ELc76ELb0ELb0E19rocblas_complex_numIfEPKS1_PKS3_PKPS1_EviT_T9_T10_S9_lSB_S9_lSA_T11_S9_li,"axG",@progbits,_ZL29rocblas_internal_gemmt_kernelIlLi16ELi32ELi8ELc84ELc84ELc76ELb0ELb0E19rocblas_complex_numIfEPKS1_PKS3_PKPS1_EviT_T9_T10_S9_lSB_S9_lSA_T11_S9_li,comdat
	.globl	_ZL29rocblas_internal_gemmt_kernelIlLi16ELi32ELi8ELc84ELc84ELc76ELb0ELb0E19rocblas_complex_numIfEPKS1_PKS3_PKPS1_EviT_T9_T10_S9_lSB_S9_lSA_T11_S9_li ; -- Begin function _ZL29rocblas_internal_gemmt_kernelIlLi16ELi32ELi8ELc84ELc84ELc76ELb0ELb0E19rocblas_complex_numIfEPKS1_PKS3_PKPS1_EviT_T9_T10_S9_lSB_S9_lSA_T11_S9_li
	.p2align	8
	.type	_ZL29rocblas_internal_gemmt_kernelIlLi16ELi32ELi8ELc84ELc84ELc76ELb0ELb0E19rocblas_complex_numIfEPKS1_PKS3_PKPS1_EviT_T9_T10_S9_lSB_S9_lSA_T11_S9_li,@function
_ZL29rocblas_internal_gemmt_kernelIlLi16ELi32ELi8ELc84ELc84ELc76ELb0ELb0E19rocblas_complex_numIfEPKS1_PKS3_PKPS1_EviT_T9_T10_S9_lSB_S9_lSA_T11_S9_li: ; @_ZL29rocblas_internal_gemmt_kernelIlLi16ELi32ELi8ELc84ELc84ELc76ELb0ELb0E19rocblas_complex_numIfEPKS1_PKS3_PKPS1_EviT_T9_T10_S9_lSB_S9_lSA_T11_S9_li
; %bb.0:
	s_load_dwordx8 s[24:31], s[0:1], 0x48
	s_load_dwordx16 s[8:23], s[0:1], 0x8
	s_waitcnt lgkmcnt(0)
	s_load_dwordx2 s[6:7], s[24:25], 0x0
	s_load_dwordx2 s[34:35], s[10:11], 0x0
	s_waitcnt lgkmcnt(0)
	s_and_b32 s5, s7, 0x7fffffff
	s_cmp_eq_u32 s5, 0
	v_cmp_eq_f32_e64 s[24:25], s6, 1.0
	s_cselect_b64 s[10:11], -1, 0
	s_and_b64 s[24:25], s[24:25], s[10:11]
	s_and_b64 vcc, exec, s[24:25]
	s_cbranch_vccnz .LBB517_2
; %bb.1:
	s_mov_b64 s[24:25], -1
	s_cbranch_execz .LBB517_3
	s_branch .LBB517_4
.LBB517_2:
	s_mov_b64 s[24:25], 0
.LBB517_3:
	s_cmp_lg_u64 s[8:9], 0
	v_cmp_neq_f32_e64 s[36:37], s34, 0
	v_cmp_neq_f32_e64 s[38:39], s35, 0
	s_cselect_b64 s[24:25], -1, 0
	s_or_b64 s[36:37], s[36:37], s[38:39]
	s_and_b64 s[24:25], s[24:25], s[36:37]
.LBB517_4:
	s_andn2_b64 vcc, exec, s[24:25]
	s_cbranch_vccnz .LBB517_30
; %bb.5:
	s_mov_b32 s5, 0
	s_load_dword s24, s[0:1], 0x0
	s_lshl_b64 s[0:1], s[4:5], 3
	s_add_u32 s4, s26, s0
	s_addc_u32 s5, s27, s1
	s_load_dwordx2 s[4:5], s[4:5], 0x0
	s_lshl_b32 s25, s2, 5
	s_lshl_b32 s26, s3, 5
	v_cmp_eq_f32_e64 s[2:3], s34, 0
	v_cmp_eq_f32_e64 s[36:37], s35, 0
	s_and_b64 s[2:3], s[2:3], s[36:37]
	v_cmp_lt_i64_e64 s[36:37], s[8:9], 1
	s_or_b64 s[2:3], s[2:3], s[36:37]
	v_and_b32_e32 v9, 0x3ff, v0
	v_bfe_u32 v11, v0, 10, 10
	v_mov_b32_e32 v30, 0
	s_and_b64 vcc, exec, s[2:3]
	v_mov_b32_e32 v32, 0
	v_mov_b32_e32 v26, 0
	;; [unrolled: 1-line block ×7, first 2 shown]
	s_cbranch_vccnz .LBB517_14
; %bb.6:
	s_add_u32 s2, s18, s0
	s_addc_u32 s3, s19, s1
	s_load_dwordx2 s[2:3], s[2:3], 0x0
	s_lshl_b64 s[18:19], s[22:23], 3
	v_lshl_add_u32 v1, v11, 4, v9
	v_lshrrev_b32_e32 v10, 5, v1
	v_lshrrev_b32_e32 v4, 3, v1
	s_waitcnt lgkmcnt(0)
	s_add_u32 s18, s2, s18
	s_addc_u32 s19, s3, s19
	s_add_u32 s0, s12, s0
	s_addc_u32 s1, s13, s1
	s_load_dwordx2 s[0:1], s[0:1], 0x0
	v_and_b32_e32 v1, 31, v1
	s_lshl_b64 s[2:3], s[16:17], 3
	v_or_b32_e32 v2, s25, v1
	v_lshlrev_b32_e32 v1, 3, v1
	s_waitcnt lgkmcnt(0)
	s_add_u32 s2, s0, s2
	s_addc_u32 s3, s1, s3
	v_cmp_gt_i32_e64 s[0:1], s24, v2
	v_lshl_or_b32 v19, v10, 8, v1
	s_ashr_i32 s16, s25, 31
	v_mul_lo_u32 v1, s15, v2
	v_mad_u64_u32 v[2:3], s[12:13], s14, v2, 0
	v_and_b32_e32 v8, 7, v9
	s_mul_i32 s12, s14, s16
	v_add3_u32 v3, v3, s12, v1
	v_lshlrev_b32_e32 v1, 3, v8
	v_add_u32_e32 v0, s26, v4
	v_lshl_or_b32 v1, v4, 6, v1
	v_add_u32_e32 v21, 0x800, v1
	v_ashrrev_i32_e32 v1, 31, v0
	v_lshl_add_u64 v[12:13], v[2:3], 3, s[2:3]
	v_cmp_gt_i32_e64 s[2:3], s24, v0
	v_lshl_add_u64 v[14:15], v[0:1], 3, s[18:19]
	v_mov_b32_e32 v0, 0x800
	v_lshlrev_b32_e32 v23, 3, v9
	v_lshl_add_u32 v25, v11, 6, v0
	v_mov_b32_e32 v17, 0
	s_mov_b64 s[12:13], 0
	v_mov_b32_e32 v20, 0
	v_mov_b32_e32 v18, 0
	;; [unrolled: 1-line block ×8, first 2 shown]
	s_branch .LBB517_8
.LBB517_7:                              ;   in Loop: Header=BB517_8 Depth=1
	s_or_b64 exec, exec, s[14:15]
	s_waitcnt vmcnt(0) lgkmcnt(0)
	ds_write_b64 v21, v[0:1]
	s_waitcnt lgkmcnt(0)
	s_barrier
	ds_read2_b64 v[34:37], v23 offset1:16
	ds_read_b128 v[38:41], v25
	ds_read_b128 v[42:45], v25 offset:16
	ds_read_b128 v[4:7], v25 offset:32
	;; [unrolled: 1-line block ×3, first 2 shown]
	s_add_u32 s12, s12, 8
	s_waitcnt lgkmcnt(3)
	v_mul_f32_e32 v16, v39, v35
	v_mul_f32_e32 v27, v38, v35
	v_fma_f32 v16, v38, v34, -v16
	v_fmac_f32_e32 v27, v39, v34
	v_add_f32_e32 v16, v30, v16
	v_add_f32_e32 v50, v32, v27
	ds_read_b128 v[30:33], v25 offset:1024
	v_mul_f32_e32 v27, v39, v37
	v_mul_f32_e32 v29, v38, v37
	v_fma_f32 v27, v38, v36, -v27
	v_fmac_f32_e32 v29, v39, v36
	v_add_f32_e32 v38, v26, v27
	v_add_f32_e32 v39, v28, v29
	ds_read_b128 v[26:29], v25 offset:1040
	s_waitcnt lgkmcnt(1)
	v_mul_f32_e32 v46, v31, v35
	v_fma_f32 v46, v30, v34, -v46
	v_add_f32_e32 v22, v22, v46
	ds_read2_b64 v[46:49], v23 offset0:32 offset1:48
	v_mul_f32_e32 v35, v30, v35
	v_fmac_f32_e32 v35, v31, v34
	v_mul_f32_e32 v34, v31, v37
	v_fma_f32 v34, v30, v36, -v34
	v_mul_f32_e32 v30, v30, v37
	v_fmac_f32_e32 v30, v31, v36
	v_add_f32_e32 v20, v20, v30
	s_waitcnt lgkmcnt(0)
	v_mul_f32_e32 v30, v41, v47
	v_mul_f32_e32 v31, v40, v47
	v_fma_f32 v30, v40, v46, -v30
	v_fmac_f32_e32 v31, v41, v46
	v_add_f32_e32 v18, v18, v34
	v_add_f32_e32 v16, v16, v30
	;; [unrolled: 1-line block ×3, first 2 shown]
	v_mul_f32_e32 v31, v41, v49
	v_mul_f32_e32 v34, v40, v49
	v_fma_f32 v31, v40, v48, -v31
	v_fmac_f32_e32 v34, v41, v48
	v_add_f32_e32 v31, v38, v31
	v_add_f32_e32 v38, v39, v34
	v_mul_f32_e32 v34, v33, v47
	v_add_f32_e32 v24, v24, v35
	v_fma_f32 v34, v32, v46, -v34
	v_mul_f32_e32 v35, v32, v47
	v_fmac_f32_e32 v35, v33, v46
	v_add_f32_e32 v22, v22, v34
	v_mul_f32_e32 v34, v33, v49
	v_add_f32_e32 v24, v24, v35
	v_fma_f32 v39, v32, v48, -v34
	ds_read2_b64 v[34:37], v23 offset0:64 offset1:80
	v_mul_f32_e32 v32, v32, v49
	v_fmac_f32_e32 v32, v33, v48
	v_add_f32_e32 v18, v18, v39
	v_add_f32_e32 v20, v20, v32
	s_waitcnt lgkmcnt(0)
	v_mul_f32_e32 v33, v42, v35
	v_fmac_f32_e32 v33, v43, v34
	v_add_f32_e32 v39, v30, v33
	v_mul_f32_e32 v30, v43, v37
	v_mul_f32_e32 v32, v43, v35
	v_fma_f32 v30, v42, v36, -v30
	v_fma_f32 v32, v42, v34, -v32
	v_add_f32_e32 v40, v31, v30
	v_mul_f32_e32 v30, v27, v35
	v_add_f32_e32 v16, v16, v32
	v_mul_f32_e32 v32, v42, v37
	v_fma_f32 v30, v26, v34, -v30
	v_mul_f32_e32 v31, v26, v35
	v_fmac_f32_e32 v32, v43, v36
	v_fmac_f32_e32 v31, v27, v34
	v_add_f32_e32 v22, v22, v30
	v_mul_f32_e32 v30, v27, v37
	v_add_f32_e32 v38, v38, v32
	v_add_f32_e32 v24, v24, v31
	v_fma_f32 v34, v26, v36, -v30
	ds_read2_b64 v[30:33], v23 offset0:96 offset1:112
	v_mul_f32_e32 v26, v26, v37
	v_fmac_f32_e32 v26, v27, v36
	v_add_f32_e32 v20, v20, v26
	v_add_f32_e32 v18, v18, v34
	s_waitcnt lgkmcnt(0)
	v_mul_f32_e32 v26, v45, v31
	v_mul_f32_e32 v27, v44, v31
	v_fma_f32 v26, v44, v30, -v26
	v_fmac_f32_e32 v27, v45, v30
	v_add_f32_e32 v16, v16, v26
	v_add_f32_e32 v26, v39, v27
	v_mul_f32_e32 v27, v45, v33
	v_mul_f32_e32 v34, v44, v33
	v_fma_f32 v27, v44, v32, -v27
	v_fmac_f32_e32 v34, v45, v32
	v_add_f32_e32 v39, v40, v27
	v_add_f32_e32 v38, v38, v34
	v_mul_f32_e32 v27, v29, v31
	ds_read2_b64 v[34:37], v23 offset0:128 offset1:144
	v_fma_f32 v27, v28, v30, -v27
	v_add_f32_e32 v22, v22, v27
	v_mul_f32_e32 v27, v29, v33
	v_mul_f32_e32 v31, v28, v31
	v_fma_f32 v27, v28, v32, -v27
	v_mul_f32_e32 v28, v28, v33
	v_fmac_f32_e32 v28, v29, v32
	v_add_f32_e32 v20, v20, v28
	s_waitcnt lgkmcnt(0)
	v_mul_f32_e32 v28, v4, v35
	v_add_f32_e32 v18, v18, v27
	v_mul_f32_e32 v27, v5, v35
	v_fmac_f32_e32 v28, v5, v34
	v_fma_f32 v27, v4, v34, -v27
	v_add_f32_e32 v42, v26, v28
	v_mul_f32_e32 v26, v5, v37
	v_fmac_f32_e32 v31, v29, v30
	v_add_f32_e32 v16, v16, v27
	v_fma_f32 v30, v4, v36, -v26
	ds_read_b128 v[26:29], v25 offset:1056
	v_mul_f32_e32 v4, v4, v37
	v_fmac_f32_e32 v4, v5, v36
	v_add_f32_e32 v5, v39, v30
	v_add_f32_e32 v4, v38, v4
	ds_read_b128 v[38:41], v25 offset:1072
	s_waitcnt lgkmcnt(1)
	v_mul_f32_e32 v30, v27, v35
	v_add_f32_e32 v24, v24, v31
	v_fma_f32 v30, v26, v34, -v30
	v_mul_f32_e32 v31, v26, v35
	v_fmac_f32_e32 v31, v27, v34
	v_add_f32_e32 v22, v22, v30
	v_mul_f32_e32 v30, v27, v37
	v_add_f32_e32 v24, v24, v31
	v_fma_f32 v34, v26, v36, -v30
	ds_read2_b64 v[30:33], v23 offset0:160 offset1:176
	v_mul_f32_e32 v26, v26, v37
	v_fmac_f32_e32 v26, v27, v36
	v_add_f32_e32 v20, v20, v26
	v_add_f32_e32 v18, v18, v34
	s_waitcnt lgkmcnt(0)
	v_mul_f32_e32 v26, v7, v31
	v_mul_f32_e32 v27, v6, v31
	v_fma_f32 v26, v6, v30, -v26
	v_fmac_f32_e32 v27, v7, v30
	v_add_f32_e32 v16, v16, v26
	v_add_f32_e32 v26, v42, v27
	v_mul_f32_e32 v27, v7, v33
	v_fma_f32 v27, v6, v32, -v27
	v_mul_f32_e32 v6, v6, v33
	v_fmac_f32_e32 v6, v7, v32
	v_add_f32_e32 v34, v4, v6
	v_mul_f32_e32 v4, v29, v31
	v_add_f32_e32 v27, v5, v27
	v_fma_f32 v4, v28, v30, -v4
	v_mul_f32_e32 v5, v28, v31
	v_fmac_f32_e32 v5, v29, v30
	v_add_f32_e32 v22, v22, v4
	v_mul_f32_e32 v4, v29, v33
	v_add_f32_e32 v24, v24, v5
	v_fma_f32 v30, v28, v32, -v4
	ds_read2_b64 v[4:7], v23 offset0:192 offset1:208
	v_mul_f32_e32 v28, v28, v33
	v_fmac_f32_e32 v28, v29, v32
	v_add_f32_e32 v20, v20, v28
	v_add_f32_e32 v18, v18, v30
	s_waitcnt lgkmcnt(0)
	v_mul_f32_e32 v28, v1, v5
	v_fma_f32 v28, v0, v4, -v28
	v_add_f32_e32 v16, v16, v28
	v_mul_f32_e32 v28, v1, v7
	v_mul_f32_e32 v29, v0, v5
	v_fma_f32 v28, v0, v6, -v28
	v_mul_f32_e32 v0, v0, v7
	v_fmac_f32_e32 v0, v1, v6
	v_add_f32_e32 v0, v34, v0
	ds_read2_b64 v[34:37], v23 offset0:224 offset1:240
	v_fmac_f32_e32 v29, v1, v4
	v_add_f32_e32 v1, v27, v28
	v_mul_f32_e32 v27, v39, v5
	v_fma_f32 v27, v38, v4, -v27
	v_mul_f32_e32 v5, v38, v5
	v_fmac_f32_e32 v5, v39, v4
	v_add_f32_e32 v4, v22, v27
	v_mul_f32_e32 v22, v39, v7
	v_fma_f32 v22, v38, v6, -v22
	v_mul_f32_e32 v7, v38, v7
	v_fmac_f32_e32 v7, v39, v6
	v_add_f32_e32 v6, v18, v22
	s_waitcnt lgkmcnt(0)
	v_mul_f32_e32 v18, v3, v35
	v_fma_f32 v18, v2, v34, -v18
	v_add_f32_e32 v30, v16, v18
	v_mul_f32_e32 v16, v3, v37
	v_add_f32_e32 v7, v20, v7
	v_mul_f32_e32 v20, v2, v35
	v_fma_f32 v16, v2, v36, -v16
	v_mul_f32_e32 v2, v2, v37
	v_add_f32_e32 v26, v26, v29
	v_fmac_f32_e32 v20, v3, v34
	v_fmac_f32_e32 v2, v3, v36
	v_add_f32_e32 v32, v26, v20
	v_add_f32_e32 v26, v1, v16
	;; [unrolled: 1-line block ×3, first 2 shown]
	v_mul_f32_e32 v0, v41, v35
	v_mul_f32_e32 v1, v40, v35
	v_add_f32_e32 v5, v24, v5
	v_fma_f32 v0, v40, v34, -v0
	v_fmac_f32_e32 v1, v41, v34
	v_add_f32_e32 v22, v4, v0
	v_add_f32_e32 v24, v5, v1
	v_mul_f32_e32 v0, v41, v37
	v_mul_f32_e32 v1, v40, v37
	v_fma_f32 v0, v40, v36, -v0
	v_fmac_f32_e32 v1, v41, v36
	s_addc_u32 s13, s13, 0
	v_add_f32_e32 v18, v6, v0
	v_add_f32_e32 v20, v7, v1
	v_mov_b64_e32 v[0:1], s[12:13]
	v_cmp_gt_i64_e32 vcc, s[8:9], v[0:1]
	s_barrier
	s_cbranch_vccz .LBB517_14
.LBB517_8:                              ; =>This Inner Loop Header: Depth=1
	v_mov_b32_e32 v0, 0
	v_mov_b32_e32 v1, 0
	s_and_saveexec_b64 s[14:15], s[0:1]
	s_cbranch_execz .LBB517_12
; %bb.9:                                ;   in Loop: Header=BB517_8 Depth=1
	v_add_u32_e32 v16, s12, v10
	v_cmp_gt_u64_e32 vcc, s[8:9], v[16:17]
	v_mov_b32_e32 v1, 0
	v_mov_b32_e32 v0, 0
	s_and_saveexec_b64 s[16:17], vcc
	s_cbranch_execz .LBB517_11
; %bb.10:                               ;   in Loop: Header=BB517_8 Depth=1
	v_lshl_add_u64 v[0:1], v[16:17], 3, v[12:13]
	flat_load_dwordx2 v[0:1], v[0:1]
.LBB517_11:                             ;   in Loop: Header=BB517_8 Depth=1
	s_or_b64 exec, exec, s[16:17]
.LBB517_12:                             ;   in Loop: Header=BB517_8 Depth=1
	s_or_b64 exec, exec, s[14:15]
	v_add_u32_e32 v16, s12, v8
	v_cmp_gt_u64_e32 vcc, s[8:9], v[16:17]
	s_waitcnt vmcnt(0) lgkmcnt(0)
	ds_write_b64 v19, v[0:1]
	s_and_b64 s[16:17], vcc, s[2:3]
	v_mov_b32_e32 v0, 0
	v_mov_b32_e32 v1, 0
	s_and_saveexec_b64 s[14:15], s[16:17]
	s_cbranch_execz .LBB517_7
; %bb.13:                               ;   in Loop: Header=BB517_8 Depth=1
	v_mad_u64_u32 v[0:1], s[16:17], s20, v16, 0
	v_mov_b32_e32 v2, v1
	v_mad_u64_u32 v[2:3], s[16:17], s21, v16, v[2:3]
	v_mov_b32_e32 v1, v2
	v_lshl_add_u64 v[0:1], v[0:1], 3, v[14:15]
	flat_load_dwordx2 v[0:1], v[0:1]
	s_branch .LBB517_7
.LBB517_14:
	s_lshl_b64 s[0:1], s[30:31], 3
	v_add_u32_e32 v10, s26, v11
	s_waitcnt lgkmcnt(0)
	s_add_u32 s8, s4, s0
	v_ashrrev_i32_e32 v1, 31, v10
	s_addc_u32 s9, s5, s1
	v_cmp_neq_f32_e64 s[0:1], s6, 0
	s_xor_b64 s[4:5], s[10:11], -1
	v_mul_lo_u32 v1, s28, v1
	v_mul_lo_u32 v4, s29, v10
	v_mad_u64_u32 v[2:3], s[2:3], s28, v10, 0
	v_add_u32_e32 v0, s25, v9
	v_add3_u32 v3, v3, v1, v4
	s_or_b64 s[0:1], s[0:1], s[4:5]
	v_lshl_add_u64 v[4:5], v[2:3], 3, s[8:9]
	v_cmp_le_i32_e32 vcc, v10, v0
	v_cmp_gt_i32_e64 s[2:3], s24, v0
	v_cndmask_b32_e64 v2, 0, 1, s[0:1]
	s_and_b64 s[10:11], vcc, s[2:3]
	v_ashrrev_i32_e32 v1, 31, v0
	v_cmp_ne_u32_e64 s[0:1], 1, v2
	s_and_saveexec_b64 s[4:5], s[10:11]
	s_cbranch_execz .LBB517_18
; %bb.15:
	v_pk_mul_f32 v[6:7], v[32:33], s[34:35] op_sel:[0,1] op_sel_hi:[0,0]
	v_pk_fma_f32 v[2:3], v[30:31], s[34:35], v[6:7] op_sel_hi:[0,1,1] neg_lo:[0,0,1] neg_hi:[0,0,1]
	v_pk_fma_f32 v[8:9], v[30:31], s[34:35], v[6:7] op_sel_hi:[0,1,1]
	s_and_b64 vcc, exec, s[0:1]
	v_lshl_add_u64 v[6:7], v[0:1], 3, v[4:5]
	s_cbranch_vccnz .LBB517_17
; %bb.16:
	flat_load_dwordx2 v[12:13], v[6:7]
	s_mov_b32 s10, s7
	v_mov_b32_e32 v3, v9
	s_waitcnt vmcnt(0) lgkmcnt(0)
	v_pk_mul_f32 v[8:9], v[12:13], s[10:11] op_sel:[1,0] op_sel_hi:[0,0]
	v_pk_fma_f32 v[14:15], v[12:13], s[6:7], v[8:9] neg_lo:[0,0,1] neg_hi:[0,0,1]
	v_pk_fma_f32 v[8:9], v[12:13], s[6:7], v[8:9] op_sel_hi:[1,0,1]
	s_nop 0
	v_mov_b32_e32 v15, v9
	v_pk_add_f32 v[2:3], v[2:3], v[14:15]
	s_nop 0
	v_mov_b32_e32 v9, v3
.LBB517_17:
	v_mov_b32_e32 v3, v9
	flat_store_dwordx2 v[6:7], v[2:3]
.LBB517_18:
	s_or_b64 exec, exec, s[4:5]
	v_add_u32_e32 v2, 16, v0
	v_cmp_le_i32_e32 vcc, v10, v2
	v_cmp_gt_i32_e64 s[4:5], s24, v2
	s_and_b64 s[12:13], vcc, s[4:5]
	v_ashrrev_i32_e32 v3, 31, v2
	s_and_saveexec_b64 s[10:11], s[12:13]
	s_cbranch_execz .LBB517_22
; %bb.19:
	v_pk_mul_f32 v[8:9], v[28:29], s[34:35] op_sel:[0,1] op_sel_hi:[0,0]
	v_pk_fma_f32 v[6:7], v[26:27], s[34:35], v[8:9] op_sel_hi:[0,1,1] neg_lo:[0,0,1] neg_hi:[0,0,1]
	v_pk_fma_f32 v[8:9], v[26:27], s[34:35], v[8:9] op_sel_hi:[0,1,1]
	s_and_b64 vcc, exec, s[0:1]
	v_lshl_add_u64 v[4:5], v[2:3], 3, v[4:5]
	s_cbranch_vccnz .LBB517_21
; %bb.20:
	flat_load_dwordx2 v[12:13], v[4:5]
	s_mov_b32 s12, s7
	v_mov_b32_e32 v7, v9
	s_waitcnt vmcnt(0) lgkmcnt(0)
	v_pk_mul_f32 v[8:9], v[12:13], s[12:13] op_sel:[1,0] op_sel_hi:[0,0]
	v_pk_fma_f32 v[14:15], v[12:13], s[6:7], v[8:9] neg_lo:[0,0,1] neg_hi:[0,0,1]
	v_pk_fma_f32 v[8:9], v[12:13], s[6:7], v[8:9] op_sel_hi:[1,0,1]
	s_nop 0
	v_mov_b32_e32 v15, v9
	v_pk_add_f32 v[6:7], v[6:7], v[14:15]
	s_nop 0
	v_mov_b32_e32 v9, v7
.LBB517_21:
	v_mov_b32_e32 v7, v9
	flat_store_dwordx2 v[4:5], v[6:7]
.LBB517_22:
	s_or_b64 exec, exec, s[10:11]
	v_add_u32_e32 v10, 16, v10
	v_ashrrev_i32_e32 v4, 31, v10
	v_mul_lo_u32 v6, s28, v4
	v_mul_lo_u32 v7, s29, v10
	v_mad_u64_u32 v[4:5], s[10:11], s28, v10, 0
	v_add3_u32 v5, v5, v6, v7
	v_cmp_le_i32_e32 vcc, v10, v0
	v_lshl_add_u64 v[4:5], v[4:5], 3, s[8:9]
	s_and_b64 s[8:9], vcc, s[2:3]
	s_and_saveexec_b64 s[2:3], s[8:9]
	s_cbranch_execz .LBB517_26
; %bb.23:
	v_pk_mul_f32 v[8:9], v[24:25], s[34:35] op_sel:[0,1] op_sel_hi:[0,0]
	v_pk_fma_f32 v[6:7], v[22:23], s[34:35], v[8:9] op_sel_hi:[0,1,1] neg_lo:[0,0,1] neg_hi:[0,0,1]
	v_pk_fma_f32 v[8:9], v[22:23], s[34:35], v[8:9] op_sel_hi:[0,1,1]
	s_and_b64 vcc, exec, s[0:1]
	v_lshl_add_u64 v[0:1], v[0:1], 3, v[4:5]
	s_cbranch_vccnz .LBB517_25
; %bb.24:
	flat_load_dwordx2 v[12:13], v[0:1]
	s_mov_b32 s8, s7
	v_mov_b32_e32 v7, v9
	s_waitcnt vmcnt(0) lgkmcnt(0)
	v_pk_mul_f32 v[8:9], v[12:13], s[8:9] op_sel:[1,0] op_sel_hi:[0,0]
	v_pk_fma_f32 v[14:15], v[12:13], s[6:7], v[8:9] neg_lo:[0,0,1] neg_hi:[0,0,1]
	v_pk_fma_f32 v[8:9], v[12:13], s[6:7], v[8:9] op_sel_hi:[1,0,1]
	s_nop 0
	v_mov_b32_e32 v15, v9
	v_pk_add_f32 v[6:7], v[6:7], v[14:15]
	s_nop 0
	v_mov_b32_e32 v9, v7
.LBB517_25:
	v_mov_b32_e32 v7, v9
	flat_store_dwordx2 v[0:1], v[6:7]
.LBB517_26:
	s_or_b64 exec, exec, s[2:3]
	v_cmp_le_i32_e32 vcc, v10, v2
	s_and_b64 s[2:3], vcc, s[4:5]
	s_and_saveexec_b64 s[4:5], s[2:3]
	s_cbranch_execz .LBB517_30
; %bb.27:
	v_pk_mul_f32 v[6:7], v[20:21], s[34:35] op_sel:[0,1] op_sel_hi:[0,0]
	v_pk_fma_f32 v[0:1], v[18:19], s[34:35], v[6:7] op_sel_hi:[0,1,1] neg_lo:[0,0,1] neg_hi:[0,0,1]
	v_pk_fma_f32 v[6:7], v[18:19], s[34:35], v[6:7] op_sel_hi:[0,1,1]
	s_and_b64 vcc, exec, s[0:1]
	v_lshl_add_u64 v[2:3], v[2:3], 3, v[4:5]
	s_cbranch_vccnz .LBB517_29
; %bb.28:
	flat_load_dwordx2 v[4:5], v[2:3]
	s_mov_b32 s0, s7
	v_mov_b32_e32 v1, v7
	s_waitcnt vmcnt(0) lgkmcnt(0)
	v_pk_mul_f32 v[6:7], v[4:5], s[0:1] op_sel:[1,0] op_sel_hi:[0,0]
	v_pk_fma_f32 v[8:9], v[4:5], s[6:7], v[6:7] neg_lo:[0,0,1] neg_hi:[0,0,1]
	v_pk_fma_f32 v[4:5], v[4:5], s[6:7], v[6:7] op_sel_hi:[1,0,1]
	s_nop 0
	v_mov_b32_e32 v9, v5
	v_pk_add_f32 v[0:1], v[0:1], v[8:9]
	s_nop 0
	v_mov_b32_e32 v7, v1
.LBB517_29:
	v_mov_b32_e32 v1, v7
	flat_store_dwordx2 v[2:3], v[0:1]
.LBB517_30:
	s_endpgm
	.section	.rodata,"a",@progbits
	.p2align	6, 0x0
	.amdhsa_kernel _ZL29rocblas_internal_gemmt_kernelIlLi16ELi32ELi8ELc84ELc84ELc76ELb0ELb0E19rocblas_complex_numIfEPKS1_PKS3_PKPS1_EviT_T9_T10_S9_lSB_S9_lSA_T11_S9_li
		.amdhsa_group_segment_fixed_size 4096
		.amdhsa_private_segment_fixed_size 0
		.amdhsa_kernarg_size 108
		.amdhsa_user_sgpr_count 2
		.amdhsa_user_sgpr_dispatch_ptr 0
		.amdhsa_user_sgpr_queue_ptr 0
		.amdhsa_user_sgpr_kernarg_segment_ptr 1
		.amdhsa_user_sgpr_dispatch_id 0
		.amdhsa_user_sgpr_kernarg_preload_length 0
		.amdhsa_user_sgpr_kernarg_preload_offset 0
		.amdhsa_user_sgpr_private_segment_size 0
		.amdhsa_uses_dynamic_stack 0
		.amdhsa_enable_private_segment 0
		.amdhsa_system_sgpr_workgroup_id_x 1
		.amdhsa_system_sgpr_workgroup_id_y 1
		.amdhsa_system_sgpr_workgroup_id_z 1
		.amdhsa_system_sgpr_workgroup_info 0
		.amdhsa_system_vgpr_workitem_id 1
		.amdhsa_next_free_vgpr 51
		.amdhsa_next_free_sgpr 40
		.amdhsa_accum_offset 52
		.amdhsa_reserve_vcc 1
		.amdhsa_float_round_mode_32 0
		.amdhsa_float_round_mode_16_64 0
		.amdhsa_float_denorm_mode_32 3
		.amdhsa_float_denorm_mode_16_64 3
		.amdhsa_dx10_clamp 1
		.amdhsa_ieee_mode 1
		.amdhsa_fp16_overflow 0
		.amdhsa_tg_split 0
		.amdhsa_exception_fp_ieee_invalid_op 0
		.amdhsa_exception_fp_denorm_src 0
		.amdhsa_exception_fp_ieee_div_zero 0
		.amdhsa_exception_fp_ieee_overflow 0
		.amdhsa_exception_fp_ieee_underflow 0
		.amdhsa_exception_fp_ieee_inexact 0
		.amdhsa_exception_int_div_zero 0
	.end_amdhsa_kernel
	.section	.text._ZL29rocblas_internal_gemmt_kernelIlLi16ELi32ELi8ELc84ELc84ELc76ELb0ELb0E19rocblas_complex_numIfEPKS1_PKS3_PKPS1_EviT_T9_T10_S9_lSB_S9_lSA_T11_S9_li,"axG",@progbits,_ZL29rocblas_internal_gemmt_kernelIlLi16ELi32ELi8ELc84ELc84ELc76ELb0ELb0E19rocblas_complex_numIfEPKS1_PKS3_PKPS1_EviT_T9_T10_S9_lSB_S9_lSA_T11_S9_li,comdat
.Lfunc_end517:
	.size	_ZL29rocblas_internal_gemmt_kernelIlLi16ELi32ELi8ELc84ELc84ELc76ELb0ELb0E19rocblas_complex_numIfEPKS1_PKS3_PKPS1_EviT_T9_T10_S9_lSB_S9_lSA_T11_S9_li, .Lfunc_end517-_ZL29rocblas_internal_gemmt_kernelIlLi16ELi32ELi8ELc84ELc84ELc76ELb0ELb0E19rocblas_complex_numIfEPKS1_PKS3_PKPS1_EviT_T9_T10_S9_lSB_S9_lSA_T11_S9_li
                                        ; -- End function
	.set _ZL29rocblas_internal_gemmt_kernelIlLi16ELi32ELi8ELc84ELc84ELc76ELb0ELb0E19rocblas_complex_numIfEPKS1_PKS3_PKPS1_EviT_T9_T10_S9_lSB_S9_lSA_T11_S9_li.num_vgpr, 51
	.set _ZL29rocblas_internal_gemmt_kernelIlLi16ELi32ELi8ELc84ELc84ELc76ELb0ELb0E19rocblas_complex_numIfEPKS1_PKS3_PKPS1_EviT_T9_T10_S9_lSB_S9_lSA_T11_S9_li.num_agpr, 0
	.set _ZL29rocblas_internal_gemmt_kernelIlLi16ELi32ELi8ELc84ELc84ELc76ELb0ELb0E19rocblas_complex_numIfEPKS1_PKS3_PKPS1_EviT_T9_T10_S9_lSB_S9_lSA_T11_S9_li.numbered_sgpr, 40
	.set _ZL29rocblas_internal_gemmt_kernelIlLi16ELi32ELi8ELc84ELc84ELc76ELb0ELb0E19rocblas_complex_numIfEPKS1_PKS3_PKPS1_EviT_T9_T10_S9_lSB_S9_lSA_T11_S9_li.num_named_barrier, 0
	.set _ZL29rocblas_internal_gemmt_kernelIlLi16ELi32ELi8ELc84ELc84ELc76ELb0ELb0E19rocblas_complex_numIfEPKS1_PKS3_PKPS1_EviT_T9_T10_S9_lSB_S9_lSA_T11_S9_li.private_seg_size, 0
	.set _ZL29rocblas_internal_gemmt_kernelIlLi16ELi32ELi8ELc84ELc84ELc76ELb0ELb0E19rocblas_complex_numIfEPKS1_PKS3_PKPS1_EviT_T9_T10_S9_lSB_S9_lSA_T11_S9_li.uses_vcc, 1
	.set _ZL29rocblas_internal_gemmt_kernelIlLi16ELi32ELi8ELc84ELc84ELc76ELb0ELb0E19rocblas_complex_numIfEPKS1_PKS3_PKPS1_EviT_T9_T10_S9_lSB_S9_lSA_T11_S9_li.uses_flat_scratch, 0
	.set _ZL29rocblas_internal_gemmt_kernelIlLi16ELi32ELi8ELc84ELc84ELc76ELb0ELb0E19rocblas_complex_numIfEPKS1_PKS3_PKPS1_EviT_T9_T10_S9_lSB_S9_lSA_T11_S9_li.has_dyn_sized_stack, 0
	.set _ZL29rocblas_internal_gemmt_kernelIlLi16ELi32ELi8ELc84ELc84ELc76ELb0ELb0E19rocblas_complex_numIfEPKS1_PKS3_PKPS1_EviT_T9_T10_S9_lSB_S9_lSA_T11_S9_li.has_recursion, 0
	.set _ZL29rocblas_internal_gemmt_kernelIlLi16ELi32ELi8ELc84ELc84ELc76ELb0ELb0E19rocblas_complex_numIfEPKS1_PKS3_PKPS1_EviT_T9_T10_S9_lSB_S9_lSA_T11_S9_li.has_indirect_call, 0
	.section	.AMDGPU.csdata,"",@progbits
; Kernel info:
; codeLenInByte = 2516
; TotalNumSgprs: 46
; NumVgprs: 51
; NumAgprs: 0
; TotalNumVgprs: 51
; ScratchSize: 0
; MemoryBound: 0
; FloatMode: 240
; IeeeMode: 1
; LDSByteSize: 4096 bytes/workgroup (compile time only)
; SGPRBlocks: 5
; VGPRBlocks: 6
; NumSGPRsForWavesPerEU: 46
; NumVGPRsForWavesPerEU: 51
; AccumOffset: 52
; Occupancy: 8
; WaveLimiterHint : 1
; COMPUTE_PGM_RSRC2:SCRATCH_EN: 0
; COMPUTE_PGM_RSRC2:USER_SGPR: 2
; COMPUTE_PGM_RSRC2:TRAP_HANDLER: 0
; COMPUTE_PGM_RSRC2:TGID_X_EN: 1
; COMPUTE_PGM_RSRC2:TGID_Y_EN: 1
; COMPUTE_PGM_RSRC2:TGID_Z_EN: 1
; COMPUTE_PGM_RSRC2:TIDIG_COMP_CNT: 1
; COMPUTE_PGM_RSRC3_GFX90A:ACCUM_OFFSET: 12
; COMPUTE_PGM_RSRC3_GFX90A:TG_SPLIT: 0
	.section	.text._ZL29rocblas_internal_gemmt_kernelIlLi16ELi32ELi8ELc84ELc67ELc76ELb0ELb1E19rocblas_complex_numIfEPKS1_PKS3_PKPS1_EviT_T9_T10_S9_lSB_S9_lSA_T11_S9_li,"axG",@progbits,_ZL29rocblas_internal_gemmt_kernelIlLi16ELi32ELi8ELc84ELc67ELc76ELb0ELb1E19rocblas_complex_numIfEPKS1_PKS3_PKPS1_EviT_T9_T10_S9_lSB_S9_lSA_T11_S9_li,comdat
	.globl	_ZL29rocblas_internal_gemmt_kernelIlLi16ELi32ELi8ELc84ELc67ELc76ELb0ELb1E19rocblas_complex_numIfEPKS1_PKS3_PKPS1_EviT_T9_T10_S9_lSB_S9_lSA_T11_S9_li ; -- Begin function _ZL29rocblas_internal_gemmt_kernelIlLi16ELi32ELi8ELc84ELc67ELc76ELb0ELb1E19rocblas_complex_numIfEPKS1_PKS3_PKPS1_EviT_T9_T10_S9_lSB_S9_lSA_T11_S9_li
	.p2align	8
	.type	_ZL29rocblas_internal_gemmt_kernelIlLi16ELi32ELi8ELc84ELc67ELc76ELb0ELb1E19rocblas_complex_numIfEPKS1_PKS3_PKPS1_EviT_T9_T10_S9_lSB_S9_lSA_T11_S9_li,@function
_ZL29rocblas_internal_gemmt_kernelIlLi16ELi32ELi8ELc84ELc67ELc76ELb0ELb1E19rocblas_complex_numIfEPKS1_PKS3_PKPS1_EviT_T9_T10_S9_lSB_S9_lSA_T11_S9_li: ; @_ZL29rocblas_internal_gemmt_kernelIlLi16ELi32ELi8ELc84ELc67ELc76ELb0ELb1E19rocblas_complex_numIfEPKS1_PKS3_PKPS1_EviT_T9_T10_S9_lSB_S9_lSA_T11_S9_li
; %bb.0:
	s_load_dwordx8 s[24:31], s[0:1], 0x48
	s_load_dwordx16 s[8:23], s[0:1], 0x8
	s_waitcnt lgkmcnt(0)
	s_load_dwordx2 s[6:7], s[24:25], 0x0
	s_load_dwordx2 s[34:35], s[10:11], 0x0
	s_waitcnt lgkmcnt(0)
	s_and_b32 s5, s7, 0x7fffffff
	s_cmp_eq_u32 s5, 0
	v_cmp_eq_f32_e64 s[24:25], s6, 1.0
	s_cselect_b64 s[10:11], -1, 0
	s_and_b64 s[24:25], s[24:25], s[10:11]
	s_and_b64 vcc, exec, s[24:25]
	s_cbranch_vccnz .LBB518_2
; %bb.1:
	s_mov_b64 s[24:25], -1
	s_cbranch_execz .LBB518_3
	s_branch .LBB518_4
.LBB518_2:
	s_mov_b64 s[24:25], 0
.LBB518_3:
	s_cmp_lg_u64 s[8:9], 0
	v_cmp_neq_f32_e64 s[36:37], s34, 0
	v_cmp_neq_f32_e64 s[38:39], s35, 0
	s_cselect_b64 s[24:25], -1, 0
	s_or_b64 s[36:37], s[36:37], s[38:39]
	s_and_b64 s[24:25], s[24:25], s[36:37]
.LBB518_4:
	s_andn2_b64 vcc, exec, s[24:25]
	s_cbranch_vccnz .LBB518_32
; %bb.5:
	s_mov_b32 s5, 0
	s_load_dword s24, s[0:1], 0x0
	s_lshl_b64 s[0:1], s[4:5], 3
	s_add_u32 s4, s26, s0
	s_addc_u32 s5, s27, s1
	s_load_dwordx2 s[4:5], s[4:5], 0x0
	s_lshl_b32 s25, s2, 5
	s_lshl_b32 s26, s3, 5
	v_cmp_eq_f32_e64 s[2:3], s34, 0
	v_cmp_eq_f32_e64 s[36:37], s35, 0
	s_and_b64 s[2:3], s[2:3], s[36:37]
	v_cmp_lt_i64_e64 s[36:37], s[8:9], 1
	s_or_b64 s[2:3], s[2:3], s[36:37]
	v_and_b32_e32 v9, 0x3ff, v0
	v_bfe_u32 v11, v0, 10, 10
	v_mov_b32_e32 v30, 0
	s_and_b64 vcc, exec, s[2:3]
	v_mov_b32_e32 v32, 0
	v_mov_b32_e32 v26, 0
	;; [unrolled: 1-line block ×7, first 2 shown]
	s_cbranch_vccnz .LBB518_16
; %bb.6:
	s_add_u32 s2, s18, s0
	s_addc_u32 s3, s19, s1
	s_load_dwordx2 s[2:3], s[2:3], 0x0
	s_lshl_b64 s[18:19], s[22:23], 3
	v_lshl_add_u32 v1, v11, 4, v9
	v_lshrrev_b32_e32 v10, 5, v1
	v_lshrrev_b32_e32 v4, 3, v1
	s_waitcnt lgkmcnt(0)
	s_add_u32 s2, s2, s18
	s_addc_u32 s3, s3, s19
	s_add_u32 s0, s12, s0
	s_addc_u32 s1, s13, s1
	s_load_dwordx2 s[0:1], s[0:1], 0x0
	s_lshl_b64 s[12:13], s[16:17], 3
	v_and_b32_e32 v1, 31, v1
	v_or_b32_e32 v2, s25, v1
	v_lshlrev_b32_e32 v1, 3, v1
	s_waitcnt lgkmcnt(0)
	s_add_u32 s12, s0, s12
	s_addc_u32 s13, s1, s13
	s_ashr_i32 s18, s25, 31
	v_and_b32_e32 v8, 7, v9
	v_cmp_gt_i32_e64 s[0:1], s24, v2
	v_lshl_or_b32 v19, v10, 8, v1
	v_mul_lo_u32 v1, s15, v2
	v_mad_u64_u32 v[2:3], s[16:17], s14, v2, 0
	s_mul_i32 s14, s14, s18
	v_add3_u32 v3, v3, s14, v1
	v_lshlrev_b32_e32 v1, 3, v8
	v_add_u32_e32 v0, s26, v4
	v_lshl_or_b32 v1, v4, 6, v1
	v_add_u32_e32 v21, 0x800, v1
	v_ashrrev_i32_e32 v1, 31, v0
	v_cmp_gt_i32_e32 vcc, s24, v0
	v_lshl_add_u64 v[14:15], v[0:1], 3, s[2:3]
	v_mov_b32_e32 v0, 0x800
	v_lshl_add_u64 v[12:13], v[2:3], 3, s[12:13]
	v_lshlrev_b32_e32 v23, 3, v9
	v_lshl_add_u32 v25, v11, 6, v0
	v_mov_b32_e32 v17, 0
	s_mov_b64 s[2:3], 0
	s_xor_b64 s[12:13], vcc, -1
	v_mov_b32_e32 v20, 0
	v_mov_b32_e32 v18, 0
	;; [unrolled: 1-line block ×8, first 2 shown]
	s_branch .LBB518_8
.LBB518_7:                              ;   in Loop: Header=BB518_8 Depth=1
	s_or_b64 exec, exec, s[14:15]
	ds_write_b32 v21, v0 offset:4
	s_waitcnt lgkmcnt(0)
	s_barrier
	ds_read2_b64 v[34:37], v23 offset1:16
	ds_read_b128 v[38:41], v25
	ds_read_b128 v[42:45], v25 offset:16
	ds_read_b128 v[4:7], v25 offset:32
	;; [unrolled: 1-line block ×3, first 2 shown]
	s_add_u32 s2, s2, 8
	s_waitcnt lgkmcnt(3)
	v_mul_f32_e32 v16, v39, v35
	v_mul_f32_e32 v27, v38, v35
	v_fma_f32 v16, v38, v34, -v16
	v_fmac_f32_e32 v27, v39, v34
	v_add_f32_e32 v16, v30, v16
	v_add_f32_e32 v50, v32, v27
	ds_read_b128 v[30:33], v25 offset:1024
	v_mul_f32_e32 v27, v39, v37
	v_mul_f32_e32 v29, v38, v37
	v_fma_f32 v27, v38, v36, -v27
	v_fmac_f32_e32 v29, v39, v36
	v_add_f32_e32 v38, v26, v27
	v_add_f32_e32 v39, v28, v29
	ds_read_b128 v[26:29], v25 offset:1040
	s_waitcnt lgkmcnt(1)
	v_mul_f32_e32 v46, v31, v35
	v_fma_f32 v46, v30, v34, -v46
	v_add_f32_e32 v22, v22, v46
	ds_read2_b64 v[46:49], v23 offset0:32 offset1:48
	v_mul_f32_e32 v35, v30, v35
	v_fmac_f32_e32 v35, v31, v34
	v_mul_f32_e32 v34, v31, v37
	v_fma_f32 v34, v30, v36, -v34
	v_mul_f32_e32 v30, v30, v37
	v_fmac_f32_e32 v30, v31, v36
	v_add_f32_e32 v20, v20, v30
	s_waitcnt lgkmcnt(0)
	v_mul_f32_e32 v30, v41, v47
	v_mul_f32_e32 v31, v40, v47
	v_fma_f32 v30, v40, v46, -v30
	v_fmac_f32_e32 v31, v41, v46
	v_add_f32_e32 v18, v18, v34
	v_add_f32_e32 v16, v16, v30
	;; [unrolled: 1-line block ×3, first 2 shown]
	v_mul_f32_e32 v31, v41, v49
	v_mul_f32_e32 v34, v40, v49
	v_fma_f32 v31, v40, v48, -v31
	v_fmac_f32_e32 v34, v41, v48
	v_add_f32_e32 v31, v38, v31
	v_add_f32_e32 v38, v39, v34
	v_mul_f32_e32 v34, v33, v47
	v_add_f32_e32 v24, v24, v35
	v_fma_f32 v34, v32, v46, -v34
	v_mul_f32_e32 v35, v32, v47
	v_fmac_f32_e32 v35, v33, v46
	v_add_f32_e32 v22, v22, v34
	v_mul_f32_e32 v34, v33, v49
	v_add_f32_e32 v24, v24, v35
	v_fma_f32 v39, v32, v48, -v34
	ds_read2_b64 v[34:37], v23 offset0:64 offset1:80
	v_mul_f32_e32 v32, v32, v49
	v_fmac_f32_e32 v32, v33, v48
	v_add_f32_e32 v18, v18, v39
	v_add_f32_e32 v20, v20, v32
	s_waitcnt lgkmcnt(0)
	v_mul_f32_e32 v33, v42, v35
	v_fmac_f32_e32 v33, v43, v34
	v_add_f32_e32 v39, v30, v33
	v_mul_f32_e32 v30, v43, v37
	v_mul_f32_e32 v32, v43, v35
	v_fma_f32 v30, v42, v36, -v30
	v_fma_f32 v32, v42, v34, -v32
	v_add_f32_e32 v40, v31, v30
	v_mul_f32_e32 v30, v27, v35
	v_add_f32_e32 v16, v16, v32
	v_mul_f32_e32 v32, v42, v37
	v_fma_f32 v30, v26, v34, -v30
	v_mul_f32_e32 v31, v26, v35
	v_fmac_f32_e32 v32, v43, v36
	v_fmac_f32_e32 v31, v27, v34
	v_add_f32_e32 v22, v22, v30
	v_mul_f32_e32 v30, v27, v37
	v_add_f32_e32 v38, v38, v32
	v_add_f32_e32 v24, v24, v31
	v_fma_f32 v34, v26, v36, -v30
	ds_read2_b64 v[30:33], v23 offset0:96 offset1:112
	v_mul_f32_e32 v26, v26, v37
	v_fmac_f32_e32 v26, v27, v36
	v_add_f32_e32 v20, v20, v26
	v_add_f32_e32 v18, v18, v34
	s_waitcnt lgkmcnt(0)
	v_mul_f32_e32 v26, v45, v31
	v_mul_f32_e32 v27, v44, v31
	v_fma_f32 v26, v44, v30, -v26
	v_fmac_f32_e32 v27, v45, v30
	v_add_f32_e32 v16, v16, v26
	v_add_f32_e32 v26, v39, v27
	v_mul_f32_e32 v27, v45, v33
	v_mul_f32_e32 v34, v44, v33
	v_fma_f32 v27, v44, v32, -v27
	v_fmac_f32_e32 v34, v45, v32
	v_add_f32_e32 v39, v40, v27
	v_add_f32_e32 v38, v38, v34
	v_mul_f32_e32 v27, v29, v31
	ds_read2_b64 v[34:37], v23 offset0:128 offset1:144
	v_fma_f32 v27, v28, v30, -v27
	v_add_f32_e32 v22, v22, v27
	v_mul_f32_e32 v27, v29, v33
	v_mul_f32_e32 v31, v28, v31
	v_fma_f32 v27, v28, v32, -v27
	v_mul_f32_e32 v28, v28, v33
	v_fmac_f32_e32 v28, v29, v32
	v_add_f32_e32 v20, v20, v28
	s_waitcnt lgkmcnt(0)
	v_mul_f32_e32 v28, v4, v35
	v_add_f32_e32 v18, v18, v27
	v_mul_f32_e32 v27, v5, v35
	v_fmac_f32_e32 v28, v5, v34
	v_fma_f32 v27, v4, v34, -v27
	v_add_f32_e32 v42, v26, v28
	v_mul_f32_e32 v26, v5, v37
	v_fmac_f32_e32 v31, v29, v30
	v_add_f32_e32 v16, v16, v27
	v_fma_f32 v30, v4, v36, -v26
	ds_read_b128 v[26:29], v25 offset:1056
	v_mul_f32_e32 v4, v4, v37
	v_fmac_f32_e32 v4, v5, v36
	v_add_f32_e32 v5, v39, v30
	v_add_f32_e32 v4, v38, v4
	ds_read_b128 v[38:41], v25 offset:1072
	s_waitcnt lgkmcnt(1)
	v_mul_f32_e32 v30, v27, v35
	v_add_f32_e32 v24, v24, v31
	v_fma_f32 v30, v26, v34, -v30
	v_mul_f32_e32 v31, v26, v35
	v_fmac_f32_e32 v31, v27, v34
	v_add_f32_e32 v22, v22, v30
	v_mul_f32_e32 v30, v27, v37
	v_add_f32_e32 v24, v24, v31
	v_fma_f32 v34, v26, v36, -v30
	ds_read2_b64 v[30:33], v23 offset0:160 offset1:176
	v_mul_f32_e32 v26, v26, v37
	v_fmac_f32_e32 v26, v27, v36
	v_add_f32_e32 v20, v20, v26
	v_add_f32_e32 v18, v18, v34
	s_waitcnt lgkmcnt(0)
	v_mul_f32_e32 v26, v7, v31
	v_mul_f32_e32 v27, v6, v31
	v_fma_f32 v26, v6, v30, -v26
	v_fmac_f32_e32 v27, v7, v30
	v_add_f32_e32 v16, v16, v26
	v_add_f32_e32 v26, v42, v27
	v_mul_f32_e32 v27, v7, v33
	v_fma_f32 v27, v6, v32, -v27
	v_mul_f32_e32 v6, v6, v33
	v_fmac_f32_e32 v6, v7, v32
	v_add_f32_e32 v34, v4, v6
	v_mul_f32_e32 v4, v29, v31
	v_add_f32_e32 v27, v5, v27
	v_fma_f32 v4, v28, v30, -v4
	v_mul_f32_e32 v5, v28, v31
	v_fmac_f32_e32 v5, v29, v30
	v_add_f32_e32 v22, v22, v4
	v_mul_f32_e32 v4, v29, v33
	v_add_f32_e32 v24, v24, v5
	v_fma_f32 v30, v28, v32, -v4
	ds_read2_b64 v[4:7], v23 offset0:192 offset1:208
	v_mul_f32_e32 v28, v28, v33
	v_fmac_f32_e32 v28, v29, v32
	v_add_f32_e32 v20, v20, v28
	v_add_f32_e32 v18, v18, v30
	s_waitcnt lgkmcnt(0)
	v_mul_f32_e32 v28, v1, v5
	v_fma_f32 v28, v0, v4, -v28
	v_add_f32_e32 v16, v16, v28
	v_mul_f32_e32 v28, v1, v7
	v_mul_f32_e32 v29, v0, v5
	v_fma_f32 v28, v0, v6, -v28
	v_mul_f32_e32 v0, v0, v7
	v_fmac_f32_e32 v0, v1, v6
	v_add_f32_e32 v0, v34, v0
	ds_read2_b64 v[34:37], v23 offset0:224 offset1:240
	v_fmac_f32_e32 v29, v1, v4
	v_add_f32_e32 v1, v27, v28
	v_mul_f32_e32 v27, v39, v5
	v_fma_f32 v27, v38, v4, -v27
	v_mul_f32_e32 v5, v38, v5
	v_fmac_f32_e32 v5, v39, v4
	v_add_f32_e32 v4, v22, v27
	v_mul_f32_e32 v22, v39, v7
	v_fma_f32 v22, v38, v6, -v22
	v_mul_f32_e32 v7, v38, v7
	v_fmac_f32_e32 v7, v39, v6
	v_add_f32_e32 v6, v18, v22
	s_waitcnt lgkmcnt(0)
	v_mul_f32_e32 v18, v3, v35
	v_fma_f32 v18, v2, v34, -v18
	v_add_f32_e32 v30, v16, v18
	v_mul_f32_e32 v16, v3, v37
	v_add_f32_e32 v7, v20, v7
	v_mul_f32_e32 v20, v2, v35
	v_fma_f32 v16, v2, v36, -v16
	v_mul_f32_e32 v2, v2, v37
	v_add_f32_e32 v26, v26, v29
	v_fmac_f32_e32 v20, v3, v34
	v_fmac_f32_e32 v2, v3, v36
	v_add_f32_e32 v32, v26, v20
	v_add_f32_e32 v26, v1, v16
	;; [unrolled: 1-line block ×3, first 2 shown]
	v_mul_f32_e32 v0, v41, v35
	v_mul_f32_e32 v1, v40, v35
	v_add_f32_e32 v5, v24, v5
	v_fma_f32 v0, v40, v34, -v0
	v_fmac_f32_e32 v1, v41, v34
	v_add_f32_e32 v22, v4, v0
	v_add_f32_e32 v24, v5, v1
	v_mul_f32_e32 v0, v41, v37
	v_mul_f32_e32 v1, v40, v37
	v_fma_f32 v0, v40, v36, -v0
	v_fmac_f32_e32 v1, v41, v36
	s_addc_u32 s3, s3, 0
	v_add_f32_e32 v18, v6, v0
	v_add_f32_e32 v20, v7, v1
	v_mov_b64_e32 v[0:1], s[2:3]
	v_cmp_gt_i64_e32 vcc, s[8:9], v[0:1]
	s_barrier
	s_cbranch_vccz .LBB518_16
.LBB518_8:                              ; =>This Inner Loop Header: Depth=1
	v_mov_b32_e32 v0, 0
	v_mov_b32_e32 v1, 0
	s_and_saveexec_b64 s[14:15], s[0:1]
	s_cbranch_execz .LBB518_12
; %bb.9:                                ;   in Loop: Header=BB518_8 Depth=1
	v_add_u32_e32 v16, s2, v10
	v_cmp_gt_u64_e32 vcc, s[8:9], v[16:17]
	v_mov_b32_e32 v1, 0
	v_mov_b32_e32 v0, 0
	s_and_saveexec_b64 s[16:17], vcc
	s_cbranch_execz .LBB518_11
; %bb.10:                               ;   in Loop: Header=BB518_8 Depth=1
	v_lshl_add_u64 v[0:1], v[16:17], 3, v[12:13]
	flat_load_dwordx2 v[0:1], v[0:1]
.LBB518_11:                             ;   in Loop: Header=BB518_8 Depth=1
	s_or_b64 exec, exec, s[16:17]
.LBB518_12:                             ;   in Loop: Header=BB518_8 Depth=1
	s_or_b64 exec, exec, s[14:15]
	v_add_u32_e32 v16, s2, v8
	v_cmp_le_u64_e32 vcc, s[8:9], v[16:17]
	s_or_b64 s[14:15], vcc, s[12:13]
	s_waitcnt vmcnt(0) lgkmcnt(0)
	ds_write_b64 v19, v[0:1]
	s_and_saveexec_b64 s[16:17], s[14:15]
	s_xor_b64 s[14:15], exec, s[16:17]
; %bb.13:                               ;   in Loop: Header=BB518_8 Depth=1
	ds_write_b32 v21, v17
; %bb.14:                               ;   in Loop: Header=BB518_8 Depth=1
	s_or_saveexec_b64 s[14:15], s[14:15]
	v_mov_b32_e32 v0, 0
	s_xor_b64 exec, exec, s[14:15]
	s_cbranch_execz .LBB518_7
; %bb.15:                               ;   in Loop: Header=BB518_8 Depth=1
	v_mad_u64_u32 v[0:1], s[16:17], s20, v16, 0
	v_mov_b32_e32 v2, v1
	v_mad_u64_u32 v[2:3], s[16:17], s21, v16, v[2:3]
	v_mov_b32_e32 v1, v2
	v_lshl_add_u64 v[0:1], v[0:1], 3, v[14:15]
	flat_load_dwordx2 v[2:3], v[0:1]
	s_waitcnt vmcnt(0) lgkmcnt(0)
	v_xor_b32_e32 v0, 0x80000000, v3
	ds_write_b32 v21, v2
	s_branch .LBB518_7
.LBB518_16:
	s_lshl_b64 s[0:1], s[30:31], 3
	v_add_u32_e32 v10, s26, v11
	s_waitcnt lgkmcnt(0)
	s_add_u32 s8, s4, s0
	v_ashrrev_i32_e32 v1, 31, v10
	s_addc_u32 s9, s5, s1
	v_cmp_neq_f32_e64 s[0:1], s6, 0
	s_xor_b64 s[4:5], s[10:11], -1
	v_mul_lo_u32 v1, s28, v1
	v_mul_lo_u32 v4, s29, v10
	v_mad_u64_u32 v[2:3], s[2:3], s28, v10, 0
	v_add_u32_e32 v0, s25, v9
	v_add3_u32 v3, v3, v1, v4
	s_or_b64 s[0:1], s[0:1], s[4:5]
	v_lshl_add_u64 v[4:5], v[2:3], 3, s[8:9]
	v_cmp_le_i32_e32 vcc, v10, v0
	v_cmp_gt_i32_e64 s[2:3], s24, v0
	v_cndmask_b32_e64 v2, 0, 1, s[0:1]
	s_and_b64 s[10:11], vcc, s[2:3]
	v_ashrrev_i32_e32 v1, 31, v0
	v_cmp_ne_u32_e64 s[0:1], 1, v2
	s_and_saveexec_b64 s[4:5], s[10:11]
	s_cbranch_execz .LBB518_20
; %bb.17:
	v_pk_mul_f32 v[6:7], v[32:33], s[34:35] op_sel:[0,1] op_sel_hi:[0,0]
	v_pk_fma_f32 v[2:3], v[30:31], s[34:35], v[6:7] op_sel_hi:[0,1,1] neg_lo:[0,0,1] neg_hi:[0,0,1]
	v_pk_fma_f32 v[8:9], v[30:31], s[34:35], v[6:7] op_sel_hi:[0,1,1]
	s_and_b64 vcc, exec, s[0:1]
	v_lshl_add_u64 v[6:7], v[0:1], 3, v[4:5]
	s_cbranch_vccnz .LBB518_19
; %bb.18:
	flat_load_dwordx2 v[12:13], v[6:7]
	s_mov_b32 s10, s7
	v_mov_b32_e32 v3, v9
	s_waitcnt vmcnt(0) lgkmcnt(0)
	v_pk_mul_f32 v[8:9], v[12:13], s[10:11] op_sel:[1,0] op_sel_hi:[0,0]
	v_pk_fma_f32 v[14:15], v[12:13], s[6:7], v[8:9] neg_lo:[0,0,1] neg_hi:[0,0,1]
	v_pk_fma_f32 v[8:9], v[12:13], s[6:7], v[8:9] op_sel_hi:[1,0,1]
	s_nop 0
	v_mov_b32_e32 v15, v9
	v_pk_add_f32 v[2:3], v[2:3], v[14:15]
	s_nop 0
	v_mov_b32_e32 v9, v3
.LBB518_19:
	v_mov_b32_e32 v3, v9
	flat_store_dwordx2 v[6:7], v[2:3]
.LBB518_20:
	s_or_b64 exec, exec, s[4:5]
	v_add_u32_e32 v2, 16, v0
	v_cmp_le_i32_e32 vcc, v10, v2
	v_cmp_gt_i32_e64 s[4:5], s24, v2
	s_and_b64 s[12:13], vcc, s[4:5]
	v_ashrrev_i32_e32 v3, 31, v2
	s_and_saveexec_b64 s[10:11], s[12:13]
	s_cbranch_execz .LBB518_24
; %bb.21:
	v_pk_mul_f32 v[8:9], v[28:29], s[34:35] op_sel:[0,1] op_sel_hi:[0,0]
	v_pk_fma_f32 v[6:7], v[26:27], s[34:35], v[8:9] op_sel_hi:[0,1,1] neg_lo:[0,0,1] neg_hi:[0,0,1]
	v_pk_fma_f32 v[8:9], v[26:27], s[34:35], v[8:9] op_sel_hi:[0,1,1]
	s_and_b64 vcc, exec, s[0:1]
	v_lshl_add_u64 v[4:5], v[2:3], 3, v[4:5]
	s_cbranch_vccnz .LBB518_23
; %bb.22:
	flat_load_dwordx2 v[12:13], v[4:5]
	s_mov_b32 s12, s7
	v_mov_b32_e32 v7, v9
	s_waitcnt vmcnt(0) lgkmcnt(0)
	v_pk_mul_f32 v[8:9], v[12:13], s[12:13] op_sel:[1,0] op_sel_hi:[0,0]
	v_pk_fma_f32 v[14:15], v[12:13], s[6:7], v[8:9] neg_lo:[0,0,1] neg_hi:[0,0,1]
	v_pk_fma_f32 v[8:9], v[12:13], s[6:7], v[8:9] op_sel_hi:[1,0,1]
	s_nop 0
	v_mov_b32_e32 v15, v9
	v_pk_add_f32 v[6:7], v[6:7], v[14:15]
	s_nop 0
	v_mov_b32_e32 v9, v7
.LBB518_23:
	v_mov_b32_e32 v7, v9
	flat_store_dwordx2 v[4:5], v[6:7]
.LBB518_24:
	s_or_b64 exec, exec, s[10:11]
	v_add_u32_e32 v10, 16, v10
	v_ashrrev_i32_e32 v4, 31, v10
	v_mul_lo_u32 v6, s28, v4
	v_mul_lo_u32 v7, s29, v10
	v_mad_u64_u32 v[4:5], s[10:11], s28, v10, 0
	v_add3_u32 v5, v5, v6, v7
	v_cmp_le_i32_e32 vcc, v10, v0
	v_lshl_add_u64 v[4:5], v[4:5], 3, s[8:9]
	s_and_b64 s[8:9], vcc, s[2:3]
	s_and_saveexec_b64 s[2:3], s[8:9]
	s_cbranch_execz .LBB518_28
; %bb.25:
	v_pk_mul_f32 v[8:9], v[24:25], s[34:35] op_sel:[0,1] op_sel_hi:[0,0]
	v_pk_fma_f32 v[6:7], v[22:23], s[34:35], v[8:9] op_sel_hi:[0,1,1] neg_lo:[0,0,1] neg_hi:[0,0,1]
	v_pk_fma_f32 v[8:9], v[22:23], s[34:35], v[8:9] op_sel_hi:[0,1,1]
	s_and_b64 vcc, exec, s[0:1]
	v_lshl_add_u64 v[0:1], v[0:1], 3, v[4:5]
	s_cbranch_vccnz .LBB518_27
; %bb.26:
	flat_load_dwordx2 v[12:13], v[0:1]
	s_mov_b32 s8, s7
	v_mov_b32_e32 v7, v9
	s_waitcnt vmcnt(0) lgkmcnt(0)
	v_pk_mul_f32 v[8:9], v[12:13], s[8:9] op_sel:[1,0] op_sel_hi:[0,0]
	v_pk_fma_f32 v[14:15], v[12:13], s[6:7], v[8:9] neg_lo:[0,0,1] neg_hi:[0,0,1]
	v_pk_fma_f32 v[8:9], v[12:13], s[6:7], v[8:9] op_sel_hi:[1,0,1]
	s_nop 0
	v_mov_b32_e32 v15, v9
	v_pk_add_f32 v[6:7], v[6:7], v[14:15]
	s_nop 0
	v_mov_b32_e32 v9, v7
.LBB518_27:
	v_mov_b32_e32 v7, v9
	flat_store_dwordx2 v[0:1], v[6:7]
.LBB518_28:
	s_or_b64 exec, exec, s[2:3]
	v_cmp_le_i32_e32 vcc, v10, v2
	s_and_b64 s[2:3], vcc, s[4:5]
	s_and_saveexec_b64 s[4:5], s[2:3]
	s_cbranch_execz .LBB518_32
; %bb.29:
	v_pk_mul_f32 v[6:7], v[20:21], s[34:35] op_sel:[0,1] op_sel_hi:[0,0]
	v_pk_fma_f32 v[0:1], v[18:19], s[34:35], v[6:7] op_sel_hi:[0,1,1] neg_lo:[0,0,1] neg_hi:[0,0,1]
	v_pk_fma_f32 v[6:7], v[18:19], s[34:35], v[6:7] op_sel_hi:[0,1,1]
	s_and_b64 vcc, exec, s[0:1]
	v_lshl_add_u64 v[2:3], v[2:3], 3, v[4:5]
	s_cbranch_vccnz .LBB518_31
; %bb.30:
	flat_load_dwordx2 v[4:5], v[2:3]
	s_mov_b32 s0, s7
	v_mov_b32_e32 v1, v7
	s_waitcnt vmcnt(0) lgkmcnt(0)
	v_pk_mul_f32 v[6:7], v[4:5], s[0:1] op_sel:[1,0] op_sel_hi:[0,0]
	v_pk_fma_f32 v[8:9], v[4:5], s[6:7], v[6:7] neg_lo:[0,0,1] neg_hi:[0,0,1]
	v_pk_fma_f32 v[4:5], v[4:5], s[6:7], v[6:7] op_sel_hi:[1,0,1]
	s_nop 0
	v_mov_b32_e32 v9, v5
	v_pk_add_f32 v[0:1], v[0:1], v[8:9]
	s_nop 0
	v_mov_b32_e32 v7, v1
.LBB518_31:
	v_mov_b32_e32 v1, v7
	flat_store_dwordx2 v[2:3], v[0:1]
.LBB518_32:
	s_endpgm
	.section	.rodata,"a",@progbits
	.p2align	6, 0x0
	.amdhsa_kernel _ZL29rocblas_internal_gemmt_kernelIlLi16ELi32ELi8ELc84ELc67ELc76ELb0ELb1E19rocblas_complex_numIfEPKS1_PKS3_PKPS1_EviT_T9_T10_S9_lSB_S9_lSA_T11_S9_li
		.amdhsa_group_segment_fixed_size 4096
		.amdhsa_private_segment_fixed_size 0
		.amdhsa_kernarg_size 108
		.amdhsa_user_sgpr_count 2
		.amdhsa_user_sgpr_dispatch_ptr 0
		.amdhsa_user_sgpr_queue_ptr 0
		.amdhsa_user_sgpr_kernarg_segment_ptr 1
		.amdhsa_user_sgpr_dispatch_id 0
		.amdhsa_user_sgpr_kernarg_preload_length 0
		.amdhsa_user_sgpr_kernarg_preload_offset 0
		.amdhsa_user_sgpr_private_segment_size 0
		.amdhsa_uses_dynamic_stack 0
		.amdhsa_enable_private_segment 0
		.amdhsa_system_sgpr_workgroup_id_x 1
		.amdhsa_system_sgpr_workgroup_id_y 1
		.amdhsa_system_sgpr_workgroup_id_z 1
		.amdhsa_system_sgpr_workgroup_info 0
		.amdhsa_system_vgpr_workitem_id 1
		.amdhsa_next_free_vgpr 51
		.amdhsa_next_free_sgpr 40
		.amdhsa_accum_offset 52
		.amdhsa_reserve_vcc 1
		.amdhsa_float_round_mode_32 0
		.amdhsa_float_round_mode_16_64 0
		.amdhsa_float_denorm_mode_32 3
		.amdhsa_float_denorm_mode_16_64 3
		.amdhsa_dx10_clamp 1
		.amdhsa_ieee_mode 1
		.amdhsa_fp16_overflow 0
		.amdhsa_tg_split 0
		.amdhsa_exception_fp_ieee_invalid_op 0
		.amdhsa_exception_fp_denorm_src 0
		.amdhsa_exception_fp_ieee_div_zero 0
		.amdhsa_exception_fp_ieee_overflow 0
		.amdhsa_exception_fp_ieee_underflow 0
		.amdhsa_exception_fp_ieee_inexact 0
		.amdhsa_exception_int_div_zero 0
	.end_amdhsa_kernel
	.section	.text._ZL29rocblas_internal_gemmt_kernelIlLi16ELi32ELi8ELc84ELc67ELc76ELb0ELb1E19rocblas_complex_numIfEPKS1_PKS3_PKPS1_EviT_T9_T10_S9_lSB_S9_lSA_T11_S9_li,"axG",@progbits,_ZL29rocblas_internal_gemmt_kernelIlLi16ELi32ELi8ELc84ELc67ELc76ELb0ELb1E19rocblas_complex_numIfEPKS1_PKS3_PKPS1_EviT_T9_T10_S9_lSB_S9_lSA_T11_S9_li,comdat
.Lfunc_end518:
	.size	_ZL29rocblas_internal_gemmt_kernelIlLi16ELi32ELi8ELc84ELc67ELc76ELb0ELb1E19rocblas_complex_numIfEPKS1_PKS3_PKPS1_EviT_T9_T10_S9_lSB_S9_lSA_T11_S9_li, .Lfunc_end518-_ZL29rocblas_internal_gemmt_kernelIlLi16ELi32ELi8ELc84ELc67ELc76ELb0ELb1E19rocblas_complex_numIfEPKS1_PKS3_PKPS1_EviT_T9_T10_S9_lSB_S9_lSA_T11_S9_li
                                        ; -- End function
	.set _ZL29rocblas_internal_gemmt_kernelIlLi16ELi32ELi8ELc84ELc67ELc76ELb0ELb1E19rocblas_complex_numIfEPKS1_PKS3_PKPS1_EviT_T9_T10_S9_lSB_S9_lSA_T11_S9_li.num_vgpr, 51
	.set _ZL29rocblas_internal_gemmt_kernelIlLi16ELi32ELi8ELc84ELc67ELc76ELb0ELb1E19rocblas_complex_numIfEPKS1_PKS3_PKPS1_EviT_T9_T10_S9_lSB_S9_lSA_T11_S9_li.num_agpr, 0
	.set _ZL29rocblas_internal_gemmt_kernelIlLi16ELi32ELi8ELc84ELc67ELc76ELb0ELb1E19rocblas_complex_numIfEPKS1_PKS3_PKPS1_EviT_T9_T10_S9_lSB_S9_lSA_T11_S9_li.numbered_sgpr, 40
	.set _ZL29rocblas_internal_gemmt_kernelIlLi16ELi32ELi8ELc84ELc67ELc76ELb0ELb1E19rocblas_complex_numIfEPKS1_PKS3_PKPS1_EviT_T9_T10_S9_lSB_S9_lSA_T11_S9_li.num_named_barrier, 0
	.set _ZL29rocblas_internal_gemmt_kernelIlLi16ELi32ELi8ELc84ELc67ELc76ELb0ELb1E19rocblas_complex_numIfEPKS1_PKS3_PKPS1_EviT_T9_T10_S9_lSB_S9_lSA_T11_S9_li.private_seg_size, 0
	.set _ZL29rocblas_internal_gemmt_kernelIlLi16ELi32ELi8ELc84ELc67ELc76ELb0ELb1E19rocblas_complex_numIfEPKS1_PKS3_PKPS1_EviT_T9_T10_S9_lSB_S9_lSA_T11_S9_li.uses_vcc, 1
	.set _ZL29rocblas_internal_gemmt_kernelIlLi16ELi32ELi8ELc84ELc67ELc76ELb0ELb1E19rocblas_complex_numIfEPKS1_PKS3_PKPS1_EviT_T9_T10_S9_lSB_S9_lSA_T11_S9_li.uses_flat_scratch, 0
	.set _ZL29rocblas_internal_gemmt_kernelIlLi16ELi32ELi8ELc84ELc67ELc76ELb0ELb1E19rocblas_complex_numIfEPKS1_PKS3_PKPS1_EviT_T9_T10_S9_lSB_S9_lSA_T11_S9_li.has_dyn_sized_stack, 0
	.set _ZL29rocblas_internal_gemmt_kernelIlLi16ELi32ELi8ELc84ELc67ELc76ELb0ELb1E19rocblas_complex_numIfEPKS1_PKS3_PKPS1_EviT_T9_T10_S9_lSB_S9_lSA_T11_S9_li.has_recursion, 0
	.set _ZL29rocblas_internal_gemmt_kernelIlLi16ELi32ELi8ELc84ELc67ELc76ELb0ELb1E19rocblas_complex_numIfEPKS1_PKS3_PKPS1_EviT_T9_T10_S9_lSB_S9_lSA_T11_S9_li.has_indirect_call, 0
	.section	.AMDGPU.csdata,"",@progbits
; Kernel info:
; codeLenInByte = 2548
; TotalNumSgprs: 46
; NumVgprs: 51
; NumAgprs: 0
; TotalNumVgprs: 51
; ScratchSize: 0
; MemoryBound: 0
; FloatMode: 240
; IeeeMode: 1
; LDSByteSize: 4096 bytes/workgroup (compile time only)
; SGPRBlocks: 5
; VGPRBlocks: 6
; NumSGPRsForWavesPerEU: 46
; NumVGPRsForWavesPerEU: 51
; AccumOffset: 52
; Occupancy: 8
; WaveLimiterHint : 1
; COMPUTE_PGM_RSRC2:SCRATCH_EN: 0
; COMPUTE_PGM_RSRC2:USER_SGPR: 2
; COMPUTE_PGM_RSRC2:TRAP_HANDLER: 0
; COMPUTE_PGM_RSRC2:TGID_X_EN: 1
; COMPUTE_PGM_RSRC2:TGID_Y_EN: 1
; COMPUTE_PGM_RSRC2:TGID_Z_EN: 1
; COMPUTE_PGM_RSRC2:TIDIG_COMP_CNT: 1
; COMPUTE_PGM_RSRC3_GFX90A:ACCUM_OFFSET: 12
; COMPUTE_PGM_RSRC3_GFX90A:TG_SPLIT: 0
	.section	.text._ZL29rocblas_internal_gemmt_kernelIlLi16ELi32ELi8ELc67ELc78ELc76ELb1ELb0E19rocblas_complex_numIfEPKS1_PKS3_PKPS1_EviT_T9_T10_S9_lSB_S9_lSA_T11_S9_li,"axG",@progbits,_ZL29rocblas_internal_gemmt_kernelIlLi16ELi32ELi8ELc67ELc78ELc76ELb1ELb0E19rocblas_complex_numIfEPKS1_PKS3_PKPS1_EviT_T9_T10_S9_lSB_S9_lSA_T11_S9_li,comdat
	.globl	_ZL29rocblas_internal_gemmt_kernelIlLi16ELi32ELi8ELc67ELc78ELc76ELb1ELb0E19rocblas_complex_numIfEPKS1_PKS3_PKPS1_EviT_T9_T10_S9_lSB_S9_lSA_T11_S9_li ; -- Begin function _ZL29rocblas_internal_gemmt_kernelIlLi16ELi32ELi8ELc67ELc78ELc76ELb1ELb0E19rocblas_complex_numIfEPKS1_PKS3_PKPS1_EviT_T9_T10_S9_lSB_S9_lSA_T11_S9_li
	.p2align	8
	.type	_ZL29rocblas_internal_gemmt_kernelIlLi16ELi32ELi8ELc67ELc78ELc76ELb1ELb0E19rocblas_complex_numIfEPKS1_PKS3_PKPS1_EviT_T9_T10_S9_lSB_S9_lSA_T11_S9_li,@function
_ZL29rocblas_internal_gemmt_kernelIlLi16ELi32ELi8ELc67ELc78ELc76ELb1ELb0E19rocblas_complex_numIfEPKS1_PKS3_PKPS1_EviT_T9_T10_S9_lSB_S9_lSA_T11_S9_li: ; @_ZL29rocblas_internal_gemmt_kernelIlLi16ELi32ELi8ELc67ELc78ELc76ELb1ELb0E19rocblas_complex_numIfEPKS1_PKS3_PKPS1_EviT_T9_T10_S9_lSB_S9_lSA_T11_S9_li
; %bb.0:
	s_load_dwordx8 s[24:31], s[0:1], 0x48
	s_load_dwordx16 s[8:23], s[0:1], 0x8
	s_waitcnt lgkmcnt(0)
	s_load_dwordx2 s[6:7], s[24:25], 0x0
	s_load_dwordx2 s[34:35], s[10:11], 0x0
	s_waitcnt lgkmcnt(0)
	s_and_b32 s5, s7, 0x7fffffff
	s_cmp_eq_u32 s5, 0
	v_cmp_eq_f32_e64 s[24:25], s6, 1.0
	s_cselect_b64 s[10:11], -1, 0
	s_and_b64 s[24:25], s[24:25], s[10:11]
	s_and_b64 vcc, exec, s[24:25]
	s_cbranch_vccnz .LBB519_2
; %bb.1:
	s_mov_b64 s[24:25], -1
	s_cbranch_execz .LBB519_3
	s_branch .LBB519_4
.LBB519_2:
	s_mov_b64 s[24:25], 0
.LBB519_3:
	s_cmp_lg_u64 s[8:9], 0
	v_cmp_neq_f32_e64 s[36:37], s34, 0
	v_cmp_neq_f32_e64 s[38:39], s35, 0
	s_cselect_b64 s[24:25], -1, 0
	s_or_b64 s[36:37], s[36:37], s[38:39]
	s_and_b64 s[24:25], s[24:25], s[36:37]
.LBB519_4:
	s_andn2_b64 vcc, exec, s[24:25]
	s_cbranch_vccnz .LBB519_32
; %bb.5:
	s_mov_b32 s5, 0
	s_load_dword s24, s[0:1], 0x0
	s_lshl_b64 s[0:1], s[4:5], 3
	s_add_u32 s4, s26, s0
	s_addc_u32 s5, s27, s1
	s_load_dwordx2 s[4:5], s[4:5], 0x0
	s_lshl_b32 s25, s2, 5
	s_lshl_b32 s26, s3, 5
	v_cmp_eq_f32_e64 s[2:3], s34, 0
	v_cmp_eq_f32_e64 s[36:37], s35, 0
	s_and_b64 s[2:3], s[2:3], s[36:37]
	v_cmp_lt_i64_e64 s[36:37], s[8:9], 1
	s_or_b64 s[2:3], s[2:3], s[36:37]
	v_and_b32_e32 v9, 0x3ff, v0
	v_bfe_u32 v11, v0, 10, 10
	v_mov_b32_e32 v32, 0
	s_and_b64 vcc, exec, s[2:3]
	v_mov_b32_e32 v34, 0
	v_mov_b32_e32 v28, 0
	;; [unrolled: 1-line block ×7, first 2 shown]
	s_cbranch_vccnz .LBB519_16
; %bb.6:
	s_add_u32 s2, s18, s0
	s_addc_u32 s3, s19, s1
	s_load_dwordx2 s[2:3], s[2:3], 0x0
	s_lshl_b64 s[18:19], s[22:23], 3
	v_lshl_add_u32 v0, v11, 4, v9
	v_lshrrev_b32_e32 v10, 5, v0
	v_lshrrev_b32_e32 v2, 3, v0
	s_waitcnt lgkmcnt(0)
	s_add_u32 s18, s2, s18
	s_addc_u32 s19, s3, s19
	s_add_u32 s0, s12, s0
	s_addc_u32 s1, s13, s1
	s_load_dwordx2 s[0:1], s[0:1], 0x0
	s_lshl_b64 s[2:3], s[16:17], 3
	v_and_b32_e32 v0, 31, v0
	v_or_b32_e32 v1, s25, v0
	v_lshlrev_b32_e32 v0, 3, v0
	s_waitcnt lgkmcnt(0)
	s_add_u32 s2, s0, s2
	s_addc_u32 s3, s1, s3
	s_ashr_i32 s22, s25, 31
	v_cmp_gt_i32_e64 s[0:1], s24, v1
	v_cmp_le_i32_e64 s[12:13], s24, v1
	v_lshl_or_b32 v21, v10, 8, v0
	v_mul_lo_u32 v4, s15, v1
	v_mad_u64_u32 v[0:1], s[16:17], s14, v1, 0
	s_mul_i32 s14, s14, s22
	v_and_b32_e32 v8, 7, v9
	v_add3_u32 v1, v1, s14, v4
	v_lshl_add_u64 v[12:13], v[0:1], 3, s[2:3]
	v_lshlrev_b32_e32 v0, 3, v8
	v_add_u32_e32 v3, s26, v2
	v_lshl_or_b32 v0, v2, 6, v0
	v_add_u32_e32 v23, 0x800, v0
	v_ashrrev_i32_e32 v0, 31, v3
	v_mul_lo_u32 v2, s20, v0
	v_mul_lo_u32 v4, s21, v3
	v_mad_u64_u32 v[0:1], s[14:15], s20, v3, 0
	v_add3_u32 v1, v1, v2, v4
	v_lshl_add_u64 v[14:15], v[0:1], 3, s[18:19]
	v_mov_b32_e32 v0, 0x800
	v_cmp_gt_i32_e64 s[2:3], s24, v3
	v_lshlrev_b32_e32 v25, 3, v9
	v_lshl_add_u32 v27, v11, 6, v0
	v_mov_b32_e32 v17, 0
	s_mov_b64 s[14:15], 0
	v_mov_b32_e32 v22, 0
	v_mov_b32_e32 v20, 0
	;; [unrolled: 1-line block ×8, first 2 shown]
                                        ; implicit-def: $vgpr18_vgpr19
	s_branch .LBB519_8
.LBB519_7:                              ;   in Loop: Header=BB519_8 Depth=1
	s_or_b64 exec, exec, s[16:17]
	s_waitcnt vmcnt(0) lgkmcnt(0)
	ds_write_b64 v23, v[2:3]
	s_waitcnt lgkmcnt(0)
	s_barrier
	ds_read2_b64 v[36:39], v25 offset1:16
	ds_read_b128 v[40:43], v27
	ds_read_b128 v[44:47], v27 offset:16
	ds_read_b128 v[4:7], v27 offset:32
	;; [unrolled: 1-line block ×3, first 2 shown]
	s_add_u32 s14, s14, 8
	s_waitcnt lgkmcnt(3)
	v_mul_f32_e32 v16, v41, v37
	v_mul_f32_e32 v29, v40, v37
	v_fma_f32 v16, v40, v36, -v16
	v_fmac_f32_e32 v29, v41, v36
	v_add_f32_e32 v16, v32, v16
	v_add_f32_e32 v52, v34, v29
	ds_read_b128 v[32:35], v27 offset:1024
	v_mul_f32_e32 v29, v41, v39
	v_mul_f32_e32 v31, v40, v39
	v_fma_f32 v29, v40, v38, -v29
	v_fmac_f32_e32 v31, v41, v38
	v_add_f32_e32 v40, v28, v29
	v_add_f32_e32 v41, v30, v31
	ds_read_b128 v[28:31], v27 offset:1040
	s_waitcnt lgkmcnt(1)
	v_mul_f32_e32 v48, v33, v37
	v_fma_f32 v48, v32, v36, -v48
	v_add_f32_e32 v24, v24, v48
	ds_read2_b64 v[48:51], v25 offset0:32 offset1:48
	v_mul_f32_e32 v37, v32, v37
	v_fmac_f32_e32 v37, v33, v36
	v_mul_f32_e32 v36, v33, v39
	v_fma_f32 v36, v32, v38, -v36
	v_mul_f32_e32 v32, v32, v39
	v_fmac_f32_e32 v32, v33, v38
	v_add_f32_e32 v22, v22, v32
	s_waitcnt lgkmcnt(0)
	v_mul_f32_e32 v32, v43, v49
	v_mul_f32_e32 v33, v42, v49
	v_fma_f32 v32, v42, v48, -v32
	v_fmac_f32_e32 v33, v43, v48
	v_add_f32_e32 v20, v20, v36
	v_add_f32_e32 v16, v16, v32
	;; [unrolled: 1-line block ×3, first 2 shown]
	v_mul_f32_e32 v33, v43, v51
	v_mul_f32_e32 v36, v42, v51
	v_fma_f32 v33, v42, v50, -v33
	v_fmac_f32_e32 v36, v43, v50
	v_add_f32_e32 v33, v40, v33
	v_add_f32_e32 v40, v41, v36
	v_mul_f32_e32 v36, v35, v49
	v_add_f32_e32 v26, v26, v37
	v_fma_f32 v36, v34, v48, -v36
	v_mul_f32_e32 v37, v34, v49
	v_fmac_f32_e32 v37, v35, v48
	v_add_f32_e32 v24, v24, v36
	v_mul_f32_e32 v36, v35, v51
	v_add_f32_e32 v26, v26, v37
	v_fma_f32 v41, v34, v50, -v36
	ds_read2_b64 v[36:39], v25 offset0:64 offset1:80
	v_mul_f32_e32 v34, v34, v51
	v_fmac_f32_e32 v34, v35, v50
	v_add_f32_e32 v20, v20, v41
	v_add_f32_e32 v22, v22, v34
	s_waitcnt lgkmcnt(0)
	v_mul_f32_e32 v35, v44, v37
	v_fmac_f32_e32 v35, v45, v36
	v_add_f32_e32 v41, v32, v35
	v_mul_f32_e32 v32, v45, v39
	v_mul_f32_e32 v34, v45, v37
	v_fma_f32 v32, v44, v38, -v32
	v_fma_f32 v34, v44, v36, -v34
	v_add_f32_e32 v42, v33, v32
	v_mul_f32_e32 v32, v29, v37
	v_add_f32_e32 v16, v16, v34
	v_mul_f32_e32 v34, v44, v39
	v_fma_f32 v32, v28, v36, -v32
	v_mul_f32_e32 v33, v28, v37
	v_fmac_f32_e32 v34, v45, v38
	v_fmac_f32_e32 v33, v29, v36
	v_add_f32_e32 v24, v24, v32
	v_mul_f32_e32 v32, v29, v39
	v_add_f32_e32 v40, v40, v34
	v_add_f32_e32 v26, v26, v33
	v_fma_f32 v36, v28, v38, -v32
	ds_read2_b64 v[32:35], v25 offset0:96 offset1:112
	v_mul_f32_e32 v28, v28, v39
	v_fmac_f32_e32 v28, v29, v38
	v_add_f32_e32 v22, v22, v28
	v_add_f32_e32 v20, v20, v36
	s_waitcnt lgkmcnt(0)
	v_mul_f32_e32 v28, v47, v33
	v_mul_f32_e32 v29, v46, v33
	v_fma_f32 v28, v46, v32, -v28
	v_fmac_f32_e32 v29, v47, v32
	v_add_f32_e32 v16, v16, v28
	v_add_f32_e32 v28, v41, v29
	v_mul_f32_e32 v29, v47, v35
	v_mul_f32_e32 v36, v46, v35
	v_fma_f32 v29, v46, v34, -v29
	v_fmac_f32_e32 v36, v47, v34
	v_add_f32_e32 v41, v42, v29
	v_add_f32_e32 v40, v40, v36
	v_mul_f32_e32 v29, v31, v33
	ds_read2_b64 v[36:39], v25 offset0:128 offset1:144
	v_fma_f32 v29, v30, v32, -v29
	v_add_f32_e32 v24, v24, v29
	v_mul_f32_e32 v29, v31, v35
	v_mul_f32_e32 v33, v30, v33
	v_fma_f32 v29, v30, v34, -v29
	v_mul_f32_e32 v30, v30, v35
	v_fmac_f32_e32 v30, v31, v34
	v_add_f32_e32 v22, v22, v30
	s_waitcnt lgkmcnt(0)
	v_mul_f32_e32 v30, v4, v37
	v_add_f32_e32 v20, v20, v29
	v_mul_f32_e32 v29, v5, v37
	v_fmac_f32_e32 v30, v5, v36
	v_fma_f32 v29, v4, v36, -v29
	v_add_f32_e32 v44, v28, v30
	v_mul_f32_e32 v28, v5, v39
	v_fmac_f32_e32 v33, v31, v32
	v_add_f32_e32 v16, v16, v29
	v_fma_f32 v32, v4, v38, -v28
	ds_read_b128 v[28:31], v27 offset:1056
	v_mul_f32_e32 v4, v4, v39
	v_fmac_f32_e32 v4, v5, v38
	v_add_f32_e32 v5, v41, v32
	v_add_f32_e32 v4, v40, v4
	ds_read_b128 v[40:43], v27 offset:1072
	s_waitcnt lgkmcnt(1)
	v_mul_f32_e32 v32, v29, v37
	v_add_f32_e32 v26, v26, v33
	v_fma_f32 v32, v28, v36, -v32
	v_mul_f32_e32 v33, v28, v37
	v_fmac_f32_e32 v33, v29, v36
	v_add_f32_e32 v24, v24, v32
	v_mul_f32_e32 v32, v29, v39
	v_add_f32_e32 v26, v26, v33
	v_fma_f32 v36, v28, v38, -v32
	ds_read2_b64 v[32:35], v25 offset0:160 offset1:176
	v_mul_f32_e32 v28, v28, v39
	v_fmac_f32_e32 v28, v29, v38
	v_add_f32_e32 v22, v22, v28
	v_add_f32_e32 v20, v20, v36
	s_waitcnt lgkmcnt(0)
	v_mul_f32_e32 v28, v7, v33
	v_mul_f32_e32 v29, v6, v33
	v_fma_f32 v28, v6, v32, -v28
	v_fmac_f32_e32 v29, v7, v32
	v_add_f32_e32 v16, v16, v28
	v_add_f32_e32 v28, v44, v29
	v_mul_f32_e32 v29, v7, v35
	v_fma_f32 v29, v6, v34, -v29
	v_mul_f32_e32 v6, v6, v35
	v_fmac_f32_e32 v6, v7, v34
	v_add_f32_e32 v36, v4, v6
	v_mul_f32_e32 v4, v31, v33
	v_add_f32_e32 v29, v5, v29
	v_fma_f32 v4, v30, v32, -v4
	v_mul_f32_e32 v5, v30, v33
	v_fmac_f32_e32 v5, v31, v32
	v_add_f32_e32 v24, v24, v4
	v_mul_f32_e32 v4, v31, v35
	v_add_f32_e32 v26, v26, v5
	v_fma_f32 v32, v30, v34, -v4
	ds_read2_b64 v[4:7], v25 offset0:192 offset1:208
	v_mul_f32_e32 v30, v30, v35
	v_fmac_f32_e32 v30, v31, v34
	v_add_f32_e32 v22, v22, v30
	v_add_f32_e32 v20, v20, v32
	s_waitcnt lgkmcnt(0)
	v_mul_f32_e32 v30, v1, v5
	v_fma_f32 v30, v0, v4, -v30
	v_add_f32_e32 v16, v16, v30
	v_mul_f32_e32 v30, v1, v7
	v_mul_f32_e32 v31, v0, v5
	v_fma_f32 v30, v0, v6, -v30
	v_mul_f32_e32 v0, v0, v7
	v_fmac_f32_e32 v0, v1, v6
	v_add_f32_e32 v0, v36, v0
	ds_read2_b64 v[36:39], v25 offset0:224 offset1:240
	v_fmac_f32_e32 v31, v1, v4
	v_add_f32_e32 v1, v29, v30
	v_mul_f32_e32 v29, v41, v5
	v_fma_f32 v29, v40, v4, -v29
	v_mul_f32_e32 v5, v40, v5
	v_fmac_f32_e32 v5, v41, v4
	v_add_f32_e32 v4, v24, v29
	v_mul_f32_e32 v24, v41, v7
	v_fma_f32 v24, v40, v6, -v24
	v_mul_f32_e32 v7, v40, v7
	v_fmac_f32_e32 v7, v41, v6
	v_add_f32_e32 v6, v20, v24
	s_waitcnt lgkmcnt(0)
	v_mul_f32_e32 v20, v3, v37
	v_fma_f32 v20, v2, v36, -v20
	v_add_f32_e32 v32, v16, v20
	v_mul_f32_e32 v16, v3, v39
	v_add_f32_e32 v7, v22, v7
	v_mul_f32_e32 v22, v2, v37
	v_fma_f32 v16, v2, v38, -v16
	v_mul_f32_e32 v2, v2, v39
	v_add_f32_e32 v28, v28, v31
	v_fmac_f32_e32 v22, v3, v36
	v_fmac_f32_e32 v2, v3, v38
	v_add_f32_e32 v34, v28, v22
	v_add_f32_e32 v28, v1, v16
	;; [unrolled: 1-line block ×3, first 2 shown]
	v_mul_f32_e32 v0, v43, v37
	v_mul_f32_e32 v1, v42, v37
	v_add_f32_e32 v5, v26, v5
	v_fma_f32 v0, v42, v36, -v0
	v_fmac_f32_e32 v1, v43, v36
	v_add_f32_e32 v24, v4, v0
	v_add_f32_e32 v26, v5, v1
	v_mul_f32_e32 v0, v43, v39
	v_mul_f32_e32 v1, v42, v39
	v_fma_f32 v0, v42, v38, -v0
	v_fmac_f32_e32 v1, v43, v38
	s_addc_u32 s15, s15, 0
	v_add_f32_e32 v20, v6, v0
	v_add_f32_e32 v22, v7, v1
	v_mov_b64_e32 v[0:1], s[14:15]
	v_cmp_gt_i64_e32 vcc, s[8:9], v[0:1]
	s_barrier
	s_cbranch_vccz .LBB519_16
.LBB519_8:                              ; =>This Inner Loop Header: Depth=1
	s_mov_b64 s[20:21], s[12:13]
	s_mov_b64 s[16:17], 0
	s_and_saveexec_b64 s[18:19], s[0:1]
; %bb.9:                                ;   in Loop: Header=BB519_8 Depth=1
	v_add_u32_e32 v16, s14, v10
	v_cmp_le_u64_e32 vcc, s[8:9], v[16:17]
	s_andn2_b64 s[20:21], s[12:13], exec
	s_and_b64 s[22:23], vcc, exec
	s_mov_b64 s[16:17], exec
	s_or_b64 s[20:21], s[20:21], s[22:23]
	v_mov_b64_e32 v[18:19], v[16:17]
; %bb.10:                               ;   in Loop: Header=BB519_8 Depth=1
	s_or_b64 exec, exec, s[18:19]
	s_and_saveexec_b64 s[18:19], s[20:21]
	s_xor_b64 s[18:19], exec, s[18:19]
; %bb.11:                               ;   in Loop: Header=BB519_8 Depth=1
	ds_write_b32 v21, v17
	s_andn2_b64 s[16:17], s[16:17], exec
; %bb.12:                               ;   in Loop: Header=BB519_8 Depth=1
	s_or_b64 exec, exec, s[18:19]
	v_mov_b32_e32 v2, 0
	v_mov_b32_e32 v0, 0
	s_and_saveexec_b64 s[18:19], s[16:17]
	s_cbranch_execz .LBB519_14
; %bb.13:                               ;   in Loop: Header=BB519_8 Depth=1
	v_lshl_add_u64 v[0:1], v[18:19], 3, v[12:13]
	flat_load_dwordx2 v[4:5], v[0:1]
	s_waitcnt vmcnt(0) lgkmcnt(0)
	v_xor_b32_e32 v0, 0x80000000, v5
	ds_write_b32 v21, v4
.LBB519_14:                             ;   in Loop: Header=BB519_8 Depth=1
	s_or_b64 exec, exec, s[18:19]
	v_add_u32_e32 v16, s14, v8
	v_cmp_gt_u64_e32 vcc, s[8:9], v[16:17]
	s_and_b64 s[18:19], vcc, s[2:3]
	v_mov_b32_e32 v3, 0
	ds_write_b32 v21, v0 offset:4
	s_and_saveexec_b64 s[16:17], s[18:19]
	s_cbranch_execz .LBB519_7
; %bb.15:                               ;   in Loop: Header=BB519_8 Depth=1
	v_lshl_add_u64 v[0:1], v[16:17], 3, v[14:15]
	flat_load_dwordx2 v[2:3], v[0:1]
	s_branch .LBB519_7
.LBB519_16:
	s_lshl_b64 s[0:1], s[30:31], 3
	v_add_u32_e32 v10, s26, v11
	s_waitcnt lgkmcnt(0)
	s_add_u32 s8, s4, s0
	v_ashrrev_i32_e32 v1, 31, v10
	s_addc_u32 s9, s5, s1
	v_cmp_neq_f32_e64 s[0:1], s6, 0
	s_xor_b64 s[4:5], s[10:11], -1
	v_mul_lo_u32 v1, s28, v1
	v_mul_lo_u32 v4, s29, v10
	v_mad_u64_u32 v[2:3], s[2:3], s28, v10, 0
	v_add_u32_e32 v0, s25, v9
	v_add3_u32 v3, v3, v1, v4
	s_or_b64 s[0:1], s[0:1], s[4:5]
	v_lshl_add_u64 v[4:5], v[2:3], 3, s[8:9]
	v_cmp_le_i32_e32 vcc, v10, v0
	v_cmp_gt_i32_e64 s[2:3], s24, v0
	v_cndmask_b32_e64 v2, 0, 1, s[0:1]
	s_and_b64 s[10:11], vcc, s[2:3]
	v_ashrrev_i32_e32 v1, 31, v0
	v_cmp_ne_u32_e64 s[0:1], 1, v2
	s_and_saveexec_b64 s[4:5], s[10:11]
	s_cbranch_execz .LBB519_20
; %bb.17:
	v_pk_mul_f32 v[6:7], v[34:35], s[34:35] op_sel:[0,1] op_sel_hi:[0,0]
	v_pk_fma_f32 v[2:3], v[32:33], s[34:35], v[6:7] op_sel_hi:[0,1,1] neg_lo:[0,0,1] neg_hi:[0,0,1]
	v_pk_fma_f32 v[8:9], v[32:33], s[34:35], v[6:7] op_sel_hi:[0,1,1]
	s_and_b64 vcc, exec, s[0:1]
	v_lshl_add_u64 v[6:7], v[0:1], 3, v[4:5]
	s_cbranch_vccnz .LBB519_19
; %bb.18:
	flat_load_dwordx2 v[12:13], v[6:7]
	s_mov_b32 s10, s7
	v_mov_b32_e32 v3, v9
	s_waitcnt vmcnt(0) lgkmcnt(0)
	v_pk_mul_f32 v[8:9], v[12:13], s[10:11] op_sel:[1,0] op_sel_hi:[0,0]
	v_pk_fma_f32 v[14:15], v[12:13], s[6:7], v[8:9] neg_lo:[0,0,1] neg_hi:[0,0,1]
	v_pk_fma_f32 v[8:9], v[12:13], s[6:7], v[8:9] op_sel_hi:[1,0,1]
	s_nop 0
	v_mov_b32_e32 v15, v9
	v_pk_add_f32 v[2:3], v[2:3], v[14:15]
	s_nop 0
	v_mov_b32_e32 v9, v3
.LBB519_19:
	v_mov_b32_e32 v3, v9
	flat_store_dwordx2 v[6:7], v[2:3]
.LBB519_20:
	s_or_b64 exec, exec, s[4:5]
	v_add_u32_e32 v2, 16, v0
	v_cmp_le_i32_e32 vcc, v10, v2
	v_cmp_gt_i32_e64 s[4:5], s24, v2
	s_and_b64 s[12:13], vcc, s[4:5]
	v_ashrrev_i32_e32 v3, 31, v2
	s_and_saveexec_b64 s[10:11], s[12:13]
	s_cbranch_execz .LBB519_24
; %bb.21:
	v_pk_mul_f32 v[8:9], v[30:31], s[34:35] op_sel:[0,1] op_sel_hi:[0,0]
	v_pk_fma_f32 v[6:7], v[28:29], s[34:35], v[8:9] op_sel_hi:[0,1,1] neg_lo:[0,0,1] neg_hi:[0,0,1]
	v_pk_fma_f32 v[8:9], v[28:29], s[34:35], v[8:9] op_sel_hi:[0,1,1]
	s_and_b64 vcc, exec, s[0:1]
	v_lshl_add_u64 v[4:5], v[2:3], 3, v[4:5]
	s_cbranch_vccnz .LBB519_23
; %bb.22:
	flat_load_dwordx2 v[12:13], v[4:5]
	s_mov_b32 s12, s7
	v_mov_b32_e32 v7, v9
	s_waitcnt vmcnt(0) lgkmcnt(0)
	v_pk_mul_f32 v[8:9], v[12:13], s[12:13] op_sel:[1,0] op_sel_hi:[0,0]
	v_pk_fma_f32 v[14:15], v[12:13], s[6:7], v[8:9] neg_lo:[0,0,1] neg_hi:[0,0,1]
	v_pk_fma_f32 v[8:9], v[12:13], s[6:7], v[8:9] op_sel_hi:[1,0,1]
	s_nop 0
	v_mov_b32_e32 v15, v9
	v_pk_add_f32 v[6:7], v[6:7], v[14:15]
	s_nop 0
	v_mov_b32_e32 v9, v7
.LBB519_23:
	v_mov_b32_e32 v7, v9
	flat_store_dwordx2 v[4:5], v[6:7]
.LBB519_24:
	s_or_b64 exec, exec, s[10:11]
	v_add_u32_e32 v10, 16, v10
	v_ashrrev_i32_e32 v4, 31, v10
	v_mul_lo_u32 v6, s28, v4
	v_mul_lo_u32 v7, s29, v10
	v_mad_u64_u32 v[4:5], s[10:11], s28, v10, 0
	v_add3_u32 v5, v5, v6, v7
	v_cmp_le_i32_e32 vcc, v10, v0
	v_lshl_add_u64 v[4:5], v[4:5], 3, s[8:9]
	s_and_b64 s[8:9], vcc, s[2:3]
	s_and_saveexec_b64 s[2:3], s[8:9]
	s_cbranch_execz .LBB519_28
; %bb.25:
	v_pk_mul_f32 v[8:9], v[26:27], s[34:35] op_sel:[0,1] op_sel_hi:[0,0]
	v_pk_fma_f32 v[6:7], v[24:25], s[34:35], v[8:9] op_sel_hi:[0,1,1] neg_lo:[0,0,1] neg_hi:[0,0,1]
	v_pk_fma_f32 v[8:9], v[24:25], s[34:35], v[8:9] op_sel_hi:[0,1,1]
	s_and_b64 vcc, exec, s[0:1]
	v_lshl_add_u64 v[0:1], v[0:1], 3, v[4:5]
	s_cbranch_vccnz .LBB519_27
; %bb.26:
	flat_load_dwordx2 v[12:13], v[0:1]
	s_mov_b32 s8, s7
	v_mov_b32_e32 v7, v9
	s_waitcnt vmcnt(0) lgkmcnt(0)
	v_pk_mul_f32 v[8:9], v[12:13], s[8:9] op_sel:[1,0] op_sel_hi:[0,0]
	v_pk_fma_f32 v[14:15], v[12:13], s[6:7], v[8:9] neg_lo:[0,0,1] neg_hi:[0,0,1]
	v_pk_fma_f32 v[8:9], v[12:13], s[6:7], v[8:9] op_sel_hi:[1,0,1]
	s_nop 0
	v_mov_b32_e32 v15, v9
	v_pk_add_f32 v[6:7], v[6:7], v[14:15]
	s_nop 0
	v_mov_b32_e32 v9, v7
.LBB519_27:
	v_mov_b32_e32 v7, v9
	flat_store_dwordx2 v[0:1], v[6:7]
.LBB519_28:
	s_or_b64 exec, exec, s[2:3]
	v_cmp_le_i32_e32 vcc, v10, v2
	s_and_b64 s[2:3], vcc, s[4:5]
	s_and_saveexec_b64 s[4:5], s[2:3]
	s_cbranch_execz .LBB519_32
; %bb.29:
	v_pk_mul_f32 v[6:7], v[22:23], s[34:35] op_sel:[0,1] op_sel_hi:[0,0]
	v_pk_fma_f32 v[0:1], v[20:21], s[34:35], v[6:7] op_sel_hi:[0,1,1] neg_lo:[0,0,1] neg_hi:[0,0,1]
	v_pk_fma_f32 v[6:7], v[20:21], s[34:35], v[6:7] op_sel_hi:[0,1,1]
	s_and_b64 vcc, exec, s[0:1]
	v_lshl_add_u64 v[2:3], v[2:3], 3, v[4:5]
	s_cbranch_vccnz .LBB519_31
; %bb.30:
	flat_load_dwordx2 v[4:5], v[2:3]
	s_mov_b32 s0, s7
	v_mov_b32_e32 v1, v7
	s_waitcnt vmcnt(0) lgkmcnt(0)
	v_pk_mul_f32 v[6:7], v[4:5], s[0:1] op_sel:[1,0] op_sel_hi:[0,0]
	v_pk_fma_f32 v[8:9], v[4:5], s[6:7], v[6:7] neg_lo:[0,0,1] neg_hi:[0,0,1]
	v_pk_fma_f32 v[4:5], v[4:5], s[6:7], v[6:7] op_sel_hi:[1,0,1]
	s_nop 0
	v_mov_b32_e32 v9, v5
	v_pk_add_f32 v[0:1], v[0:1], v[8:9]
	s_nop 0
	v_mov_b32_e32 v7, v1
.LBB519_31:
	v_mov_b32_e32 v1, v7
	flat_store_dwordx2 v[2:3], v[0:1]
.LBB519_32:
	s_endpgm
	.section	.rodata,"a",@progbits
	.p2align	6, 0x0
	.amdhsa_kernel _ZL29rocblas_internal_gemmt_kernelIlLi16ELi32ELi8ELc67ELc78ELc76ELb1ELb0E19rocblas_complex_numIfEPKS1_PKS3_PKPS1_EviT_T9_T10_S9_lSB_S9_lSA_T11_S9_li
		.amdhsa_group_segment_fixed_size 4096
		.amdhsa_private_segment_fixed_size 0
		.amdhsa_kernarg_size 108
		.amdhsa_user_sgpr_count 2
		.amdhsa_user_sgpr_dispatch_ptr 0
		.amdhsa_user_sgpr_queue_ptr 0
		.amdhsa_user_sgpr_kernarg_segment_ptr 1
		.amdhsa_user_sgpr_dispatch_id 0
		.amdhsa_user_sgpr_kernarg_preload_length 0
		.amdhsa_user_sgpr_kernarg_preload_offset 0
		.amdhsa_user_sgpr_private_segment_size 0
		.amdhsa_uses_dynamic_stack 0
		.amdhsa_enable_private_segment 0
		.amdhsa_system_sgpr_workgroup_id_x 1
		.amdhsa_system_sgpr_workgroup_id_y 1
		.amdhsa_system_sgpr_workgroup_id_z 1
		.amdhsa_system_sgpr_workgroup_info 0
		.amdhsa_system_vgpr_workitem_id 1
		.amdhsa_next_free_vgpr 53
		.amdhsa_next_free_sgpr 40
		.amdhsa_accum_offset 56
		.amdhsa_reserve_vcc 1
		.amdhsa_float_round_mode_32 0
		.amdhsa_float_round_mode_16_64 0
		.amdhsa_float_denorm_mode_32 3
		.amdhsa_float_denorm_mode_16_64 3
		.amdhsa_dx10_clamp 1
		.amdhsa_ieee_mode 1
		.amdhsa_fp16_overflow 0
		.amdhsa_tg_split 0
		.amdhsa_exception_fp_ieee_invalid_op 0
		.amdhsa_exception_fp_denorm_src 0
		.amdhsa_exception_fp_ieee_div_zero 0
		.amdhsa_exception_fp_ieee_overflow 0
		.amdhsa_exception_fp_ieee_underflow 0
		.amdhsa_exception_fp_ieee_inexact 0
		.amdhsa_exception_int_div_zero 0
	.end_amdhsa_kernel
	.section	.text._ZL29rocblas_internal_gemmt_kernelIlLi16ELi32ELi8ELc67ELc78ELc76ELb1ELb0E19rocblas_complex_numIfEPKS1_PKS3_PKPS1_EviT_T9_T10_S9_lSB_S9_lSA_T11_S9_li,"axG",@progbits,_ZL29rocblas_internal_gemmt_kernelIlLi16ELi32ELi8ELc67ELc78ELc76ELb1ELb0E19rocblas_complex_numIfEPKS1_PKS3_PKPS1_EviT_T9_T10_S9_lSB_S9_lSA_T11_S9_li,comdat
.Lfunc_end519:
	.size	_ZL29rocblas_internal_gemmt_kernelIlLi16ELi32ELi8ELc67ELc78ELc76ELb1ELb0E19rocblas_complex_numIfEPKS1_PKS3_PKPS1_EviT_T9_T10_S9_lSB_S9_lSA_T11_S9_li, .Lfunc_end519-_ZL29rocblas_internal_gemmt_kernelIlLi16ELi32ELi8ELc67ELc78ELc76ELb1ELb0E19rocblas_complex_numIfEPKS1_PKS3_PKPS1_EviT_T9_T10_S9_lSB_S9_lSA_T11_S9_li
                                        ; -- End function
	.set _ZL29rocblas_internal_gemmt_kernelIlLi16ELi32ELi8ELc67ELc78ELc76ELb1ELb0E19rocblas_complex_numIfEPKS1_PKS3_PKPS1_EviT_T9_T10_S9_lSB_S9_lSA_T11_S9_li.num_vgpr, 53
	.set _ZL29rocblas_internal_gemmt_kernelIlLi16ELi32ELi8ELc67ELc78ELc76ELb1ELb0E19rocblas_complex_numIfEPKS1_PKS3_PKPS1_EviT_T9_T10_S9_lSB_S9_lSA_T11_S9_li.num_agpr, 0
	.set _ZL29rocblas_internal_gemmt_kernelIlLi16ELi32ELi8ELc67ELc78ELc76ELb1ELb0E19rocblas_complex_numIfEPKS1_PKS3_PKPS1_EviT_T9_T10_S9_lSB_S9_lSA_T11_S9_li.numbered_sgpr, 40
	.set _ZL29rocblas_internal_gemmt_kernelIlLi16ELi32ELi8ELc67ELc78ELc76ELb1ELb0E19rocblas_complex_numIfEPKS1_PKS3_PKPS1_EviT_T9_T10_S9_lSB_S9_lSA_T11_S9_li.num_named_barrier, 0
	.set _ZL29rocblas_internal_gemmt_kernelIlLi16ELi32ELi8ELc67ELc78ELc76ELb1ELb0E19rocblas_complex_numIfEPKS1_PKS3_PKPS1_EviT_T9_T10_S9_lSB_S9_lSA_T11_S9_li.private_seg_size, 0
	.set _ZL29rocblas_internal_gemmt_kernelIlLi16ELi32ELi8ELc67ELc78ELc76ELb1ELb0E19rocblas_complex_numIfEPKS1_PKS3_PKPS1_EviT_T9_T10_S9_lSB_S9_lSA_T11_S9_li.uses_vcc, 1
	.set _ZL29rocblas_internal_gemmt_kernelIlLi16ELi32ELi8ELc67ELc78ELc76ELb1ELb0E19rocblas_complex_numIfEPKS1_PKS3_PKPS1_EviT_T9_T10_S9_lSB_S9_lSA_T11_S9_li.uses_flat_scratch, 0
	.set _ZL29rocblas_internal_gemmt_kernelIlLi16ELi32ELi8ELc67ELc78ELc76ELb1ELb0E19rocblas_complex_numIfEPKS1_PKS3_PKPS1_EviT_T9_T10_S9_lSB_S9_lSA_T11_S9_li.has_dyn_sized_stack, 0
	.set _ZL29rocblas_internal_gemmt_kernelIlLi16ELi32ELi8ELc67ELc78ELc76ELb1ELb0E19rocblas_complex_numIfEPKS1_PKS3_PKPS1_EviT_T9_T10_S9_lSB_S9_lSA_T11_S9_li.has_recursion, 0
	.set _ZL29rocblas_internal_gemmt_kernelIlLi16ELi32ELi8ELc67ELc78ELc76ELb1ELb0E19rocblas_complex_numIfEPKS1_PKS3_PKPS1_EviT_T9_T10_S9_lSB_S9_lSA_T11_S9_li.has_indirect_call, 0
	.section	.AMDGPU.csdata,"",@progbits
; Kernel info:
; codeLenInByte = 2584
; TotalNumSgprs: 46
; NumVgprs: 53
; NumAgprs: 0
; TotalNumVgprs: 53
; ScratchSize: 0
; MemoryBound: 0
; FloatMode: 240
; IeeeMode: 1
; LDSByteSize: 4096 bytes/workgroup (compile time only)
; SGPRBlocks: 5
; VGPRBlocks: 6
; NumSGPRsForWavesPerEU: 46
; NumVGPRsForWavesPerEU: 53
; AccumOffset: 56
; Occupancy: 8
; WaveLimiterHint : 1
; COMPUTE_PGM_RSRC2:SCRATCH_EN: 0
; COMPUTE_PGM_RSRC2:USER_SGPR: 2
; COMPUTE_PGM_RSRC2:TRAP_HANDLER: 0
; COMPUTE_PGM_RSRC2:TGID_X_EN: 1
; COMPUTE_PGM_RSRC2:TGID_Y_EN: 1
; COMPUTE_PGM_RSRC2:TGID_Z_EN: 1
; COMPUTE_PGM_RSRC2:TIDIG_COMP_CNT: 1
; COMPUTE_PGM_RSRC3_GFX90A:ACCUM_OFFSET: 13
; COMPUTE_PGM_RSRC3_GFX90A:TG_SPLIT: 0
	.section	.text._ZL29rocblas_internal_gemmt_kernelIlLi16ELi32ELi8ELc67ELc84ELc76ELb1ELb0E19rocblas_complex_numIfEPKS1_PKS3_PKPS1_EviT_T9_T10_S9_lSB_S9_lSA_T11_S9_li,"axG",@progbits,_ZL29rocblas_internal_gemmt_kernelIlLi16ELi32ELi8ELc67ELc84ELc76ELb1ELb0E19rocblas_complex_numIfEPKS1_PKS3_PKPS1_EviT_T9_T10_S9_lSB_S9_lSA_T11_S9_li,comdat
	.globl	_ZL29rocblas_internal_gemmt_kernelIlLi16ELi32ELi8ELc67ELc84ELc76ELb1ELb0E19rocblas_complex_numIfEPKS1_PKS3_PKPS1_EviT_T9_T10_S9_lSB_S9_lSA_T11_S9_li ; -- Begin function _ZL29rocblas_internal_gemmt_kernelIlLi16ELi32ELi8ELc67ELc84ELc76ELb1ELb0E19rocblas_complex_numIfEPKS1_PKS3_PKPS1_EviT_T9_T10_S9_lSB_S9_lSA_T11_S9_li
	.p2align	8
	.type	_ZL29rocblas_internal_gemmt_kernelIlLi16ELi32ELi8ELc67ELc84ELc76ELb1ELb0E19rocblas_complex_numIfEPKS1_PKS3_PKPS1_EviT_T9_T10_S9_lSB_S9_lSA_T11_S9_li,@function
_ZL29rocblas_internal_gemmt_kernelIlLi16ELi32ELi8ELc67ELc84ELc76ELb1ELb0E19rocblas_complex_numIfEPKS1_PKS3_PKPS1_EviT_T9_T10_S9_lSB_S9_lSA_T11_S9_li: ; @_ZL29rocblas_internal_gemmt_kernelIlLi16ELi32ELi8ELc67ELc84ELc76ELb1ELb0E19rocblas_complex_numIfEPKS1_PKS3_PKPS1_EviT_T9_T10_S9_lSB_S9_lSA_T11_S9_li
; %bb.0:
	s_load_dwordx8 s[24:31], s[0:1], 0x48
	s_load_dwordx16 s[8:23], s[0:1], 0x8
	s_waitcnt lgkmcnt(0)
	s_load_dwordx2 s[6:7], s[24:25], 0x0
	s_load_dwordx2 s[34:35], s[10:11], 0x0
	s_waitcnt lgkmcnt(0)
	s_and_b32 s5, s7, 0x7fffffff
	s_cmp_eq_u32 s5, 0
	v_cmp_eq_f32_e64 s[24:25], s6, 1.0
	s_cselect_b64 s[10:11], -1, 0
	s_and_b64 s[24:25], s[24:25], s[10:11]
	s_and_b64 vcc, exec, s[24:25]
	s_cbranch_vccnz .LBB520_2
; %bb.1:
	s_mov_b64 s[24:25], -1
	s_cbranch_execz .LBB520_3
	s_branch .LBB520_4
.LBB520_2:
	s_mov_b64 s[24:25], 0
.LBB520_3:
	s_cmp_lg_u64 s[8:9], 0
	v_cmp_neq_f32_e64 s[36:37], s34, 0
	v_cmp_neq_f32_e64 s[38:39], s35, 0
	s_cselect_b64 s[24:25], -1, 0
	s_or_b64 s[36:37], s[36:37], s[38:39]
	s_and_b64 s[24:25], s[24:25], s[36:37]
.LBB520_4:
	s_andn2_b64 vcc, exec, s[24:25]
	s_cbranch_vccnz .LBB520_32
; %bb.5:
	s_mov_b32 s5, 0
	s_load_dword s24, s[0:1], 0x0
	s_lshl_b64 s[0:1], s[4:5], 3
	s_add_u32 s4, s26, s0
	s_addc_u32 s5, s27, s1
	s_load_dwordx2 s[4:5], s[4:5], 0x0
	s_lshl_b32 s25, s2, 5
	s_lshl_b32 s26, s3, 5
	v_cmp_eq_f32_e64 s[2:3], s34, 0
	v_cmp_eq_f32_e64 s[36:37], s35, 0
	s_and_b64 s[2:3], s[2:3], s[36:37]
	v_cmp_lt_i64_e64 s[36:37], s[8:9], 1
	s_or_b64 s[2:3], s[2:3], s[36:37]
	v_and_b32_e32 v9, 0x3ff, v0
	v_bfe_u32 v11, v0, 10, 10
	v_mov_b32_e32 v32, 0
	s_and_b64 vcc, exec, s[2:3]
	v_mov_b32_e32 v34, 0
	v_mov_b32_e32 v28, 0
	v_mov_b32_e32 v30, 0
	v_mov_b32_e32 v24, 0
	v_mov_b32_e32 v26, 0
	v_mov_b32_e32 v20, 0
	v_mov_b32_e32 v22, 0
	s_cbranch_vccnz .LBB520_16
; %bb.6:
	s_add_u32 s2, s18, s0
	s_addc_u32 s3, s19, s1
	s_load_dwordx2 s[2:3], s[2:3], 0x0
	s_lshl_b64 s[18:19], s[22:23], 3
	v_lshl_add_u32 v1, v11, 4, v9
	v_lshrrev_b32_e32 v10, 5, v1
	v_lshrrev_b32_e32 v4, 3, v1
	s_waitcnt lgkmcnt(0)
	s_add_u32 s18, s2, s18
	s_addc_u32 s19, s3, s19
	s_add_u32 s0, s12, s0
	s_addc_u32 s1, s13, s1
	s_load_dwordx2 s[0:1], s[0:1], 0x0
	s_lshl_b64 s[2:3], s[16:17], 3
	v_and_b32_e32 v1, 31, v1
	v_or_b32_e32 v2, s25, v1
	v_lshlrev_b32_e32 v1, 3, v1
	s_waitcnt lgkmcnt(0)
	s_add_u32 s2, s0, s2
	s_addc_u32 s3, s1, s3
	s_ashr_i32 s22, s25, 31
	v_and_b32_e32 v8, 7, v9
	v_cmp_gt_i32_e64 s[0:1], s24, v2
	v_cmp_le_i32_e64 s[12:13], s24, v2
	v_lshl_or_b32 v21, v10, 8, v1
	v_mul_lo_u32 v1, s15, v2
	v_mad_u64_u32 v[2:3], s[16:17], s14, v2, 0
	s_mul_i32 s14, s14, s22
	v_add3_u32 v3, v3, s14, v1
	v_lshlrev_b32_e32 v1, 3, v8
	v_add_u32_e32 v0, s26, v4
	v_lshl_or_b32 v1, v4, 6, v1
	v_add_u32_e32 v23, 0x800, v1
	v_ashrrev_i32_e32 v1, 31, v0
	v_lshl_add_u64 v[12:13], v[2:3], 3, s[2:3]
	v_cmp_gt_i32_e64 s[2:3], s24, v0
	v_lshl_add_u64 v[14:15], v[0:1], 3, s[18:19]
	v_mov_b32_e32 v0, 0x800
	v_lshlrev_b32_e32 v25, 3, v9
	v_lshl_add_u32 v27, v11, 6, v0
	v_mov_b32_e32 v17, 0
	s_mov_b64 s[14:15], 0
	v_mov_b32_e32 v22, 0
	v_mov_b32_e32 v20, 0
	;; [unrolled: 1-line block ×8, first 2 shown]
                                        ; implicit-def: $vgpr18_vgpr19
	s_branch .LBB520_8
.LBB520_7:                              ;   in Loop: Header=BB520_8 Depth=1
	s_or_b64 exec, exec, s[16:17]
	s_waitcnt vmcnt(0) lgkmcnt(0)
	ds_write_b64 v23, v[2:3]
	s_waitcnt lgkmcnt(0)
	s_barrier
	ds_read2_b64 v[36:39], v25 offset1:16
	ds_read_b128 v[40:43], v27
	ds_read_b128 v[44:47], v27 offset:16
	ds_read_b128 v[4:7], v27 offset:32
	;; [unrolled: 1-line block ×3, first 2 shown]
	s_add_u32 s14, s14, 8
	s_waitcnt lgkmcnt(3)
	v_mul_f32_e32 v16, v41, v37
	v_mul_f32_e32 v29, v40, v37
	v_fma_f32 v16, v40, v36, -v16
	v_fmac_f32_e32 v29, v41, v36
	v_add_f32_e32 v16, v32, v16
	v_add_f32_e32 v52, v34, v29
	ds_read_b128 v[32:35], v27 offset:1024
	v_mul_f32_e32 v29, v41, v39
	v_mul_f32_e32 v31, v40, v39
	v_fma_f32 v29, v40, v38, -v29
	v_fmac_f32_e32 v31, v41, v38
	v_add_f32_e32 v40, v28, v29
	v_add_f32_e32 v41, v30, v31
	ds_read_b128 v[28:31], v27 offset:1040
	s_waitcnt lgkmcnt(1)
	v_mul_f32_e32 v48, v33, v37
	v_fma_f32 v48, v32, v36, -v48
	v_add_f32_e32 v24, v24, v48
	ds_read2_b64 v[48:51], v25 offset0:32 offset1:48
	v_mul_f32_e32 v37, v32, v37
	v_fmac_f32_e32 v37, v33, v36
	v_mul_f32_e32 v36, v33, v39
	v_fma_f32 v36, v32, v38, -v36
	v_mul_f32_e32 v32, v32, v39
	v_fmac_f32_e32 v32, v33, v38
	v_add_f32_e32 v22, v22, v32
	s_waitcnt lgkmcnt(0)
	v_mul_f32_e32 v32, v43, v49
	v_mul_f32_e32 v33, v42, v49
	v_fma_f32 v32, v42, v48, -v32
	v_fmac_f32_e32 v33, v43, v48
	v_add_f32_e32 v20, v20, v36
	v_add_f32_e32 v16, v16, v32
	;; [unrolled: 1-line block ×3, first 2 shown]
	v_mul_f32_e32 v33, v43, v51
	v_mul_f32_e32 v36, v42, v51
	v_fma_f32 v33, v42, v50, -v33
	v_fmac_f32_e32 v36, v43, v50
	v_add_f32_e32 v33, v40, v33
	v_add_f32_e32 v40, v41, v36
	v_mul_f32_e32 v36, v35, v49
	v_add_f32_e32 v26, v26, v37
	v_fma_f32 v36, v34, v48, -v36
	v_mul_f32_e32 v37, v34, v49
	v_fmac_f32_e32 v37, v35, v48
	v_add_f32_e32 v24, v24, v36
	v_mul_f32_e32 v36, v35, v51
	v_add_f32_e32 v26, v26, v37
	v_fma_f32 v41, v34, v50, -v36
	ds_read2_b64 v[36:39], v25 offset0:64 offset1:80
	v_mul_f32_e32 v34, v34, v51
	v_fmac_f32_e32 v34, v35, v50
	v_add_f32_e32 v20, v20, v41
	v_add_f32_e32 v22, v22, v34
	s_waitcnt lgkmcnt(0)
	v_mul_f32_e32 v35, v44, v37
	v_fmac_f32_e32 v35, v45, v36
	v_add_f32_e32 v41, v32, v35
	v_mul_f32_e32 v32, v45, v39
	v_mul_f32_e32 v34, v45, v37
	v_fma_f32 v32, v44, v38, -v32
	v_fma_f32 v34, v44, v36, -v34
	v_add_f32_e32 v42, v33, v32
	v_mul_f32_e32 v32, v29, v37
	v_add_f32_e32 v16, v16, v34
	v_mul_f32_e32 v34, v44, v39
	v_fma_f32 v32, v28, v36, -v32
	v_mul_f32_e32 v33, v28, v37
	v_fmac_f32_e32 v34, v45, v38
	v_fmac_f32_e32 v33, v29, v36
	v_add_f32_e32 v24, v24, v32
	v_mul_f32_e32 v32, v29, v39
	v_add_f32_e32 v40, v40, v34
	v_add_f32_e32 v26, v26, v33
	v_fma_f32 v36, v28, v38, -v32
	ds_read2_b64 v[32:35], v25 offset0:96 offset1:112
	v_mul_f32_e32 v28, v28, v39
	v_fmac_f32_e32 v28, v29, v38
	v_add_f32_e32 v22, v22, v28
	v_add_f32_e32 v20, v20, v36
	s_waitcnt lgkmcnt(0)
	v_mul_f32_e32 v28, v47, v33
	v_mul_f32_e32 v29, v46, v33
	v_fma_f32 v28, v46, v32, -v28
	v_fmac_f32_e32 v29, v47, v32
	v_add_f32_e32 v16, v16, v28
	v_add_f32_e32 v28, v41, v29
	v_mul_f32_e32 v29, v47, v35
	v_mul_f32_e32 v36, v46, v35
	v_fma_f32 v29, v46, v34, -v29
	v_fmac_f32_e32 v36, v47, v34
	v_add_f32_e32 v41, v42, v29
	v_add_f32_e32 v40, v40, v36
	v_mul_f32_e32 v29, v31, v33
	ds_read2_b64 v[36:39], v25 offset0:128 offset1:144
	v_fma_f32 v29, v30, v32, -v29
	v_add_f32_e32 v24, v24, v29
	v_mul_f32_e32 v29, v31, v35
	v_mul_f32_e32 v33, v30, v33
	v_fma_f32 v29, v30, v34, -v29
	v_mul_f32_e32 v30, v30, v35
	v_fmac_f32_e32 v30, v31, v34
	v_add_f32_e32 v22, v22, v30
	s_waitcnt lgkmcnt(0)
	v_mul_f32_e32 v30, v4, v37
	v_add_f32_e32 v20, v20, v29
	v_mul_f32_e32 v29, v5, v37
	v_fmac_f32_e32 v30, v5, v36
	v_fma_f32 v29, v4, v36, -v29
	v_add_f32_e32 v44, v28, v30
	v_mul_f32_e32 v28, v5, v39
	v_fmac_f32_e32 v33, v31, v32
	v_add_f32_e32 v16, v16, v29
	v_fma_f32 v32, v4, v38, -v28
	ds_read_b128 v[28:31], v27 offset:1056
	v_mul_f32_e32 v4, v4, v39
	v_fmac_f32_e32 v4, v5, v38
	v_add_f32_e32 v5, v41, v32
	v_add_f32_e32 v4, v40, v4
	ds_read_b128 v[40:43], v27 offset:1072
	s_waitcnt lgkmcnt(1)
	v_mul_f32_e32 v32, v29, v37
	v_add_f32_e32 v26, v26, v33
	v_fma_f32 v32, v28, v36, -v32
	v_mul_f32_e32 v33, v28, v37
	v_fmac_f32_e32 v33, v29, v36
	v_add_f32_e32 v24, v24, v32
	v_mul_f32_e32 v32, v29, v39
	v_add_f32_e32 v26, v26, v33
	v_fma_f32 v36, v28, v38, -v32
	ds_read2_b64 v[32:35], v25 offset0:160 offset1:176
	v_mul_f32_e32 v28, v28, v39
	v_fmac_f32_e32 v28, v29, v38
	v_add_f32_e32 v22, v22, v28
	v_add_f32_e32 v20, v20, v36
	s_waitcnt lgkmcnt(0)
	v_mul_f32_e32 v28, v7, v33
	v_mul_f32_e32 v29, v6, v33
	v_fma_f32 v28, v6, v32, -v28
	v_fmac_f32_e32 v29, v7, v32
	v_add_f32_e32 v16, v16, v28
	v_add_f32_e32 v28, v44, v29
	v_mul_f32_e32 v29, v7, v35
	v_fma_f32 v29, v6, v34, -v29
	v_mul_f32_e32 v6, v6, v35
	v_fmac_f32_e32 v6, v7, v34
	v_add_f32_e32 v36, v4, v6
	v_mul_f32_e32 v4, v31, v33
	v_add_f32_e32 v29, v5, v29
	v_fma_f32 v4, v30, v32, -v4
	v_mul_f32_e32 v5, v30, v33
	v_fmac_f32_e32 v5, v31, v32
	v_add_f32_e32 v24, v24, v4
	v_mul_f32_e32 v4, v31, v35
	v_add_f32_e32 v26, v26, v5
	v_fma_f32 v32, v30, v34, -v4
	ds_read2_b64 v[4:7], v25 offset0:192 offset1:208
	v_mul_f32_e32 v30, v30, v35
	v_fmac_f32_e32 v30, v31, v34
	v_add_f32_e32 v22, v22, v30
	v_add_f32_e32 v20, v20, v32
	s_waitcnt lgkmcnt(0)
	v_mul_f32_e32 v30, v1, v5
	v_fma_f32 v30, v0, v4, -v30
	v_add_f32_e32 v16, v16, v30
	v_mul_f32_e32 v30, v1, v7
	v_mul_f32_e32 v31, v0, v5
	v_fma_f32 v30, v0, v6, -v30
	v_mul_f32_e32 v0, v0, v7
	v_fmac_f32_e32 v0, v1, v6
	v_add_f32_e32 v0, v36, v0
	ds_read2_b64 v[36:39], v25 offset0:224 offset1:240
	v_fmac_f32_e32 v31, v1, v4
	v_add_f32_e32 v1, v29, v30
	v_mul_f32_e32 v29, v41, v5
	v_fma_f32 v29, v40, v4, -v29
	v_mul_f32_e32 v5, v40, v5
	v_fmac_f32_e32 v5, v41, v4
	v_add_f32_e32 v4, v24, v29
	v_mul_f32_e32 v24, v41, v7
	v_fma_f32 v24, v40, v6, -v24
	v_mul_f32_e32 v7, v40, v7
	v_fmac_f32_e32 v7, v41, v6
	v_add_f32_e32 v6, v20, v24
	s_waitcnt lgkmcnt(0)
	v_mul_f32_e32 v20, v3, v37
	v_fma_f32 v20, v2, v36, -v20
	v_add_f32_e32 v32, v16, v20
	v_mul_f32_e32 v16, v3, v39
	v_add_f32_e32 v7, v22, v7
	v_mul_f32_e32 v22, v2, v37
	v_fma_f32 v16, v2, v38, -v16
	v_mul_f32_e32 v2, v2, v39
	v_add_f32_e32 v28, v28, v31
	v_fmac_f32_e32 v22, v3, v36
	v_fmac_f32_e32 v2, v3, v38
	v_add_f32_e32 v34, v28, v22
	v_add_f32_e32 v28, v1, v16
	;; [unrolled: 1-line block ×3, first 2 shown]
	v_mul_f32_e32 v0, v43, v37
	v_mul_f32_e32 v1, v42, v37
	v_add_f32_e32 v5, v26, v5
	v_fma_f32 v0, v42, v36, -v0
	v_fmac_f32_e32 v1, v43, v36
	v_add_f32_e32 v24, v4, v0
	v_add_f32_e32 v26, v5, v1
	v_mul_f32_e32 v0, v43, v39
	v_mul_f32_e32 v1, v42, v39
	v_fma_f32 v0, v42, v38, -v0
	v_fmac_f32_e32 v1, v43, v38
	s_addc_u32 s15, s15, 0
	v_add_f32_e32 v20, v6, v0
	v_add_f32_e32 v22, v7, v1
	v_mov_b64_e32 v[0:1], s[14:15]
	v_cmp_gt_i64_e32 vcc, s[8:9], v[0:1]
	s_barrier
	s_cbranch_vccz .LBB520_16
.LBB520_8:                              ; =>This Inner Loop Header: Depth=1
	s_mov_b64 s[22:23], s[12:13]
	s_mov_b64 s[16:17], 0
	s_and_saveexec_b64 s[18:19], s[0:1]
; %bb.9:                                ;   in Loop: Header=BB520_8 Depth=1
	v_add_u32_e32 v16, s14, v10
	v_cmp_le_u64_e32 vcc, s[8:9], v[16:17]
	s_andn2_b64 s[22:23], s[12:13], exec
	s_and_b64 s[36:37], vcc, exec
	s_mov_b64 s[16:17], exec
	s_or_b64 s[22:23], s[22:23], s[36:37]
	v_mov_b64_e32 v[18:19], v[16:17]
; %bb.10:                               ;   in Loop: Header=BB520_8 Depth=1
	s_or_b64 exec, exec, s[18:19]
	s_and_saveexec_b64 s[18:19], s[22:23]
	s_xor_b64 s[18:19], exec, s[18:19]
; %bb.11:                               ;   in Loop: Header=BB520_8 Depth=1
	ds_write_b32 v21, v17
	s_andn2_b64 s[16:17], s[16:17], exec
; %bb.12:                               ;   in Loop: Header=BB520_8 Depth=1
	s_or_b64 exec, exec, s[18:19]
	v_mov_b32_e32 v2, 0
	v_mov_b32_e32 v0, 0
	s_and_saveexec_b64 s[18:19], s[16:17]
	s_cbranch_execz .LBB520_14
; %bb.13:                               ;   in Loop: Header=BB520_8 Depth=1
	v_lshl_add_u64 v[0:1], v[18:19], 3, v[12:13]
	flat_load_dwordx2 v[4:5], v[0:1]
	s_waitcnt vmcnt(0) lgkmcnt(0)
	v_xor_b32_e32 v0, 0x80000000, v5
	ds_write_b32 v21, v4
.LBB520_14:                             ;   in Loop: Header=BB520_8 Depth=1
	s_or_b64 exec, exec, s[18:19]
	v_add_u32_e32 v16, s14, v8
	v_cmp_gt_u64_e32 vcc, s[8:9], v[16:17]
	s_and_b64 s[18:19], vcc, s[2:3]
	v_mov_b32_e32 v3, 0
	ds_write_b32 v21, v0 offset:4
	s_and_saveexec_b64 s[16:17], s[18:19]
	s_cbranch_execz .LBB520_7
; %bb.15:                               ;   in Loop: Header=BB520_8 Depth=1
	v_mad_u64_u32 v[0:1], s[18:19], s20, v16, 0
	v_mov_b32_e32 v2, v1
	v_mad_u64_u32 v[2:3], s[18:19], s21, v16, v[2:3]
	v_mov_b32_e32 v1, v2
	v_lshl_add_u64 v[0:1], v[0:1], 3, v[14:15]
	flat_load_dwordx2 v[2:3], v[0:1]
	s_branch .LBB520_7
.LBB520_16:
	s_lshl_b64 s[0:1], s[30:31], 3
	v_add_u32_e32 v10, s26, v11
	s_waitcnt lgkmcnt(0)
	s_add_u32 s8, s4, s0
	v_ashrrev_i32_e32 v1, 31, v10
	s_addc_u32 s9, s5, s1
	v_cmp_neq_f32_e64 s[0:1], s6, 0
	s_xor_b64 s[4:5], s[10:11], -1
	v_mul_lo_u32 v1, s28, v1
	v_mul_lo_u32 v4, s29, v10
	v_mad_u64_u32 v[2:3], s[2:3], s28, v10, 0
	v_add_u32_e32 v0, s25, v9
	v_add3_u32 v3, v3, v1, v4
	s_or_b64 s[0:1], s[0:1], s[4:5]
	v_lshl_add_u64 v[4:5], v[2:3], 3, s[8:9]
	v_cmp_le_i32_e32 vcc, v10, v0
	v_cmp_gt_i32_e64 s[2:3], s24, v0
	v_cndmask_b32_e64 v2, 0, 1, s[0:1]
	s_and_b64 s[10:11], vcc, s[2:3]
	v_ashrrev_i32_e32 v1, 31, v0
	v_cmp_ne_u32_e64 s[0:1], 1, v2
	s_and_saveexec_b64 s[4:5], s[10:11]
	s_cbranch_execz .LBB520_20
; %bb.17:
	v_pk_mul_f32 v[6:7], v[34:35], s[34:35] op_sel:[0,1] op_sel_hi:[0,0]
	v_pk_fma_f32 v[2:3], v[32:33], s[34:35], v[6:7] op_sel_hi:[0,1,1] neg_lo:[0,0,1] neg_hi:[0,0,1]
	v_pk_fma_f32 v[8:9], v[32:33], s[34:35], v[6:7] op_sel_hi:[0,1,1]
	s_and_b64 vcc, exec, s[0:1]
	v_lshl_add_u64 v[6:7], v[0:1], 3, v[4:5]
	s_cbranch_vccnz .LBB520_19
; %bb.18:
	flat_load_dwordx2 v[12:13], v[6:7]
	s_mov_b32 s10, s7
	v_mov_b32_e32 v3, v9
	s_waitcnt vmcnt(0) lgkmcnt(0)
	v_pk_mul_f32 v[8:9], v[12:13], s[10:11] op_sel:[1,0] op_sel_hi:[0,0]
	v_pk_fma_f32 v[14:15], v[12:13], s[6:7], v[8:9] neg_lo:[0,0,1] neg_hi:[0,0,1]
	v_pk_fma_f32 v[8:9], v[12:13], s[6:7], v[8:9] op_sel_hi:[1,0,1]
	s_nop 0
	v_mov_b32_e32 v15, v9
	v_pk_add_f32 v[2:3], v[2:3], v[14:15]
	s_nop 0
	v_mov_b32_e32 v9, v3
.LBB520_19:
	v_mov_b32_e32 v3, v9
	flat_store_dwordx2 v[6:7], v[2:3]
.LBB520_20:
	s_or_b64 exec, exec, s[4:5]
	v_add_u32_e32 v2, 16, v0
	v_cmp_le_i32_e32 vcc, v10, v2
	v_cmp_gt_i32_e64 s[4:5], s24, v2
	s_and_b64 s[12:13], vcc, s[4:5]
	v_ashrrev_i32_e32 v3, 31, v2
	s_and_saveexec_b64 s[10:11], s[12:13]
	s_cbranch_execz .LBB520_24
; %bb.21:
	v_pk_mul_f32 v[8:9], v[30:31], s[34:35] op_sel:[0,1] op_sel_hi:[0,0]
	v_pk_fma_f32 v[6:7], v[28:29], s[34:35], v[8:9] op_sel_hi:[0,1,1] neg_lo:[0,0,1] neg_hi:[0,0,1]
	v_pk_fma_f32 v[8:9], v[28:29], s[34:35], v[8:9] op_sel_hi:[0,1,1]
	s_and_b64 vcc, exec, s[0:1]
	v_lshl_add_u64 v[4:5], v[2:3], 3, v[4:5]
	s_cbranch_vccnz .LBB520_23
; %bb.22:
	flat_load_dwordx2 v[12:13], v[4:5]
	s_mov_b32 s12, s7
	v_mov_b32_e32 v7, v9
	s_waitcnt vmcnt(0) lgkmcnt(0)
	v_pk_mul_f32 v[8:9], v[12:13], s[12:13] op_sel:[1,0] op_sel_hi:[0,0]
	v_pk_fma_f32 v[14:15], v[12:13], s[6:7], v[8:9] neg_lo:[0,0,1] neg_hi:[0,0,1]
	v_pk_fma_f32 v[8:9], v[12:13], s[6:7], v[8:9] op_sel_hi:[1,0,1]
	s_nop 0
	v_mov_b32_e32 v15, v9
	v_pk_add_f32 v[6:7], v[6:7], v[14:15]
	s_nop 0
	v_mov_b32_e32 v9, v7
.LBB520_23:
	v_mov_b32_e32 v7, v9
	flat_store_dwordx2 v[4:5], v[6:7]
.LBB520_24:
	s_or_b64 exec, exec, s[10:11]
	v_add_u32_e32 v10, 16, v10
	v_ashrrev_i32_e32 v4, 31, v10
	v_mul_lo_u32 v6, s28, v4
	v_mul_lo_u32 v7, s29, v10
	v_mad_u64_u32 v[4:5], s[10:11], s28, v10, 0
	v_add3_u32 v5, v5, v6, v7
	v_cmp_le_i32_e32 vcc, v10, v0
	v_lshl_add_u64 v[4:5], v[4:5], 3, s[8:9]
	s_and_b64 s[8:9], vcc, s[2:3]
	s_and_saveexec_b64 s[2:3], s[8:9]
	s_cbranch_execz .LBB520_28
; %bb.25:
	v_pk_mul_f32 v[8:9], v[26:27], s[34:35] op_sel:[0,1] op_sel_hi:[0,0]
	v_pk_fma_f32 v[6:7], v[24:25], s[34:35], v[8:9] op_sel_hi:[0,1,1] neg_lo:[0,0,1] neg_hi:[0,0,1]
	v_pk_fma_f32 v[8:9], v[24:25], s[34:35], v[8:9] op_sel_hi:[0,1,1]
	s_and_b64 vcc, exec, s[0:1]
	v_lshl_add_u64 v[0:1], v[0:1], 3, v[4:5]
	s_cbranch_vccnz .LBB520_27
; %bb.26:
	flat_load_dwordx2 v[12:13], v[0:1]
	s_mov_b32 s8, s7
	v_mov_b32_e32 v7, v9
	s_waitcnt vmcnt(0) lgkmcnt(0)
	v_pk_mul_f32 v[8:9], v[12:13], s[8:9] op_sel:[1,0] op_sel_hi:[0,0]
	v_pk_fma_f32 v[14:15], v[12:13], s[6:7], v[8:9] neg_lo:[0,0,1] neg_hi:[0,0,1]
	v_pk_fma_f32 v[8:9], v[12:13], s[6:7], v[8:9] op_sel_hi:[1,0,1]
	s_nop 0
	v_mov_b32_e32 v15, v9
	v_pk_add_f32 v[6:7], v[6:7], v[14:15]
	s_nop 0
	v_mov_b32_e32 v9, v7
.LBB520_27:
	v_mov_b32_e32 v7, v9
	flat_store_dwordx2 v[0:1], v[6:7]
.LBB520_28:
	s_or_b64 exec, exec, s[2:3]
	v_cmp_le_i32_e32 vcc, v10, v2
	s_and_b64 s[2:3], vcc, s[4:5]
	s_and_saveexec_b64 s[4:5], s[2:3]
	s_cbranch_execz .LBB520_32
; %bb.29:
	v_pk_mul_f32 v[6:7], v[22:23], s[34:35] op_sel:[0,1] op_sel_hi:[0,0]
	v_pk_fma_f32 v[0:1], v[20:21], s[34:35], v[6:7] op_sel_hi:[0,1,1] neg_lo:[0,0,1] neg_hi:[0,0,1]
	v_pk_fma_f32 v[6:7], v[20:21], s[34:35], v[6:7] op_sel_hi:[0,1,1]
	s_and_b64 vcc, exec, s[0:1]
	v_lshl_add_u64 v[2:3], v[2:3], 3, v[4:5]
	s_cbranch_vccnz .LBB520_31
; %bb.30:
	flat_load_dwordx2 v[4:5], v[2:3]
	s_mov_b32 s0, s7
	v_mov_b32_e32 v1, v7
	s_waitcnt vmcnt(0) lgkmcnt(0)
	v_pk_mul_f32 v[6:7], v[4:5], s[0:1] op_sel:[1,0] op_sel_hi:[0,0]
	v_pk_fma_f32 v[8:9], v[4:5], s[6:7], v[6:7] neg_lo:[0,0,1] neg_hi:[0,0,1]
	v_pk_fma_f32 v[4:5], v[4:5], s[6:7], v[6:7] op_sel_hi:[1,0,1]
	s_nop 0
	v_mov_b32_e32 v9, v5
	v_pk_add_f32 v[0:1], v[0:1], v[8:9]
	s_nop 0
	v_mov_b32_e32 v7, v1
.LBB520_31:
	v_mov_b32_e32 v1, v7
	flat_store_dwordx2 v[2:3], v[0:1]
.LBB520_32:
	s_endpgm
	.section	.rodata,"a",@progbits
	.p2align	6, 0x0
	.amdhsa_kernel _ZL29rocblas_internal_gemmt_kernelIlLi16ELi32ELi8ELc67ELc84ELc76ELb1ELb0E19rocblas_complex_numIfEPKS1_PKS3_PKPS1_EviT_T9_T10_S9_lSB_S9_lSA_T11_S9_li
		.amdhsa_group_segment_fixed_size 4096
		.amdhsa_private_segment_fixed_size 0
		.amdhsa_kernarg_size 108
		.amdhsa_user_sgpr_count 2
		.amdhsa_user_sgpr_dispatch_ptr 0
		.amdhsa_user_sgpr_queue_ptr 0
		.amdhsa_user_sgpr_kernarg_segment_ptr 1
		.amdhsa_user_sgpr_dispatch_id 0
		.amdhsa_user_sgpr_kernarg_preload_length 0
		.amdhsa_user_sgpr_kernarg_preload_offset 0
		.amdhsa_user_sgpr_private_segment_size 0
		.amdhsa_uses_dynamic_stack 0
		.amdhsa_enable_private_segment 0
		.amdhsa_system_sgpr_workgroup_id_x 1
		.amdhsa_system_sgpr_workgroup_id_y 1
		.amdhsa_system_sgpr_workgroup_id_z 1
		.amdhsa_system_sgpr_workgroup_info 0
		.amdhsa_system_vgpr_workitem_id 1
		.amdhsa_next_free_vgpr 53
		.amdhsa_next_free_sgpr 40
		.amdhsa_accum_offset 56
		.amdhsa_reserve_vcc 1
		.amdhsa_float_round_mode_32 0
		.amdhsa_float_round_mode_16_64 0
		.amdhsa_float_denorm_mode_32 3
		.amdhsa_float_denorm_mode_16_64 3
		.amdhsa_dx10_clamp 1
		.amdhsa_ieee_mode 1
		.amdhsa_fp16_overflow 0
		.amdhsa_tg_split 0
		.amdhsa_exception_fp_ieee_invalid_op 0
		.amdhsa_exception_fp_denorm_src 0
		.amdhsa_exception_fp_ieee_div_zero 0
		.amdhsa_exception_fp_ieee_overflow 0
		.amdhsa_exception_fp_ieee_underflow 0
		.amdhsa_exception_fp_ieee_inexact 0
		.amdhsa_exception_int_div_zero 0
	.end_amdhsa_kernel
	.section	.text._ZL29rocblas_internal_gemmt_kernelIlLi16ELi32ELi8ELc67ELc84ELc76ELb1ELb0E19rocblas_complex_numIfEPKS1_PKS3_PKPS1_EviT_T9_T10_S9_lSB_S9_lSA_T11_S9_li,"axG",@progbits,_ZL29rocblas_internal_gemmt_kernelIlLi16ELi32ELi8ELc67ELc84ELc76ELb1ELb0E19rocblas_complex_numIfEPKS1_PKS3_PKPS1_EviT_T9_T10_S9_lSB_S9_lSA_T11_S9_li,comdat
.Lfunc_end520:
	.size	_ZL29rocblas_internal_gemmt_kernelIlLi16ELi32ELi8ELc67ELc84ELc76ELb1ELb0E19rocblas_complex_numIfEPKS1_PKS3_PKPS1_EviT_T9_T10_S9_lSB_S9_lSA_T11_S9_li, .Lfunc_end520-_ZL29rocblas_internal_gemmt_kernelIlLi16ELi32ELi8ELc67ELc84ELc76ELb1ELb0E19rocblas_complex_numIfEPKS1_PKS3_PKPS1_EviT_T9_T10_S9_lSB_S9_lSA_T11_S9_li
                                        ; -- End function
	.set _ZL29rocblas_internal_gemmt_kernelIlLi16ELi32ELi8ELc67ELc84ELc76ELb1ELb0E19rocblas_complex_numIfEPKS1_PKS3_PKPS1_EviT_T9_T10_S9_lSB_S9_lSA_T11_S9_li.num_vgpr, 53
	.set _ZL29rocblas_internal_gemmt_kernelIlLi16ELi32ELi8ELc67ELc84ELc76ELb1ELb0E19rocblas_complex_numIfEPKS1_PKS3_PKPS1_EviT_T9_T10_S9_lSB_S9_lSA_T11_S9_li.num_agpr, 0
	.set _ZL29rocblas_internal_gemmt_kernelIlLi16ELi32ELi8ELc67ELc84ELc76ELb1ELb0E19rocblas_complex_numIfEPKS1_PKS3_PKPS1_EviT_T9_T10_S9_lSB_S9_lSA_T11_S9_li.numbered_sgpr, 40
	.set _ZL29rocblas_internal_gemmt_kernelIlLi16ELi32ELi8ELc67ELc84ELc76ELb1ELb0E19rocblas_complex_numIfEPKS1_PKS3_PKPS1_EviT_T9_T10_S9_lSB_S9_lSA_T11_S9_li.num_named_barrier, 0
	.set _ZL29rocblas_internal_gemmt_kernelIlLi16ELi32ELi8ELc67ELc84ELc76ELb1ELb0E19rocblas_complex_numIfEPKS1_PKS3_PKPS1_EviT_T9_T10_S9_lSB_S9_lSA_T11_S9_li.private_seg_size, 0
	.set _ZL29rocblas_internal_gemmt_kernelIlLi16ELi32ELi8ELc67ELc84ELc76ELb1ELb0E19rocblas_complex_numIfEPKS1_PKS3_PKPS1_EviT_T9_T10_S9_lSB_S9_lSA_T11_S9_li.uses_vcc, 1
	.set _ZL29rocblas_internal_gemmt_kernelIlLi16ELi32ELi8ELc67ELc84ELc76ELb1ELb0E19rocblas_complex_numIfEPKS1_PKS3_PKPS1_EviT_T9_T10_S9_lSB_S9_lSA_T11_S9_li.uses_flat_scratch, 0
	.set _ZL29rocblas_internal_gemmt_kernelIlLi16ELi32ELi8ELc67ELc84ELc76ELb1ELb0E19rocblas_complex_numIfEPKS1_PKS3_PKPS1_EviT_T9_T10_S9_lSB_S9_lSA_T11_S9_li.has_dyn_sized_stack, 0
	.set _ZL29rocblas_internal_gemmt_kernelIlLi16ELi32ELi8ELc67ELc84ELc76ELb1ELb0E19rocblas_complex_numIfEPKS1_PKS3_PKPS1_EviT_T9_T10_S9_lSB_S9_lSA_T11_S9_li.has_recursion, 0
	.set _ZL29rocblas_internal_gemmt_kernelIlLi16ELi32ELi8ELc67ELc84ELc76ELb1ELb0E19rocblas_complex_numIfEPKS1_PKS3_PKPS1_EviT_T9_T10_S9_lSB_S9_lSA_T11_S9_li.has_indirect_call, 0
	.section	.AMDGPU.csdata,"",@progbits
; Kernel info:
; codeLenInByte = 2576
; TotalNumSgprs: 46
; NumVgprs: 53
; NumAgprs: 0
; TotalNumVgprs: 53
; ScratchSize: 0
; MemoryBound: 0
; FloatMode: 240
; IeeeMode: 1
; LDSByteSize: 4096 bytes/workgroup (compile time only)
; SGPRBlocks: 5
; VGPRBlocks: 6
; NumSGPRsForWavesPerEU: 46
; NumVGPRsForWavesPerEU: 53
; AccumOffset: 56
; Occupancy: 8
; WaveLimiterHint : 1
; COMPUTE_PGM_RSRC2:SCRATCH_EN: 0
; COMPUTE_PGM_RSRC2:USER_SGPR: 2
; COMPUTE_PGM_RSRC2:TRAP_HANDLER: 0
; COMPUTE_PGM_RSRC2:TGID_X_EN: 1
; COMPUTE_PGM_RSRC2:TGID_Y_EN: 1
; COMPUTE_PGM_RSRC2:TGID_Z_EN: 1
; COMPUTE_PGM_RSRC2:TIDIG_COMP_CNT: 1
; COMPUTE_PGM_RSRC3_GFX90A:ACCUM_OFFSET: 13
; COMPUTE_PGM_RSRC3_GFX90A:TG_SPLIT: 0
	.section	.text._ZL29rocblas_internal_gemmt_kernelIlLi16ELi32ELi8ELc67ELc67ELc76ELb1ELb1E19rocblas_complex_numIfEPKS1_PKS3_PKPS1_EviT_T9_T10_S9_lSB_S9_lSA_T11_S9_li,"axG",@progbits,_ZL29rocblas_internal_gemmt_kernelIlLi16ELi32ELi8ELc67ELc67ELc76ELb1ELb1E19rocblas_complex_numIfEPKS1_PKS3_PKPS1_EviT_T9_T10_S9_lSB_S9_lSA_T11_S9_li,comdat
	.globl	_ZL29rocblas_internal_gemmt_kernelIlLi16ELi32ELi8ELc67ELc67ELc76ELb1ELb1E19rocblas_complex_numIfEPKS1_PKS3_PKPS1_EviT_T9_T10_S9_lSB_S9_lSA_T11_S9_li ; -- Begin function _ZL29rocblas_internal_gemmt_kernelIlLi16ELi32ELi8ELc67ELc67ELc76ELb1ELb1E19rocblas_complex_numIfEPKS1_PKS3_PKPS1_EviT_T9_T10_S9_lSB_S9_lSA_T11_S9_li
	.p2align	8
	.type	_ZL29rocblas_internal_gemmt_kernelIlLi16ELi32ELi8ELc67ELc67ELc76ELb1ELb1E19rocblas_complex_numIfEPKS1_PKS3_PKPS1_EviT_T9_T10_S9_lSB_S9_lSA_T11_S9_li,@function
_ZL29rocblas_internal_gemmt_kernelIlLi16ELi32ELi8ELc67ELc67ELc76ELb1ELb1E19rocblas_complex_numIfEPKS1_PKS3_PKPS1_EviT_T9_T10_S9_lSB_S9_lSA_T11_S9_li: ; @_ZL29rocblas_internal_gemmt_kernelIlLi16ELi32ELi8ELc67ELc67ELc76ELb1ELb1E19rocblas_complex_numIfEPKS1_PKS3_PKPS1_EviT_T9_T10_S9_lSB_S9_lSA_T11_S9_li
; %bb.0:
	s_load_dwordx8 s[24:31], s[0:1], 0x48
	s_load_dwordx16 s[8:23], s[0:1], 0x8
	s_waitcnt lgkmcnt(0)
	s_load_dwordx2 s[6:7], s[24:25], 0x0
	s_load_dwordx2 s[34:35], s[10:11], 0x0
	s_waitcnt lgkmcnt(0)
	s_and_b32 s5, s7, 0x7fffffff
	s_cmp_eq_u32 s5, 0
	v_cmp_eq_f32_e64 s[24:25], s6, 1.0
	s_cselect_b64 s[10:11], -1, 0
	s_and_b64 s[24:25], s[24:25], s[10:11]
	s_and_b64 vcc, exec, s[24:25]
	s_cbranch_vccnz .LBB521_2
; %bb.1:
	s_mov_b64 s[24:25], -1
	s_cbranch_execz .LBB521_3
	s_branch .LBB521_4
.LBB521_2:
	s_mov_b64 s[24:25], 0
.LBB521_3:
	s_cmp_lg_u64 s[8:9], 0
	v_cmp_neq_f32_e64 s[36:37], s34, 0
	v_cmp_neq_f32_e64 s[38:39], s35, 0
	s_cselect_b64 s[24:25], -1, 0
	s_or_b64 s[36:37], s[36:37], s[38:39]
	s_and_b64 s[24:25], s[24:25], s[36:37]
.LBB521_4:
	s_andn2_b64 vcc, exec, s[24:25]
	s_cbranch_vccnz .LBB521_34
; %bb.5:
	s_mov_b32 s5, 0
	s_load_dword s24, s[0:1], 0x0
	s_lshl_b64 s[0:1], s[4:5], 3
	s_add_u32 s4, s26, s0
	s_addc_u32 s5, s27, s1
	s_load_dwordx2 s[4:5], s[4:5], 0x0
	s_lshl_b32 s25, s2, 5
	s_lshl_b32 s26, s3, 5
	v_cmp_eq_f32_e64 s[2:3], s34, 0
	v_cmp_eq_f32_e64 s[36:37], s35, 0
	s_and_b64 s[2:3], s[2:3], s[36:37]
	v_cmp_lt_i64_e64 s[36:37], s[8:9], 1
	s_or_b64 s[2:3], s[2:3], s[36:37]
	v_and_b32_e32 v9, 0x3ff, v0
	v_bfe_u32 v11, v0, 10, 10
	v_mov_b32_e32 v32, 0
	s_and_b64 vcc, exec, s[2:3]
	v_mov_b32_e32 v34, 0
	v_mov_b32_e32 v28, 0
	;; [unrolled: 1-line block ×7, first 2 shown]
	s_cbranch_vccnz .LBB521_18
; %bb.6:
	s_add_u32 s2, s18, s0
	s_addc_u32 s3, s19, s1
	s_load_dwordx2 s[2:3], s[2:3], 0x0
	s_lshl_b64 s[18:19], s[22:23], 3
	v_lshl_add_u32 v1, v11, 4, v9
	v_lshrrev_b32_e32 v10, 5, v1
	v_lshrrev_b32_e32 v4, 3, v1
	s_waitcnt lgkmcnt(0)
	s_add_u32 s18, s2, s18
	s_addc_u32 s19, s3, s19
	s_add_u32 s0, s12, s0
	s_addc_u32 s1, s13, s1
	s_load_dwordx2 s[0:1], s[0:1], 0x0
	s_lshl_b64 s[2:3], s[16:17], 3
	v_and_b32_e32 v1, 31, v1
	v_or_b32_e32 v2, s25, v1
	v_lshlrev_b32_e32 v1, 3, v1
	s_waitcnt lgkmcnt(0)
	s_add_u32 s12, s0, s2
	s_addc_u32 s13, s1, s3
	s_ashr_i32 s22, s25, 31
	v_and_b32_e32 v8, 7, v9
	v_cmp_gt_i32_e64 s[0:1], s24, v2
	v_cmp_le_i32_e64 s[2:3], s24, v2
	v_lshl_or_b32 v21, v10, 8, v1
	v_mul_lo_u32 v1, s15, v2
	v_mad_u64_u32 v[2:3], s[16:17], s14, v2, 0
	s_mul_i32 s14, s14, s22
	v_add3_u32 v3, v3, s14, v1
	v_lshlrev_b32_e32 v1, 3, v8
	v_add_u32_e32 v0, s26, v4
	v_lshl_or_b32 v1, v4, 6, v1
	v_add_u32_e32 v23, 0x800, v1
	v_ashrrev_i32_e32 v1, 31, v0
	v_cmp_gt_i32_e32 vcc, s24, v0
	v_lshl_add_u64 v[14:15], v[0:1], 3, s[18:19]
	v_mov_b32_e32 v0, 0x800
	v_lshl_add_u64 v[12:13], v[2:3], 3, s[12:13]
	v_lshlrev_b32_e32 v25, 3, v9
	v_lshl_add_u32 v27, v11, 6, v0
	v_mov_b32_e32 v17, 0
	s_mov_b64 s[12:13], 0
	s_xor_b64 s[14:15], vcc, -1
	v_mov_b32_e32 v22, 0
	v_mov_b32_e32 v20, 0
	;; [unrolled: 1-line block ×8, first 2 shown]
                                        ; implicit-def: $vgpr18_vgpr19
	s_branch .LBB521_8
.LBB521_7:                              ;   in Loop: Header=BB521_8 Depth=1
	s_or_b64 exec, exec, s[16:17]
	ds_write_b32 v23, v0 offset:4
	s_waitcnt lgkmcnt(0)
	s_barrier
	ds_read2_b64 v[36:39], v25 offset1:16
	ds_read_b128 v[40:43], v27
	ds_read_b128 v[44:47], v27 offset:16
	ds_read_b128 v[4:7], v27 offset:32
	;; [unrolled: 1-line block ×3, first 2 shown]
	s_add_u32 s12, s12, 8
	s_waitcnt lgkmcnt(3)
	v_mul_f32_e32 v16, v41, v37
	v_mul_f32_e32 v29, v40, v37
	v_fma_f32 v16, v40, v36, -v16
	v_fmac_f32_e32 v29, v41, v36
	v_add_f32_e32 v16, v32, v16
	v_add_f32_e32 v52, v34, v29
	ds_read_b128 v[32:35], v27 offset:1024
	v_mul_f32_e32 v29, v41, v39
	v_mul_f32_e32 v31, v40, v39
	v_fma_f32 v29, v40, v38, -v29
	v_fmac_f32_e32 v31, v41, v38
	v_add_f32_e32 v40, v28, v29
	v_add_f32_e32 v41, v30, v31
	ds_read_b128 v[28:31], v27 offset:1040
	s_waitcnt lgkmcnt(1)
	v_mul_f32_e32 v48, v33, v37
	v_fma_f32 v48, v32, v36, -v48
	v_add_f32_e32 v24, v24, v48
	ds_read2_b64 v[48:51], v25 offset0:32 offset1:48
	v_mul_f32_e32 v37, v32, v37
	v_fmac_f32_e32 v37, v33, v36
	v_mul_f32_e32 v36, v33, v39
	v_fma_f32 v36, v32, v38, -v36
	v_mul_f32_e32 v32, v32, v39
	v_fmac_f32_e32 v32, v33, v38
	v_add_f32_e32 v22, v22, v32
	s_waitcnt lgkmcnt(0)
	v_mul_f32_e32 v32, v43, v49
	v_mul_f32_e32 v33, v42, v49
	v_fma_f32 v32, v42, v48, -v32
	v_fmac_f32_e32 v33, v43, v48
	v_add_f32_e32 v20, v20, v36
	v_add_f32_e32 v16, v16, v32
	;; [unrolled: 1-line block ×3, first 2 shown]
	v_mul_f32_e32 v33, v43, v51
	v_mul_f32_e32 v36, v42, v51
	v_fma_f32 v33, v42, v50, -v33
	v_fmac_f32_e32 v36, v43, v50
	v_add_f32_e32 v33, v40, v33
	v_add_f32_e32 v40, v41, v36
	v_mul_f32_e32 v36, v35, v49
	v_add_f32_e32 v26, v26, v37
	v_fma_f32 v36, v34, v48, -v36
	v_mul_f32_e32 v37, v34, v49
	v_fmac_f32_e32 v37, v35, v48
	v_add_f32_e32 v24, v24, v36
	v_mul_f32_e32 v36, v35, v51
	v_add_f32_e32 v26, v26, v37
	v_fma_f32 v41, v34, v50, -v36
	ds_read2_b64 v[36:39], v25 offset0:64 offset1:80
	v_mul_f32_e32 v34, v34, v51
	v_fmac_f32_e32 v34, v35, v50
	v_add_f32_e32 v20, v20, v41
	v_add_f32_e32 v22, v22, v34
	s_waitcnt lgkmcnt(0)
	v_mul_f32_e32 v35, v44, v37
	v_fmac_f32_e32 v35, v45, v36
	v_add_f32_e32 v41, v32, v35
	v_mul_f32_e32 v32, v45, v39
	v_mul_f32_e32 v34, v45, v37
	v_fma_f32 v32, v44, v38, -v32
	v_fma_f32 v34, v44, v36, -v34
	v_add_f32_e32 v42, v33, v32
	v_mul_f32_e32 v32, v29, v37
	v_add_f32_e32 v16, v16, v34
	v_mul_f32_e32 v34, v44, v39
	v_fma_f32 v32, v28, v36, -v32
	v_mul_f32_e32 v33, v28, v37
	v_fmac_f32_e32 v34, v45, v38
	v_fmac_f32_e32 v33, v29, v36
	v_add_f32_e32 v24, v24, v32
	v_mul_f32_e32 v32, v29, v39
	v_add_f32_e32 v40, v40, v34
	v_add_f32_e32 v26, v26, v33
	v_fma_f32 v36, v28, v38, -v32
	ds_read2_b64 v[32:35], v25 offset0:96 offset1:112
	v_mul_f32_e32 v28, v28, v39
	v_fmac_f32_e32 v28, v29, v38
	v_add_f32_e32 v22, v22, v28
	v_add_f32_e32 v20, v20, v36
	s_waitcnt lgkmcnt(0)
	v_mul_f32_e32 v28, v47, v33
	v_mul_f32_e32 v29, v46, v33
	v_fma_f32 v28, v46, v32, -v28
	v_fmac_f32_e32 v29, v47, v32
	v_add_f32_e32 v16, v16, v28
	v_add_f32_e32 v28, v41, v29
	v_mul_f32_e32 v29, v47, v35
	v_mul_f32_e32 v36, v46, v35
	v_fma_f32 v29, v46, v34, -v29
	v_fmac_f32_e32 v36, v47, v34
	v_add_f32_e32 v41, v42, v29
	v_add_f32_e32 v40, v40, v36
	v_mul_f32_e32 v29, v31, v33
	ds_read2_b64 v[36:39], v25 offset0:128 offset1:144
	v_fma_f32 v29, v30, v32, -v29
	v_add_f32_e32 v24, v24, v29
	v_mul_f32_e32 v29, v31, v35
	v_mul_f32_e32 v33, v30, v33
	v_fma_f32 v29, v30, v34, -v29
	v_mul_f32_e32 v30, v30, v35
	v_fmac_f32_e32 v30, v31, v34
	v_add_f32_e32 v22, v22, v30
	s_waitcnt lgkmcnt(0)
	v_mul_f32_e32 v30, v4, v37
	v_add_f32_e32 v20, v20, v29
	v_mul_f32_e32 v29, v5, v37
	v_fmac_f32_e32 v30, v5, v36
	v_fma_f32 v29, v4, v36, -v29
	v_add_f32_e32 v44, v28, v30
	v_mul_f32_e32 v28, v5, v39
	v_fmac_f32_e32 v33, v31, v32
	v_add_f32_e32 v16, v16, v29
	v_fma_f32 v32, v4, v38, -v28
	ds_read_b128 v[28:31], v27 offset:1056
	v_mul_f32_e32 v4, v4, v39
	v_fmac_f32_e32 v4, v5, v38
	v_add_f32_e32 v5, v41, v32
	v_add_f32_e32 v4, v40, v4
	ds_read_b128 v[40:43], v27 offset:1072
	s_waitcnt lgkmcnt(1)
	v_mul_f32_e32 v32, v29, v37
	v_add_f32_e32 v26, v26, v33
	v_fma_f32 v32, v28, v36, -v32
	v_mul_f32_e32 v33, v28, v37
	v_fmac_f32_e32 v33, v29, v36
	v_add_f32_e32 v24, v24, v32
	v_mul_f32_e32 v32, v29, v39
	v_add_f32_e32 v26, v26, v33
	v_fma_f32 v36, v28, v38, -v32
	ds_read2_b64 v[32:35], v25 offset0:160 offset1:176
	v_mul_f32_e32 v28, v28, v39
	v_fmac_f32_e32 v28, v29, v38
	v_add_f32_e32 v22, v22, v28
	v_add_f32_e32 v20, v20, v36
	s_waitcnt lgkmcnt(0)
	v_mul_f32_e32 v28, v7, v33
	v_mul_f32_e32 v29, v6, v33
	v_fma_f32 v28, v6, v32, -v28
	v_fmac_f32_e32 v29, v7, v32
	v_add_f32_e32 v16, v16, v28
	v_add_f32_e32 v28, v44, v29
	v_mul_f32_e32 v29, v7, v35
	v_fma_f32 v29, v6, v34, -v29
	v_mul_f32_e32 v6, v6, v35
	v_fmac_f32_e32 v6, v7, v34
	v_add_f32_e32 v36, v4, v6
	v_mul_f32_e32 v4, v31, v33
	v_add_f32_e32 v29, v5, v29
	v_fma_f32 v4, v30, v32, -v4
	v_mul_f32_e32 v5, v30, v33
	v_fmac_f32_e32 v5, v31, v32
	v_add_f32_e32 v24, v24, v4
	v_mul_f32_e32 v4, v31, v35
	v_add_f32_e32 v26, v26, v5
	v_fma_f32 v32, v30, v34, -v4
	ds_read2_b64 v[4:7], v25 offset0:192 offset1:208
	v_mul_f32_e32 v30, v30, v35
	v_fmac_f32_e32 v30, v31, v34
	v_add_f32_e32 v22, v22, v30
	v_add_f32_e32 v20, v20, v32
	s_waitcnt lgkmcnt(0)
	v_mul_f32_e32 v30, v1, v5
	v_fma_f32 v30, v0, v4, -v30
	v_add_f32_e32 v16, v16, v30
	v_mul_f32_e32 v30, v1, v7
	v_mul_f32_e32 v31, v0, v5
	v_fma_f32 v30, v0, v6, -v30
	v_mul_f32_e32 v0, v0, v7
	v_fmac_f32_e32 v0, v1, v6
	v_add_f32_e32 v0, v36, v0
	ds_read2_b64 v[36:39], v25 offset0:224 offset1:240
	v_fmac_f32_e32 v31, v1, v4
	v_add_f32_e32 v1, v29, v30
	v_mul_f32_e32 v29, v41, v5
	v_fma_f32 v29, v40, v4, -v29
	v_mul_f32_e32 v5, v40, v5
	v_fmac_f32_e32 v5, v41, v4
	v_add_f32_e32 v4, v24, v29
	v_mul_f32_e32 v24, v41, v7
	v_fma_f32 v24, v40, v6, -v24
	v_mul_f32_e32 v7, v40, v7
	v_fmac_f32_e32 v7, v41, v6
	v_add_f32_e32 v6, v20, v24
	s_waitcnt lgkmcnt(0)
	v_mul_f32_e32 v20, v3, v37
	v_fma_f32 v20, v2, v36, -v20
	v_add_f32_e32 v32, v16, v20
	v_mul_f32_e32 v16, v3, v39
	v_add_f32_e32 v7, v22, v7
	v_mul_f32_e32 v22, v2, v37
	v_fma_f32 v16, v2, v38, -v16
	v_mul_f32_e32 v2, v2, v39
	v_add_f32_e32 v28, v28, v31
	v_fmac_f32_e32 v22, v3, v36
	v_fmac_f32_e32 v2, v3, v38
	v_add_f32_e32 v34, v28, v22
	v_add_f32_e32 v28, v1, v16
	;; [unrolled: 1-line block ×3, first 2 shown]
	v_mul_f32_e32 v0, v43, v37
	v_mul_f32_e32 v1, v42, v37
	v_add_f32_e32 v5, v26, v5
	v_fma_f32 v0, v42, v36, -v0
	v_fmac_f32_e32 v1, v43, v36
	v_add_f32_e32 v24, v4, v0
	v_add_f32_e32 v26, v5, v1
	v_mul_f32_e32 v0, v43, v39
	v_mul_f32_e32 v1, v42, v39
	v_fma_f32 v0, v42, v38, -v0
	v_fmac_f32_e32 v1, v43, v38
	s_addc_u32 s13, s13, 0
	v_add_f32_e32 v20, v6, v0
	v_add_f32_e32 v22, v7, v1
	v_mov_b64_e32 v[0:1], s[12:13]
	v_cmp_gt_i64_e32 vcc, s[8:9], v[0:1]
	s_barrier
	s_cbranch_vccz .LBB521_18
.LBB521_8:                              ; =>This Inner Loop Header: Depth=1
	s_mov_b64 s[22:23], s[2:3]
	s_mov_b64 s[16:17], 0
	s_and_saveexec_b64 s[18:19], s[0:1]
	s_cbranch_execnz .LBB521_16
; %bb.9:                                ;   in Loop: Header=BB521_8 Depth=1
	s_or_b64 exec, exec, s[18:19]
	s_and_saveexec_b64 s[18:19], s[22:23]
	s_xor_b64 s[18:19], exec, s[18:19]
	s_cbranch_execnz .LBB521_17
.LBB521_10:                             ;   in Loop: Header=BB521_8 Depth=1
	s_or_b64 exec, exec, s[18:19]
	v_mov_b32_e32 v0, 0
	s_and_saveexec_b64 s[18:19], s[16:17]
	s_cbranch_execz .LBB521_12
.LBB521_11:                             ;   in Loop: Header=BB521_8 Depth=1
	v_lshl_add_u64 v[0:1], v[18:19], 3, v[12:13]
	flat_load_dwordx2 v[2:3], v[0:1]
	s_waitcnt vmcnt(0) lgkmcnt(0)
	v_xor_b32_e32 v0, 0x80000000, v3
	ds_write_b32 v21, v2
.LBB521_12:                             ;   in Loop: Header=BB521_8 Depth=1
	s_or_b64 exec, exec, s[18:19]
	v_add_u32_e32 v16, s12, v8
	v_cmp_le_u64_e32 vcc, s[8:9], v[16:17]
	s_or_b64 s[16:17], vcc, s[14:15]
	ds_write_b32 v21, v0 offset:4
	s_and_saveexec_b64 s[18:19], s[16:17]
	s_xor_b64 s[16:17], exec, s[18:19]
; %bb.13:                               ;   in Loop: Header=BB521_8 Depth=1
	ds_write_b32 v23, v17
; %bb.14:                               ;   in Loop: Header=BB521_8 Depth=1
	s_or_saveexec_b64 s[16:17], s[16:17]
	v_mov_b32_e32 v0, 0
	s_xor_b64 exec, exec, s[16:17]
	s_cbranch_execz .LBB521_7
; %bb.15:                               ;   in Loop: Header=BB521_8 Depth=1
	v_mad_u64_u32 v[0:1], s[18:19], s20, v16, 0
	v_mov_b32_e32 v2, v1
	v_mad_u64_u32 v[2:3], s[18:19], s21, v16, v[2:3]
	v_mov_b32_e32 v1, v2
	v_lshl_add_u64 v[0:1], v[0:1], 3, v[14:15]
	flat_load_dwordx2 v[2:3], v[0:1]
	s_waitcnt vmcnt(0) lgkmcnt(0)
	v_xor_b32_e32 v0, 0x80000000, v3
	ds_write_b32 v23, v2
	s_branch .LBB521_7
.LBB521_16:                             ;   in Loop: Header=BB521_8 Depth=1
	v_add_u32_e32 v16, s12, v10
	v_cmp_le_u64_e32 vcc, s[8:9], v[16:17]
	s_andn2_b64 s[22:23], s[2:3], exec
	s_and_b64 s[36:37], vcc, exec
	s_mov_b64 s[16:17], exec
	s_or_b64 s[22:23], s[22:23], s[36:37]
	v_mov_b64_e32 v[18:19], v[16:17]
	s_or_b64 exec, exec, s[18:19]
	s_and_saveexec_b64 s[18:19], s[22:23]
	s_xor_b64 s[18:19], exec, s[18:19]
	s_cbranch_execz .LBB521_10
.LBB521_17:                             ;   in Loop: Header=BB521_8 Depth=1
	ds_write_b32 v21, v17
	s_andn2_b64 s[16:17], s[16:17], exec
	s_or_b64 exec, exec, s[18:19]
	v_mov_b32_e32 v0, 0
	s_and_saveexec_b64 s[18:19], s[16:17]
	s_cbranch_execnz .LBB521_11
	s_branch .LBB521_12
.LBB521_18:
	s_lshl_b64 s[0:1], s[30:31], 3
	v_add_u32_e32 v10, s26, v11
	s_waitcnt lgkmcnt(0)
	s_add_u32 s8, s4, s0
	v_ashrrev_i32_e32 v1, 31, v10
	s_addc_u32 s9, s5, s1
	v_cmp_neq_f32_e64 s[0:1], s6, 0
	s_xor_b64 s[4:5], s[10:11], -1
	v_mul_lo_u32 v1, s28, v1
	v_mul_lo_u32 v4, s29, v10
	v_mad_u64_u32 v[2:3], s[2:3], s28, v10, 0
	v_add_u32_e32 v0, s25, v9
	v_add3_u32 v3, v3, v1, v4
	s_or_b64 s[0:1], s[0:1], s[4:5]
	v_lshl_add_u64 v[4:5], v[2:3], 3, s[8:9]
	v_cmp_le_i32_e32 vcc, v10, v0
	v_cmp_gt_i32_e64 s[2:3], s24, v0
	v_cndmask_b32_e64 v2, 0, 1, s[0:1]
	s_and_b64 s[10:11], vcc, s[2:3]
	v_ashrrev_i32_e32 v1, 31, v0
	v_cmp_ne_u32_e64 s[0:1], 1, v2
	s_and_saveexec_b64 s[4:5], s[10:11]
	s_cbranch_execz .LBB521_22
; %bb.19:
	v_pk_mul_f32 v[6:7], v[34:35], s[34:35] op_sel:[0,1] op_sel_hi:[0,0]
	v_pk_fma_f32 v[2:3], v[32:33], s[34:35], v[6:7] op_sel_hi:[0,1,1] neg_lo:[0,0,1] neg_hi:[0,0,1]
	v_pk_fma_f32 v[8:9], v[32:33], s[34:35], v[6:7] op_sel_hi:[0,1,1]
	s_and_b64 vcc, exec, s[0:1]
	v_lshl_add_u64 v[6:7], v[0:1], 3, v[4:5]
	s_cbranch_vccnz .LBB521_21
; %bb.20:
	flat_load_dwordx2 v[12:13], v[6:7]
	s_mov_b32 s10, s7
	v_mov_b32_e32 v3, v9
	s_waitcnt vmcnt(0) lgkmcnt(0)
	v_pk_mul_f32 v[8:9], v[12:13], s[10:11] op_sel:[1,0] op_sel_hi:[0,0]
	v_pk_fma_f32 v[14:15], v[12:13], s[6:7], v[8:9] neg_lo:[0,0,1] neg_hi:[0,0,1]
	v_pk_fma_f32 v[8:9], v[12:13], s[6:7], v[8:9] op_sel_hi:[1,0,1]
	s_nop 0
	v_mov_b32_e32 v15, v9
	v_pk_add_f32 v[2:3], v[2:3], v[14:15]
	s_nop 0
	v_mov_b32_e32 v9, v3
.LBB521_21:
	v_mov_b32_e32 v3, v9
	flat_store_dwordx2 v[6:7], v[2:3]
.LBB521_22:
	s_or_b64 exec, exec, s[4:5]
	v_add_u32_e32 v2, 16, v0
	v_cmp_le_i32_e32 vcc, v10, v2
	v_cmp_gt_i32_e64 s[4:5], s24, v2
	s_and_b64 s[12:13], vcc, s[4:5]
	v_ashrrev_i32_e32 v3, 31, v2
	s_and_saveexec_b64 s[10:11], s[12:13]
	s_cbranch_execz .LBB521_26
; %bb.23:
	v_pk_mul_f32 v[8:9], v[30:31], s[34:35] op_sel:[0,1] op_sel_hi:[0,0]
	v_pk_fma_f32 v[6:7], v[28:29], s[34:35], v[8:9] op_sel_hi:[0,1,1] neg_lo:[0,0,1] neg_hi:[0,0,1]
	v_pk_fma_f32 v[8:9], v[28:29], s[34:35], v[8:9] op_sel_hi:[0,1,1]
	s_and_b64 vcc, exec, s[0:1]
	v_lshl_add_u64 v[4:5], v[2:3], 3, v[4:5]
	s_cbranch_vccnz .LBB521_25
; %bb.24:
	flat_load_dwordx2 v[12:13], v[4:5]
	s_mov_b32 s12, s7
	v_mov_b32_e32 v7, v9
	s_waitcnt vmcnt(0) lgkmcnt(0)
	v_pk_mul_f32 v[8:9], v[12:13], s[12:13] op_sel:[1,0] op_sel_hi:[0,0]
	v_pk_fma_f32 v[14:15], v[12:13], s[6:7], v[8:9] neg_lo:[0,0,1] neg_hi:[0,0,1]
	v_pk_fma_f32 v[8:9], v[12:13], s[6:7], v[8:9] op_sel_hi:[1,0,1]
	s_nop 0
	v_mov_b32_e32 v15, v9
	v_pk_add_f32 v[6:7], v[6:7], v[14:15]
	s_nop 0
	v_mov_b32_e32 v9, v7
.LBB521_25:
	v_mov_b32_e32 v7, v9
	flat_store_dwordx2 v[4:5], v[6:7]
.LBB521_26:
	s_or_b64 exec, exec, s[10:11]
	v_add_u32_e32 v10, 16, v10
	v_ashrrev_i32_e32 v4, 31, v10
	v_mul_lo_u32 v6, s28, v4
	v_mul_lo_u32 v7, s29, v10
	v_mad_u64_u32 v[4:5], s[10:11], s28, v10, 0
	v_add3_u32 v5, v5, v6, v7
	v_cmp_le_i32_e32 vcc, v10, v0
	v_lshl_add_u64 v[4:5], v[4:5], 3, s[8:9]
	s_and_b64 s[8:9], vcc, s[2:3]
	s_and_saveexec_b64 s[2:3], s[8:9]
	s_cbranch_execz .LBB521_30
; %bb.27:
	v_pk_mul_f32 v[8:9], v[26:27], s[34:35] op_sel:[0,1] op_sel_hi:[0,0]
	v_pk_fma_f32 v[6:7], v[24:25], s[34:35], v[8:9] op_sel_hi:[0,1,1] neg_lo:[0,0,1] neg_hi:[0,0,1]
	v_pk_fma_f32 v[8:9], v[24:25], s[34:35], v[8:9] op_sel_hi:[0,1,1]
	s_and_b64 vcc, exec, s[0:1]
	v_lshl_add_u64 v[0:1], v[0:1], 3, v[4:5]
	s_cbranch_vccnz .LBB521_29
; %bb.28:
	flat_load_dwordx2 v[12:13], v[0:1]
	s_mov_b32 s8, s7
	v_mov_b32_e32 v7, v9
	s_waitcnt vmcnt(0) lgkmcnt(0)
	v_pk_mul_f32 v[8:9], v[12:13], s[8:9] op_sel:[1,0] op_sel_hi:[0,0]
	v_pk_fma_f32 v[14:15], v[12:13], s[6:7], v[8:9] neg_lo:[0,0,1] neg_hi:[0,0,1]
	v_pk_fma_f32 v[8:9], v[12:13], s[6:7], v[8:9] op_sel_hi:[1,0,1]
	s_nop 0
	v_mov_b32_e32 v15, v9
	v_pk_add_f32 v[6:7], v[6:7], v[14:15]
	s_nop 0
	v_mov_b32_e32 v9, v7
.LBB521_29:
	v_mov_b32_e32 v7, v9
	flat_store_dwordx2 v[0:1], v[6:7]
.LBB521_30:
	s_or_b64 exec, exec, s[2:3]
	v_cmp_le_i32_e32 vcc, v10, v2
	s_and_b64 s[2:3], vcc, s[4:5]
	s_and_saveexec_b64 s[4:5], s[2:3]
	s_cbranch_execz .LBB521_34
; %bb.31:
	v_pk_mul_f32 v[6:7], v[22:23], s[34:35] op_sel:[0,1] op_sel_hi:[0,0]
	v_pk_fma_f32 v[0:1], v[20:21], s[34:35], v[6:7] op_sel_hi:[0,1,1] neg_lo:[0,0,1] neg_hi:[0,0,1]
	v_pk_fma_f32 v[6:7], v[20:21], s[34:35], v[6:7] op_sel_hi:[0,1,1]
	s_and_b64 vcc, exec, s[0:1]
	v_lshl_add_u64 v[2:3], v[2:3], 3, v[4:5]
	s_cbranch_vccnz .LBB521_33
; %bb.32:
	flat_load_dwordx2 v[4:5], v[2:3]
	s_mov_b32 s0, s7
	v_mov_b32_e32 v1, v7
	s_waitcnt vmcnt(0) lgkmcnt(0)
	v_pk_mul_f32 v[6:7], v[4:5], s[0:1] op_sel:[1,0] op_sel_hi:[0,0]
	v_pk_fma_f32 v[8:9], v[4:5], s[6:7], v[6:7] neg_lo:[0,0,1] neg_hi:[0,0,1]
	v_pk_fma_f32 v[4:5], v[4:5], s[6:7], v[6:7] op_sel_hi:[1,0,1]
	s_nop 0
	v_mov_b32_e32 v9, v5
	v_pk_add_f32 v[0:1], v[0:1], v[8:9]
	s_nop 0
	v_mov_b32_e32 v7, v1
.LBB521_33:
	v_mov_b32_e32 v1, v7
	flat_store_dwordx2 v[2:3], v[0:1]
.LBB521_34:
	s_endpgm
	.section	.rodata,"a",@progbits
	.p2align	6, 0x0
	.amdhsa_kernel _ZL29rocblas_internal_gemmt_kernelIlLi16ELi32ELi8ELc67ELc67ELc76ELb1ELb1E19rocblas_complex_numIfEPKS1_PKS3_PKPS1_EviT_T9_T10_S9_lSB_S9_lSA_T11_S9_li
		.amdhsa_group_segment_fixed_size 4096
		.amdhsa_private_segment_fixed_size 0
		.amdhsa_kernarg_size 108
		.amdhsa_user_sgpr_count 2
		.amdhsa_user_sgpr_dispatch_ptr 0
		.amdhsa_user_sgpr_queue_ptr 0
		.amdhsa_user_sgpr_kernarg_segment_ptr 1
		.amdhsa_user_sgpr_dispatch_id 0
		.amdhsa_user_sgpr_kernarg_preload_length 0
		.amdhsa_user_sgpr_kernarg_preload_offset 0
		.amdhsa_user_sgpr_private_segment_size 0
		.amdhsa_uses_dynamic_stack 0
		.amdhsa_enable_private_segment 0
		.amdhsa_system_sgpr_workgroup_id_x 1
		.amdhsa_system_sgpr_workgroup_id_y 1
		.amdhsa_system_sgpr_workgroup_id_z 1
		.amdhsa_system_sgpr_workgroup_info 0
		.amdhsa_system_vgpr_workitem_id 1
		.amdhsa_next_free_vgpr 53
		.amdhsa_next_free_sgpr 40
		.amdhsa_accum_offset 56
		.amdhsa_reserve_vcc 1
		.amdhsa_float_round_mode_32 0
		.amdhsa_float_round_mode_16_64 0
		.amdhsa_float_denorm_mode_32 3
		.amdhsa_float_denorm_mode_16_64 3
		.amdhsa_dx10_clamp 1
		.amdhsa_ieee_mode 1
		.amdhsa_fp16_overflow 0
		.amdhsa_tg_split 0
		.amdhsa_exception_fp_ieee_invalid_op 0
		.amdhsa_exception_fp_denorm_src 0
		.amdhsa_exception_fp_ieee_div_zero 0
		.amdhsa_exception_fp_ieee_overflow 0
		.amdhsa_exception_fp_ieee_underflow 0
		.amdhsa_exception_fp_ieee_inexact 0
		.amdhsa_exception_int_div_zero 0
	.end_amdhsa_kernel
	.section	.text._ZL29rocblas_internal_gemmt_kernelIlLi16ELi32ELi8ELc67ELc67ELc76ELb1ELb1E19rocblas_complex_numIfEPKS1_PKS3_PKPS1_EviT_T9_T10_S9_lSB_S9_lSA_T11_S9_li,"axG",@progbits,_ZL29rocblas_internal_gemmt_kernelIlLi16ELi32ELi8ELc67ELc67ELc76ELb1ELb1E19rocblas_complex_numIfEPKS1_PKS3_PKPS1_EviT_T9_T10_S9_lSB_S9_lSA_T11_S9_li,comdat
.Lfunc_end521:
	.size	_ZL29rocblas_internal_gemmt_kernelIlLi16ELi32ELi8ELc67ELc67ELc76ELb1ELb1E19rocblas_complex_numIfEPKS1_PKS3_PKPS1_EviT_T9_T10_S9_lSB_S9_lSA_T11_S9_li, .Lfunc_end521-_ZL29rocblas_internal_gemmt_kernelIlLi16ELi32ELi8ELc67ELc67ELc76ELb1ELb1E19rocblas_complex_numIfEPKS1_PKS3_PKPS1_EviT_T9_T10_S9_lSB_S9_lSA_T11_S9_li
                                        ; -- End function
	.set _ZL29rocblas_internal_gemmt_kernelIlLi16ELi32ELi8ELc67ELc67ELc76ELb1ELb1E19rocblas_complex_numIfEPKS1_PKS3_PKPS1_EviT_T9_T10_S9_lSB_S9_lSA_T11_S9_li.num_vgpr, 53
	.set _ZL29rocblas_internal_gemmt_kernelIlLi16ELi32ELi8ELc67ELc67ELc76ELb1ELb1E19rocblas_complex_numIfEPKS1_PKS3_PKPS1_EviT_T9_T10_S9_lSB_S9_lSA_T11_S9_li.num_agpr, 0
	.set _ZL29rocblas_internal_gemmt_kernelIlLi16ELi32ELi8ELc67ELc67ELc76ELb1ELb1E19rocblas_complex_numIfEPKS1_PKS3_PKPS1_EviT_T9_T10_S9_lSB_S9_lSA_T11_S9_li.numbered_sgpr, 40
	.set _ZL29rocblas_internal_gemmt_kernelIlLi16ELi32ELi8ELc67ELc67ELc76ELb1ELb1E19rocblas_complex_numIfEPKS1_PKS3_PKPS1_EviT_T9_T10_S9_lSB_S9_lSA_T11_S9_li.num_named_barrier, 0
	.set _ZL29rocblas_internal_gemmt_kernelIlLi16ELi32ELi8ELc67ELc67ELc76ELb1ELb1E19rocblas_complex_numIfEPKS1_PKS3_PKPS1_EviT_T9_T10_S9_lSB_S9_lSA_T11_S9_li.private_seg_size, 0
	.set _ZL29rocblas_internal_gemmt_kernelIlLi16ELi32ELi8ELc67ELc67ELc76ELb1ELb1E19rocblas_complex_numIfEPKS1_PKS3_PKPS1_EviT_T9_T10_S9_lSB_S9_lSA_T11_S9_li.uses_vcc, 1
	.set _ZL29rocblas_internal_gemmt_kernelIlLi16ELi32ELi8ELc67ELc67ELc76ELb1ELb1E19rocblas_complex_numIfEPKS1_PKS3_PKPS1_EviT_T9_T10_S9_lSB_S9_lSA_T11_S9_li.uses_flat_scratch, 0
	.set _ZL29rocblas_internal_gemmt_kernelIlLi16ELi32ELi8ELc67ELc67ELc76ELb1ELb1E19rocblas_complex_numIfEPKS1_PKS3_PKPS1_EviT_T9_T10_S9_lSB_S9_lSA_T11_S9_li.has_dyn_sized_stack, 0
	.set _ZL29rocblas_internal_gemmt_kernelIlLi16ELi32ELi8ELc67ELc67ELc76ELb1ELb1E19rocblas_complex_numIfEPKS1_PKS3_PKPS1_EviT_T9_T10_S9_lSB_S9_lSA_T11_S9_li.has_recursion, 0
	.set _ZL29rocblas_internal_gemmt_kernelIlLi16ELi32ELi8ELc67ELc67ELc76ELb1ELb1E19rocblas_complex_numIfEPKS1_PKS3_PKPS1_EviT_T9_T10_S9_lSB_S9_lSA_T11_S9_li.has_indirect_call, 0
	.section	.AMDGPU.csdata,"",@progbits
; Kernel info:
; codeLenInByte = 2652
; TotalNumSgprs: 46
; NumVgprs: 53
; NumAgprs: 0
; TotalNumVgprs: 53
; ScratchSize: 0
; MemoryBound: 0
; FloatMode: 240
; IeeeMode: 1
; LDSByteSize: 4096 bytes/workgroup (compile time only)
; SGPRBlocks: 5
; VGPRBlocks: 6
; NumSGPRsForWavesPerEU: 46
; NumVGPRsForWavesPerEU: 53
; AccumOffset: 56
; Occupancy: 8
; WaveLimiterHint : 1
; COMPUTE_PGM_RSRC2:SCRATCH_EN: 0
; COMPUTE_PGM_RSRC2:USER_SGPR: 2
; COMPUTE_PGM_RSRC2:TRAP_HANDLER: 0
; COMPUTE_PGM_RSRC2:TGID_X_EN: 1
; COMPUTE_PGM_RSRC2:TGID_Y_EN: 1
; COMPUTE_PGM_RSRC2:TGID_Z_EN: 1
; COMPUTE_PGM_RSRC2:TIDIG_COMP_CNT: 1
; COMPUTE_PGM_RSRC3_GFX90A:ACCUM_OFFSET: 13
; COMPUTE_PGM_RSRC3_GFX90A:TG_SPLIT: 0
	.section	.text._ZL29rocblas_internal_gemmt_kernelIlLi16ELi32ELi8ELc78ELc78ELc85ELb0ELb0E19rocblas_complex_numIfES1_PKPKS1_PKPS1_EviT_T9_T10_S9_lSB_S9_lSA_T11_S9_li,"axG",@progbits,_ZL29rocblas_internal_gemmt_kernelIlLi16ELi32ELi8ELc78ELc78ELc85ELb0ELb0E19rocblas_complex_numIfES1_PKPKS1_PKPS1_EviT_T9_T10_S9_lSB_S9_lSA_T11_S9_li,comdat
	.globl	_ZL29rocblas_internal_gemmt_kernelIlLi16ELi32ELi8ELc78ELc78ELc85ELb0ELb0E19rocblas_complex_numIfES1_PKPKS1_PKPS1_EviT_T9_T10_S9_lSB_S9_lSA_T11_S9_li ; -- Begin function _ZL29rocblas_internal_gemmt_kernelIlLi16ELi32ELi8ELc78ELc78ELc85ELb0ELb0E19rocblas_complex_numIfES1_PKPKS1_PKPS1_EviT_T9_T10_S9_lSB_S9_lSA_T11_S9_li
	.p2align	8
	.type	_ZL29rocblas_internal_gemmt_kernelIlLi16ELi32ELi8ELc78ELc78ELc85ELb0ELb0E19rocblas_complex_numIfES1_PKPKS1_PKPS1_EviT_T9_T10_S9_lSB_S9_lSA_T11_S9_li,@function
_ZL29rocblas_internal_gemmt_kernelIlLi16ELi32ELi8ELc78ELc78ELc85ELb0ELb0E19rocblas_complex_numIfES1_PKPKS1_PKPS1_EviT_T9_T10_S9_lSB_S9_lSA_T11_S9_li: ; @_ZL29rocblas_internal_gemmt_kernelIlLi16ELi32ELi8ELc78ELc78ELc85ELb0ELb0E19rocblas_complex_numIfES1_PKPKS1_PKPS1_EviT_T9_T10_S9_lSB_S9_lSA_T11_S9_li
; %bb.0:
	s_load_dwordx2 s[20:21], s[0:1], 0x48
	s_load_dwordx2 s[22:23], s[0:1], 0x10
	s_waitcnt lgkmcnt(0)
	s_and_b32 s5, s21, 0x7fffffff
	s_cmp_eq_u32 s5, 0
	v_cmp_eq_f32_e64 s[6:7], s20, 1.0
	s_cselect_b64 s[24:25], -1, 0
	s_and_b64 s[6:7], s[6:7], s[24:25]
	s_and_b64 vcc, exec, s[6:7]
	s_cbranch_vccnz .LBB522_2
; %bb.1:
	s_mov_b64 s[6:7], -1
	s_load_dwordx2 s[26:27], s[0:1], 0x8
	s_cbranch_execz .LBB522_3
	s_branch .LBB522_4
.LBB522_2:
	s_mov_b64 s[6:7], 0
	s_load_dwordx2 s[26:27], s[0:1], 0x8
.LBB522_3:
	s_waitcnt lgkmcnt(0)
	s_cmp_lg_u64 s[26:27], 0
	v_cmp_neq_f32_e64 s[8:9], s22, 0
	v_cmp_neq_f32_e64 s[10:11], s23, 0
	s_cselect_b64 s[6:7], -1, 0
	s_or_b64 s[8:9], s[8:9], s[10:11]
	s_and_b64 s[6:7], s[6:7], s[8:9]
.LBB522_4:
	s_andn2_b64 vcc, exec, s[6:7]
	s_cbranch_vccnz .LBB522_30
; %bb.5:
	s_load_dwordx2 s[28:29], s[0:1], 0x60
	s_load_dword s33, s[0:1], 0x0
	s_load_dwordx4 s[12:15], s[0:1], 0x50
	s_mov_b32 s5, 0
	s_lshl_b64 s[30:31], s[4:5], 3
	v_and_b32_e32 v9, 0x3ff, v0
	v_bfe_u32 v11, v0, 10, 10
	s_waitcnt lgkmcnt(0)
	s_add_u32 s4, s12, s30
	s_addc_u32 s5, s13, s31
	s_load_dwordx2 s[12:13], s[4:5], 0x0
	s_lshl_b32 s34, s2, 5
	s_lshl_b32 s35, s3, 5
	v_cmp_eq_f32_e64 s[2:3], s22, 0
	v_cmp_eq_f32_e64 s[4:5], s23, 0
	s_and_b64 s[2:3], s[2:3], s[4:5]
	v_cmp_lt_i64_e64 s[4:5], s[26:27], 1
	s_or_b64 s[2:3], s[2:3], s[4:5]
	v_mov_b32_e32 v30, 0
	s_and_b64 vcc, exec, s[2:3]
	v_mov_b32_e32 v32, 0
	v_mov_b32_e32 v26, 0
	;; [unrolled: 1-line block ×7, first 2 shown]
	s_cbranch_vccnz .LBB522_14
; %bb.6:
	s_load_dwordx8 s[4:11], s[0:1], 0x18
	s_load_dwordx4 s[16:19], s[0:1], 0x38
	v_lshl_add_u32 v0, v11, 4, v9
	v_and_b32_e32 v1, 31, v0
	v_lshrrev_b32_e32 v10, 5, v0
	s_waitcnt lgkmcnt(0)
	s_add_u32 s0, s10, s30
	s_addc_u32 s1, s11, s31
	s_load_dwordx2 s[0:1], s[0:1], 0x0
	s_lshl_b64 s[2:3], s[18:19], 3
	v_lshrrev_b32_e32 v2, 3, v0
	v_or_b32_e32 v0, s34, v1
	v_lshlrev_b32_e32 v1, 3, v1
	s_waitcnt lgkmcnt(0)
	s_add_u32 s10, s0, s2
	s_addc_u32 s11, s1, s3
	s_add_u32 s0, s4, s30
	s_addc_u32 s1, s5, s31
	s_load_dwordx2 s[2:3], s[0:1], 0x0
	s_lshl_b64 s[4:5], s[8:9], 3
	v_and_b32_e32 v8, 7, v9
	v_lshl_or_b32 v19, v10, 8, v1
	v_ashrrev_i32_e32 v1, 31, v0
	s_waitcnt lgkmcnt(0)
	s_add_u32 s2, s2, s4
	s_addc_u32 s3, s3, s5
	v_cmp_gt_i32_e64 s[0:1], s33, v0
	v_lshl_add_u64 v[12:13], v[0:1], 3, s[2:3]
	v_lshlrev_b32_e32 v0, 3, v8
	v_add_u32_e32 v3, s35, v2
	v_lshl_or_b32 v0, v2, 6, v0
	v_add_u32_e32 v21, 0x800, v0
	v_ashrrev_i32_e32 v0, 31, v3
	v_mul_lo_u32 v2, s16, v0
	v_mul_lo_u32 v4, s17, v3
	v_mad_u64_u32 v[0:1], s[4:5], s16, v3, 0
	v_add3_u32 v1, v1, v2, v4
	v_lshl_add_u64 v[14:15], v[0:1], 3, s[10:11]
	v_mov_b32_e32 v0, 0x800
	v_cmp_gt_i32_e64 s[2:3], s33, v3
	v_lshlrev_b32_e32 v23, 3, v9
	v_lshl_add_u32 v25, v11, 6, v0
	v_mov_b32_e32 v17, 0
	s_mov_b64 s[4:5], 0
	v_mov_b32_e32 v20, 0
	v_mov_b32_e32 v18, 0
	;; [unrolled: 1-line block ×8, first 2 shown]
	s_branch .LBB522_8
.LBB522_7:                              ;   in Loop: Header=BB522_8 Depth=1
	s_or_b64 exec, exec, s[8:9]
	s_waitcnt vmcnt(0) lgkmcnt(0)
	ds_write_b64 v21, v[0:1]
	s_waitcnt lgkmcnt(0)
	s_barrier
	ds_read2_b64 v[34:37], v23 offset1:16
	ds_read_b128 v[38:41], v25
	ds_read_b128 v[42:45], v25 offset:16
	ds_read_b128 v[4:7], v25 offset:32
	;; [unrolled: 1-line block ×3, first 2 shown]
	s_add_u32 s4, s4, 8
	s_waitcnt lgkmcnt(3)
	v_mul_f32_e32 v16, v39, v35
	v_mul_f32_e32 v27, v38, v35
	v_fma_f32 v16, v38, v34, -v16
	v_fmac_f32_e32 v27, v39, v34
	v_add_f32_e32 v16, v30, v16
	v_add_f32_e32 v50, v32, v27
	ds_read_b128 v[30:33], v25 offset:1024
	v_mul_f32_e32 v27, v39, v37
	v_mul_f32_e32 v29, v38, v37
	v_fma_f32 v27, v38, v36, -v27
	v_fmac_f32_e32 v29, v39, v36
	v_add_f32_e32 v38, v26, v27
	v_add_f32_e32 v39, v28, v29
	ds_read_b128 v[26:29], v25 offset:1040
	s_waitcnt lgkmcnt(1)
	v_mul_f32_e32 v46, v31, v35
	v_fma_f32 v46, v30, v34, -v46
	v_add_f32_e32 v22, v22, v46
	ds_read2_b64 v[46:49], v23 offset0:32 offset1:48
	v_mul_f32_e32 v35, v30, v35
	v_fmac_f32_e32 v35, v31, v34
	v_mul_f32_e32 v34, v31, v37
	v_fma_f32 v34, v30, v36, -v34
	v_mul_f32_e32 v30, v30, v37
	v_fmac_f32_e32 v30, v31, v36
	v_add_f32_e32 v20, v20, v30
	s_waitcnt lgkmcnt(0)
	v_mul_f32_e32 v30, v41, v47
	v_mul_f32_e32 v31, v40, v47
	v_fma_f32 v30, v40, v46, -v30
	v_fmac_f32_e32 v31, v41, v46
	v_add_f32_e32 v18, v18, v34
	v_add_f32_e32 v16, v16, v30
	;; [unrolled: 1-line block ×3, first 2 shown]
	v_mul_f32_e32 v31, v41, v49
	v_mul_f32_e32 v34, v40, v49
	v_fma_f32 v31, v40, v48, -v31
	v_fmac_f32_e32 v34, v41, v48
	v_add_f32_e32 v31, v38, v31
	v_add_f32_e32 v38, v39, v34
	v_mul_f32_e32 v34, v33, v47
	v_add_f32_e32 v24, v24, v35
	v_fma_f32 v34, v32, v46, -v34
	v_mul_f32_e32 v35, v32, v47
	v_fmac_f32_e32 v35, v33, v46
	v_add_f32_e32 v22, v22, v34
	v_mul_f32_e32 v34, v33, v49
	v_add_f32_e32 v24, v24, v35
	v_fma_f32 v39, v32, v48, -v34
	ds_read2_b64 v[34:37], v23 offset0:64 offset1:80
	v_mul_f32_e32 v32, v32, v49
	v_fmac_f32_e32 v32, v33, v48
	v_add_f32_e32 v18, v18, v39
	v_add_f32_e32 v20, v20, v32
	s_waitcnt lgkmcnt(0)
	v_mul_f32_e32 v33, v42, v35
	v_fmac_f32_e32 v33, v43, v34
	v_add_f32_e32 v39, v30, v33
	v_mul_f32_e32 v30, v43, v37
	v_mul_f32_e32 v32, v43, v35
	v_fma_f32 v30, v42, v36, -v30
	v_fma_f32 v32, v42, v34, -v32
	v_add_f32_e32 v40, v31, v30
	v_mul_f32_e32 v30, v27, v35
	v_add_f32_e32 v16, v16, v32
	v_mul_f32_e32 v32, v42, v37
	v_fma_f32 v30, v26, v34, -v30
	v_mul_f32_e32 v31, v26, v35
	v_fmac_f32_e32 v32, v43, v36
	v_fmac_f32_e32 v31, v27, v34
	v_add_f32_e32 v22, v22, v30
	v_mul_f32_e32 v30, v27, v37
	v_add_f32_e32 v38, v38, v32
	v_add_f32_e32 v24, v24, v31
	v_fma_f32 v34, v26, v36, -v30
	ds_read2_b64 v[30:33], v23 offset0:96 offset1:112
	v_mul_f32_e32 v26, v26, v37
	v_fmac_f32_e32 v26, v27, v36
	v_add_f32_e32 v20, v20, v26
	v_add_f32_e32 v18, v18, v34
	s_waitcnt lgkmcnt(0)
	v_mul_f32_e32 v26, v45, v31
	v_mul_f32_e32 v27, v44, v31
	v_fma_f32 v26, v44, v30, -v26
	v_fmac_f32_e32 v27, v45, v30
	v_add_f32_e32 v16, v16, v26
	v_add_f32_e32 v26, v39, v27
	v_mul_f32_e32 v27, v45, v33
	v_mul_f32_e32 v34, v44, v33
	v_fma_f32 v27, v44, v32, -v27
	v_fmac_f32_e32 v34, v45, v32
	v_add_f32_e32 v39, v40, v27
	v_add_f32_e32 v38, v38, v34
	v_mul_f32_e32 v27, v29, v31
	ds_read2_b64 v[34:37], v23 offset0:128 offset1:144
	v_fma_f32 v27, v28, v30, -v27
	v_add_f32_e32 v22, v22, v27
	v_mul_f32_e32 v27, v29, v33
	v_mul_f32_e32 v31, v28, v31
	v_fma_f32 v27, v28, v32, -v27
	v_mul_f32_e32 v28, v28, v33
	v_fmac_f32_e32 v28, v29, v32
	v_add_f32_e32 v20, v20, v28
	s_waitcnt lgkmcnt(0)
	v_mul_f32_e32 v28, v4, v35
	v_add_f32_e32 v18, v18, v27
	v_mul_f32_e32 v27, v5, v35
	v_fmac_f32_e32 v28, v5, v34
	v_fma_f32 v27, v4, v34, -v27
	v_add_f32_e32 v42, v26, v28
	v_mul_f32_e32 v26, v5, v37
	v_fmac_f32_e32 v31, v29, v30
	v_add_f32_e32 v16, v16, v27
	v_fma_f32 v30, v4, v36, -v26
	ds_read_b128 v[26:29], v25 offset:1056
	v_mul_f32_e32 v4, v4, v37
	v_fmac_f32_e32 v4, v5, v36
	v_add_f32_e32 v5, v39, v30
	v_add_f32_e32 v4, v38, v4
	ds_read_b128 v[38:41], v25 offset:1072
	s_waitcnt lgkmcnt(1)
	v_mul_f32_e32 v30, v27, v35
	v_add_f32_e32 v24, v24, v31
	v_fma_f32 v30, v26, v34, -v30
	v_mul_f32_e32 v31, v26, v35
	v_fmac_f32_e32 v31, v27, v34
	v_add_f32_e32 v22, v22, v30
	v_mul_f32_e32 v30, v27, v37
	v_add_f32_e32 v24, v24, v31
	v_fma_f32 v34, v26, v36, -v30
	ds_read2_b64 v[30:33], v23 offset0:160 offset1:176
	v_mul_f32_e32 v26, v26, v37
	v_fmac_f32_e32 v26, v27, v36
	v_add_f32_e32 v20, v20, v26
	v_add_f32_e32 v18, v18, v34
	s_waitcnt lgkmcnt(0)
	v_mul_f32_e32 v26, v7, v31
	v_mul_f32_e32 v27, v6, v31
	v_fma_f32 v26, v6, v30, -v26
	v_fmac_f32_e32 v27, v7, v30
	v_add_f32_e32 v16, v16, v26
	v_add_f32_e32 v26, v42, v27
	v_mul_f32_e32 v27, v7, v33
	v_fma_f32 v27, v6, v32, -v27
	v_mul_f32_e32 v6, v6, v33
	v_fmac_f32_e32 v6, v7, v32
	v_add_f32_e32 v34, v4, v6
	v_mul_f32_e32 v4, v29, v31
	v_add_f32_e32 v27, v5, v27
	v_fma_f32 v4, v28, v30, -v4
	v_mul_f32_e32 v5, v28, v31
	v_fmac_f32_e32 v5, v29, v30
	v_add_f32_e32 v22, v22, v4
	v_mul_f32_e32 v4, v29, v33
	v_add_f32_e32 v24, v24, v5
	v_fma_f32 v30, v28, v32, -v4
	ds_read2_b64 v[4:7], v23 offset0:192 offset1:208
	v_mul_f32_e32 v28, v28, v33
	v_fmac_f32_e32 v28, v29, v32
	v_add_f32_e32 v20, v20, v28
	v_add_f32_e32 v18, v18, v30
	s_waitcnt lgkmcnt(0)
	v_mul_f32_e32 v28, v1, v5
	v_fma_f32 v28, v0, v4, -v28
	v_add_f32_e32 v16, v16, v28
	v_mul_f32_e32 v28, v1, v7
	v_mul_f32_e32 v29, v0, v5
	v_fma_f32 v28, v0, v6, -v28
	v_mul_f32_e32 v0, v0, v7
	v_fmac_f32_e32 v0, v1, v6
	v_add_f32_e32 v0, v34, v0
	ds_read2_b64 v[34:37], v23 offset0:224 offset1:240
	v_fmac_f32_e32 v29, v1, v4
	v_add_f32_e32 v1, v27, v28
	v_mul_f32_e32 v27, v39, v5
	v_fma_f32 v27, v38, v4, -v27
	v_mul_f32_e32 v5, v38, v5
	v_fmac_f32_e32 v5, v39, v4
	v_add_f32_e32 v4, v22, v27
	v_mul_f32_e32 v22, v39, v7
	v_fma_f32 v22, v38, v6, -v22
	v_mul_f32_e32 v7, v38, v7
	v_fmac_f32_e32 v7, v39, v6
	v_add_f32_e32 v6, v18, v22
	s_waitcnt lgkmcnt(0)
	v_mul_f32_e32 v18, v3, v35
	v_fma_f32 v18, v2, v34, -v18
	v_add_f32_e32 v30, v16, v18
	v_mul_f32_e32 v16, v3, v37
	v_add_f32_e32 v7, v20, v7
	v_mul_f32_e32 v20, v2, v35
	v_fma_f32 v16, v2, v36, -v16
	v_mul_f32_e32 v2, v2, v37
	v_add_f32_e32 v26, v26, v29
	v_fmac_f32_e32 v20, v3, v34
	v_fmac_f32_e32 v2, v3, v36
	v_add_f32_e32 v32, v26, v20
	v_add_f32_e32 v26, v1, v16
	;; [unrolled: 1-line block ×3, first 2 shown]
	v_mul_f32_e32 v0, v41, v35
	v_mul_f32_e32 v1, v40, v35
	v_add_f32_e32 v5, v24, v5
	v_fma_f32 v0, v40, v34, -v0
	v_fmac_f32_e32 v1, v41, v34
	v_add_f32_e32 v22, v4, v0
	v_add_f32_e32 v24, v5, v1
	v_mul_f32_e32 v0, v41, v37
	v_mul_f32_e32 v1, v40, v37
	v_fma_f32 v0, v40, v36, -v0
	v_fmac_f32_e32 v1, v41, v36
	s_addc_u32 s5, s5, 0
	v_add_f32_e32 v18, v6, v0
	v_add_f32_e32 v20, v7, v1
	v_mov_b64_e32 v[0:1], s[4:5]
	v_cmp_gt_i64_e32 vcc, s[26:27], v[0:1]
	s_barrier
	s_cbranch_vccz .LBB522_14
.LBB522_8:                              ; =>This Inner Loop Header: Depth=1
	v_mov_b32_e32 v0, 0
	v_mov_b32_e32 v1, 0
	s_and_saveexec_b64 s[8:9], s[0:1]
	s_cbranch_execz .LBB522_12
; %bb.9:                                ;   in Loop: Header=BB522_8 Depth=1
	v_add_u32_e32 v16, s4, v10
	v_cmp_gt_u64_e32 vcc, s[26:27], v[16:17]
	v_mov_b32_e32 v1, 0
	v_mov_b32_e32 v0, 0
	s_and_saveexec_b64 s[10:11], vcc
	s_cbranch_execz .LBB522_11
; %bb.10:                               ;   in Loop: Header=BB522_8 Depth=1
	v_mad_u64_u32 v[0:1], s[16:17], s6, v16, 0
	v_mov_b32_e32 v2, v1
	v_mad_u64_u32 v[2:3], s[16:17], s7, v16, v[2:3]
	v_mov_b32_e32 v1, v2
	v_lshl_add_u64 v[0:1], v[0:1], 3, v[12:13]
	flat_load_dwordx2 v[0:1], v[0:1]
.LBB522_11:                             ;   in Loop: Header=BB522_8 Depth=1
	s_or_b64 exec, exec, s[10:11]
.LBB522_12:                             ;   in Loop: Header=BB522_8 Depth=1
	s_or_b64 exec, exec, s[8:9]
	v_add_u32_e32 v16, s4, v8
	v_cmp_gt_u64_e32 vcc, s[26:27], v[16:17]
	s_waitcnt vmcnt(0) lgkmcnt(0)
	ds_write_b64 v19, v[0:1]
	s_and_b64 s[10:11], vcc, s[2:3]
	v_mov_b32_e32 v0, 0
	v_mov_b32_e32 v1, 0
	s_and_saveexec_b64 s[8:9], s[10:11]
	s_cbranch_execz .LBB522_7
; %bb.13:                               ;   in Loop: Header=BB522_8 Depth=1
	v_lshl_add_u64 v[0:1], v[16:17], 3, v[14:15]
	flat_load_dwordx2 v[0:1], v[0:1]
	s_branch .LBB522_7
.LBB522_14:
	s_lshl_b64 s[0:1], s[28:29], 3
	v_add_u32_e32 v10, s35, v11
	s_waitcnt lgkmcnt(0)
	s_add_u32 s4, s12, s0
	v_ashrrev_i32_e32 v1, 31, v10
	s_addc_u32 s5, s13, s1
	v_cmp_neq_f32_e64 s[0:1], s20, 0
	s_xor_b64 s[6:7], s[24:25], -1
	v_mul_lo_u32 v1, s14, v1
	v_mul_lo_u32 v4, s15, v10
	v_mad_u64_u32 v[2:3], s[8:9], s14, v10, 0
	v_add_u32_e32 v0, s34, v9
	v_add3_u32 v3, v3, v1, v4
	s_or_b64 s[0:1], s[0:1], s[6:7]
	v_cmp_gt_i32_e64 s[2:3], s33, v10
	v_lshl_add_u64 v[4:5], v[2:3], 3, s[4:5]
	v_cmp_le_i32_e32 vcc, v0, v10
	v_cndmask_b32_e64 v2, 0, 1, s[0:1]
	s_and_b64 s[8:9], s[2:3], vcc
	v_ashrrev_i32_e32 v1, 31, v0
	v_cmp_ne_u32_e64 s[0:1], 1, v2
	s_and_saveexec_b64 s[6:7], s[8:9]
	s_cbranch_execz .LBB522_18
; %bb.15:
	v_pk_mul_f32 v[6:7], v[32:33], s[22:23] op_sel:[0,1] op_sel_hi:[0,0]
	v_pk_fma_f32 v[2:3], v[30:31], s[22:23], v[6:7] op_sel_hi:[0,1,1] neg_lo:[0,0,1] neg_hi:[0,0,1]
	v_pk_fma_f32 v[8:9], v[30:31], s[22:23], v[6:7] op_sel_hi:[0,1,1]
	s_and_b64 vcc, exec, s[0:1]
	v_lshl_add_u64 v[6:7], v[0:1], 3, v[4:5]
	s_cbranch_vccnz .LBB522_17
; %bb.16:
	flat_load_dwordx2 v[12:13], v[6:7]
	s_mov_b32 s8, s21
	v_mov_b32_e32 v3, v9
	s_waitcnt vmcnt(0) lgkmcnt(0)
	v_pk_mul_f32 v[8:9], v[12:13], s[8:9] op_sel:[1,0] op_sel_hi:[0,0]
	v_pk_fma_f32 v[14:15], v[12:13], s[20:21], v[8:9] neg_lo:[0,0,1] neg_hi:[0,0,1]
	v_pk_fma_f32 v[8:9], v[12:13], s[20:21], v[8:9] op_sel_hi:[1,0,1]
	s_nop 0
	v_mov_b32_e32 v15, v9
	v_pk_add_f32 v[2:3], v[2:3], v[14:15]
	s_nop 0
	v_mov_b32_e32 v9, v3
.LBB522_17:
	v_mov_b32_e32 v3, v9
	flat_store_dwordx2 v[6:7], v[2:3]
.LBB522_18:
	s_or_b64 exec, exec, s[6:7]
	v_add_u32_e32 v2, 16, v0
	v_cmp_le_i32_e32 vcc, v2, v10
	s_and_b64 s[6:7], s[2:3], vcc
	v_ashrrev_i32_e32 v3, 31, v2
	s_and_saveexec_b64 s[2:3], s[6:7]
	s_cbranch_execz .LBB522_22
; %bb.19:
	v_pk_mul_f32 v[8:9], v[28:29], s[22:23] op_sel:[0,1] op_sel_hi:[0,0]
	v_pk_fma_f32 v[6:7], v[26:27], s[22:23], v[8:9] op_sel_hi:[0,1,1] neg_lo:[0,0,1] neg_hi:[0,0,1]
	v_pk_fma_f32 v[8:9], v[26:27], s[22:23], v[8:9] op_sel_hi:[0,1,1]
	s_and_b64 vcc, exec, s[0:1]
	v_lshl_add_u64 v[4:5], v[2:3], 3, v[4:5]
	s_cbranch_vccnz .LBB522_21
; %bb.20:
	flat_load_dwordx2 v[12:13], v[4:5]
	s_mov_b32 s6, s21
	v_mov_b32_e32 v7, v9
	s_waitcnt vmcnt(0) lgkmcnt(0)
	v_pk_mul_f32 v[8:9], v[12:13], s[6:7] op_sel:[1,0] op_sel_hi:[0,0]
	v_pk_fma_f32 v[14:15], v[12:13], s[20:21], v[8:9] neg_lo:[0,0,1] neg_hi:[0,0,1]
	v_pk_fma_f32 v[8:9], v[12:13], s[20:21], v[8:9] op_sel_hi:[1,0,1]
	s_nop 0
	v_mov_b32_e32 v15, v9
	v_pk_add_f32 v[6:7], v[6:7], v[14:15]
	s_nop 0
	v_mov_b32_e32 v9, v7
.LBB522_21:
	v_mov_b32_e32 v7, v9
	flat_store_dwordx2 v[4:5], v[6:7]
.LBB522_22:
	s_or_b64 exec, exec, s[2:3]
	v_add_u32_e32 v10, 16, v10
	v_ashrrev_i32_e32 v4, 31, v10
	v_mul_lo_u32 v6, s14, v4
	v_mul_lo_u32 v7, s15, v10
	v_mad_u64_u32 v[4:5], s[6:7], s14, v10, 0
	v_cmp_gt_i32_e64 s[2:3], s33, v10
	v_add3_u32 v5, v5, v6, v7
	v_cmp_le_i32_e32 vcc, v0, v10
	v_lshl_add_u64 v[4:5], v[4:5], 3, s[4:5]
	s_and_b64 s[6:7], s[2:3], vcc
	s_and_saveexec_b64 s[4:5], s[6:7]
	s_cbranch_execz .LBB522_26
; %bb.23:
	v_pk_mul_f32 v[8:9], v[24:25], s[22:23] op_sel:[0,1] op_sel_hi:[0,0]
	v_pk_fma_f32 v[6:7], v[22:23], s[22:23], v[8:9] op_sel_hi:[0,1,1] neg_lo:[0,0,1] neg_hi:[0,0,1]
	v_pk_fma_f32 v[8:9], v[22:23], s[22:23], v[8:9] op_sel_hi:[0,1,1]
	s_and_b64 vcc, exec, s[0:1]
	v_lshl_add_u64 v[0:1], v[0:1], 3, v[4:5]
	s_cbranch_vccnz .LBB522_25
; %bb.24:
	flat_load_dwordx2 v[12:13], v[0:1]
	s_mov_b32 s6, s21
	v_mov_b32_e32 v7, v9
	s_waitcnt vmcnt(0) lgkmcnt(0)
	v_pk_mul_f32 v[8:9], v[12:13], s[6:7] op_sel:[1,0] op_sel_hi:[0,0]
	v_pk_fma_f32 v[14:15], v[12:13], s[20:21], v[8:9] neg_lo:[0,0,1] neg_hi:[0,0,1]
	v_pk_fma_f32 v[8:9], v[12:13], s[20:21], v[8:9] op_sel_hi:[1,0,1]
	s_nop 0
	v_mov_b32_e32 v15, v9
	v_pk_add_f32 v[6:7], v[6:7], v[14:15]
	s_nop 0
	v_mov_b32_e32 v9, v7
.LBB522_25:
	v_mov_b32_e32 v7, v9
	flat_store_dwordx2 v[0:1], v[6:7]
.LBB522_26:
	s_or_b64 exec, exec, s[4:5]
	v_cmp_le_i32_e32 vcc, v2, v10
	s_and_b64 s[2:3], s[2:3], vcc
	s_and_saveexec_b64 s[4:5], s[2:3]
	s_cbranch_execz .LBB522_30
; %bb.27:
	v_pk_mul_f32 v[6:7], v[20:21], s[22:23] op_sel:[0,1] op_sel_hi:[0,0]
	v_pk_fma_f32 v[0:1], v[18:19], s[22:23], v[6:7] op_sel_hi:[0,1,1] neg_lo:[0,0,1] neg_hi:[0,0,1]
	v_pk_fma_f32 v[6:7], v[18:19], s[22:23], v[6:7] op_sel_hi:[0,1,1]
	s_and_b64 vcc, exec, s[0:1]
	v_lshl_add_u64 v[2:3], v[2:3], 3, v[4:5]
	s_cbranch_vccnz .LBB522_29
; %bb.28:
	flat_load_dwordx2 v[4:5], v[2:3]
	s_mov_b32 s0, s21
	v_mov_b32_e32 v1, v7
	s_waitcnt vmcnt(0) lgkmcnt(0)
	v_pk_mul_f32 v[6:7], v[4:5], s[0:1] op_sel:[1,0] op_sel_hi:[0,0]
	v_pk_fma_f32 v[8:9], v[4:5], s[20:21], v[6:7] neg_lo:[0,0,1] neg_hi:[0,0,1]
	v_pk_fma_f32 v[4:5], v[4:5], s[20:21], v[6:7] op_sel_hi:[1,0,1]
	s_nop 0
	v_mov_b32_e32 v9, v5
	v_pk_add_f32 v[0:1], v[0:1], v[8:9]
	s_nop 0
	v_mov_b32_e32 v7, v1
.LBB522_29:
	v_mov_b32_e32 v1, v7
	flat_store_dwordx2 v[2:3], v[0:1]
.LBB522_30:
	s_endpgm
	.section	.rodata,"a",@progbits
	.p2align	6, 0x0
	.amdhsa_kernel _ZL29rocblas_internal_gemmt_kernelIlLi16ELi32ELi8ELc78ELc78ELc85ELb0ELb0E19rocblas_complex_numIfES1_PKPKS1_PKPS1_EviT_T9_T10_S9_lSB_S9_lSA_T11_S9_li
		.amdhsa_group_segment_fixed_size 4096
		.amdhsa_private_segment_fixed_size 0
		.amdhsa_kernarg_size 108
		.amdhsa_user_sgpr_count 2
		.amdhsa_user_sgpr_dispatch_ptr 0
		.amdhsa_user_sgpr_queue_ptr 0
		.amdhsa_user_sgpr_kernarg_segment_ptr 1
		.amdhsa_user_sgpr_dispatch_id 0
		.amdhsa_user_sgpr_kernarg_preload_length 0
		.amdhsa_user_sgpr_kernarg_preload_offset 0
		.amdhsa_user_sgpr_private_segment_size 0
		.amdhsa_uses_dynamic_stack 0
		.amdhsa_enable_private_segment 0
		.amdhsa_system_sgpr_workgroup_id_x 1
		.amdhsa_system_sgpr_workgroup_id_y 1
		.amdhsa_system_sgpr_workgroup_id_z 1
		.amdhsa_system_sgpr_workgroup_info 0
		.amdhsa_system_vgpr_workitem_id 1
		.amdhsa_next_free_vgpr 51
		.amdhsa_next_free_sgpr 36
		.amdhsa_accum_offset 52
		.amdhsa_reserve_vcc 1
		.amdhsa_float_round_mode_32 0
		.amdhsa_float_round_mode_16_64 0
		.amdhsa_float_denorm_mode_32 3
		.amdhsa_float_denorm_mode_16_64 3
		.amdhsa_dx10_clamp 1
		.amdhsa_ieee_mode 1
		.amdhsa_fp16_overflow 0
		.amdhsa_tg_split 0
		.amdhsa_exception_fp_ieee_invalid_op 0
		.amdhsa_exception_fp_denorm_src 0
		.amdhsa_exception_fp_ieee_div_zero 0
		.amdhsa_exception_fp_ieee_overflow 0
		.amdhsa_exception_fp_ieee_underflow 0
		.amdhsa_exception_fp_ieee_inexact 0
		.amdhsa_exception_int_div_zero 0
	.end_amdhsa_kernel
	.section	.text._ZL29rocblas_internal_gemmt_kernelIlLi16ELi32ELi8ELc78ELc78ELc85ELb0ELb0E19rocblas_complex_numIfES1_PKPKS1_PKPS1_EviT_T9_T10_S9_lSB_S9_lSA_T11_S9_li,"axG",@progbits,_ZL29rocblas_internal_gemmt_kernelIlLi16ELi32ELi8ELc78ELc78ELc85ELb0ELb0E19rocblas_complex_numIfES1_PKPKS1_PKPS1_EviT_T9_T10_S9_lSB_S9_lSA_T11_S9_li,comdat
.Lfunc_end522:
	.size	_ZL29rocblas_internal_gemmt_kernelIlLi16ELi32ELi8ELc78ELc78ELc85ELb0ELb0E19rocblas_complex_numIfES1_PKPKS1_PKPS1_EviT_T9_T10_S9_lSB_S9_lSA_T11_S9_li, .Lfunc_end522-_ZL29rocblas_internal_gemmt_kernelIlLi16ELi32ELi8ELc78ELc78ELc85ELb0ELb0E19rocblas_complex_numIfES1_PKPKS1_PKPS1_EviT_T9_T10_S9_lSB_S9_lSA_T11_S9_li
                                        ; -- End function
	.set _ZL29rocblas_internal_gemmt_kernelIlLi16ELi32ELi8ELc78ELc78ELc85ELb0ELb0E19rocblas_complex_numIfES1_PKPKS1_PKPS1_EviT_T9_T10_S9_lSB_S9_lSA_T11_S9_li.num_vgpr, 51
	.set _ZL29rocblas_internal_gemmt_kernelIlLi16ELi32ELi8ELc78ELc78ELc85ELb0ELb0E19rocblas_complex_numIfES1_PKPKS1_PKPS1_EviT_T9_T10_S9_lSB_S9_lSA_T11_S9_li.num_agpr, 0
	.set _ZL29rocblas_internal_gemmt_kernelIlLi16ELi32ELi8ELc78ELc78ELc85ELb0ELb0E19rocblas_complex_numIfES1_PKPKS1_PKPS1_EviT_T9_T10_S9_lSB_S9_lSA_T11_S9_li.numbered_sgpr, 36
	.set _ZL29rocblas_internal_gemmt_kernelIlLi16ELi32ELi8ELc78ELc78ELc85ELb0ELb0E19rocblas_complex_numIfES1_PKPKS1_PKPS1_EviT_T9_T10_S9_lSB_S9_lSA_T11_S9_li.num_named_barrier, 0
	.set _ZL29rocblas_internal_gemmt_kernelIlLi16ELi32ELi8ELc78ELc78ELc85ELb0ELb0E19rocblas_complex_numIfES1_PKPKS1_PKPS1_EviT_T9_T10_S9_lSB_S9_lSA_T11_S9_li.private_seg_size, 0
	.set _ZL29rocblas_internal_gemmt_kernelIlLi16ELi32ELi8ELc78ELc78ELc85ELb0ELb0E19rocblas_complex_numIfES1_PKPKS1_PKPS1_EviT_T9_T10_S9_lSB_S9_lSA_T11_S9_li.uses_vcc, 1
	.set _ZL29rocblas_internal_gemmt_kernelIlLi16ELi32ELi8ELc78ELc78ELc85ELb0ELb0E19rocblas_complex_numIfES1_PKPKS1_PKPS1_EviT_T9_T10_S9_lSB_S9_lSA_T11_S9_li.uses_flat_scratch, 0
	.set _ZL29rocblas_internal_gemmt_kernelIlLi16ELi32ELi8ELc78ELc78ELc85ELb0ELb0E19rocblas_complex_numIfES1_PKPKS1_PKPS1_EviT_T9_T10_S9_lSB_S9_lSA_T11_S9_li.has_dyn_sized_stack, 0
	.set _ZL29rocblas_internal_gemmt_kernelIlLi16ELi32ELi8ELc78ELc78ELc85ELb0ELb0E19rocblas_complex_numIfES1_PKPKS1_PKPS1_EviT_T9_T10_S9_lSB_S9_lSA_T11_S9_li.has_recursion, 0
	.set _ZL29rocblas_internal_gemmt_kernelIlLi16ELi32ELi8ELc78ELc78ELc85ELb0ELb0E19rocblas_complex_numIfES1_PKPKS1_PKPS1_EviT_T9_T10_S9_lSB_S9_lSA_T11_S9_li.has_indirect_call, 0
	.section	.AMDGPU.csdata,"",@progbits
; Kernel info:
; codeLenInByte = 2560
; TotalNumSgprs: 42
; NumVgprs: 51
; NumAgprs: 0
; TotalNumVgprs: 51
; ScratchSize: 0
; MemoryBound: 0
; FloatMode: 240
; IeeeMode: 1
; LDSByteSize: 4096 bytes/workgroup (compile time only)
; SGPRBlocks: 5
; VGPRBlocks: 6
; NumSGPRsForWavesPerEU: 42
; NumVGPRsForWavesPerEU: 51
; AccumOffset: 52
; Occupancy: 8
; WaveLimiterHint : 1
; COMPUTE_PGM_RSRC2:SCRATCH_EN: 0
; COMPUTE_PGM_RSRC2:USER_SGPR: 2
; COMPUTE_PGM_RSRC2:TRAP_HANDLER: 0
; COMPUTE_PGM_RSRC2:TGID_X_EN: 1
; COMPUTE_PGM_RSRC2:TGID_Y_EN: 1
; COMPUTE_PGM_RSRC2:TGID_Z_EN: 1
; COMPUTE_PGM_RSRC2:TIDIG_COMP_CNT: 1
; COMPUTE_PGM_RSRC3_GFX90A:ACCUM_OFFSET: 12
; COMPUTE_PGM_RSRC3_GFX90A:TG_SPLIT: 0
	.section	.text._ZL29rocblas_internal_gemmt_kernelIlLi16ELi32ELi8ELc78ELc84ELc85ELb0ELb0E19rocblas_complex_numIfES1_PKPKS1_PKPS1_EviT_T9_T10_S9_lSB_S9_lSA_T11_S9_li,"axG",@progbits,_ZL29rocblas_internal_gemmt_kernelIlLi16ELi32ELi8ELc78ELc84ELc85ELb0ELb0E19rocblas_complex_numIfES1_PKPKS1_PKPS1_EviT_T9_T10_S9_lSB_S9_lSA_T11_S9_li,comdat
	.globl	_ZL29rocblas_internal_gemmt_kernelIlLi16ELi32ELi8ELc78ELc84ELc85ELb0ELb0E19rocblas_complex_numIfES1_PKPKS1_PKPS1_EviT_T9_T10_S9_lSB_S9_lSA_T11_S9_li ; -- Begin function _ZL29rocblas_internal_gemmt_kernelIlLi16ELi32ELi8ELc78ELc84ELc85ELb0ELb0E19rocblas_complex_numIfES1_PKPKS1_PKPS1_EviT_T9_T10_S9_lSB_S9_lSA_T11_S9_li
	.p2align	8
	.type	_ZL29rocblas_internal_gemmt_kernelIlLi16ELi32ELi8ELc78ELc84ELc85ELb0ELb0E19rocblas_complex_numIfES1_PKPKS1_PKPS1_EviT_T9_T10_S9_lSB_S9_lSA_T11_S9_li,@function
_ZL29rocblas_internal_gemmt_kernelIlLi16ELi32ELi8ELc78ELc84ELc85ELb0ELb0E19rocblas_complex_numIfES1_PKPKS1_PKPS1_EviT_T9_T10_S9_lSB_S9_lSA_T11_S9_li: ; @_ZL29rocblas_internal_gemmt_kernelIlLi16ELi32ELi8ELc78ELc84ELc85ELb0ELb0E19rocblas_complex_numIfES1_PKPKS1_PKPS1_EviT_T9_T10_S9_lSB_S9_lSA_T11_S9_li
; %bb.0:
	s_load_dwordx2 s[20:21], s[0:1], 0x48
	s_load_dwordx2 s[22:23], s[0:1], 0x10
	s_waitcnt lgkmcnt(0)
	s_and_b32 s5, s21, 0x7fffffff
	s_cmp_eq_u32 s5, 0
	v_cmp_eq_f32_e64 s[6:7], s20, 1.0
	s_cselect_b64 s[24:25], -1, 0
	s_and_b64 s[6:7], s[6:7], s[24:25]
	s_and_b64 vcc, exec, s[6:7]
	s_cbranch_vccnz .LBB523_2
; %bb.1:
	s_mov_b64 s[6:7], -1
	s_load_dwordx2 s[26:27], s[0:1], 0x8
	s_cbranch_execz .LBB523_3
	s_branch .LBB523_4
.LBB523_2:
	s_mov_b64 s[6:7], 0
	s_load_dwordx2 s[26:27], s[0:1], 0x8
.LBB523_3:
	s_waitcnt lgkmcnt(0)
	s_cmp_lg_u64 s[26:27], 0
	v_cmp_neq_f32_e64 s[8:9], s22, 0
	v_cmp_neq_f32_e64 s[10:11], s23, 0
	s_cselect_b64 s[6:7], -1, 0
	s_or_b64 s[8:9], s[8:9], s[10:11]
	s_and_b64 s[6:7], s[6:7], s[8:9]
.LBB523_4:
	s_andn2_b64 vcc, exec, s[6:7]
	s_cbranch_vccnz .LBB523_30
; %bb.5:
	s_load_dwordx2 s[28:29], s[0:1], 0x60
	s_load_dword s33, s[0:1], 0x0
	s_load_dwordx4 s[12:15], s[0:1], 0x50
	s_mov_b32 s5, 0
	s_lshl_b64 s[30:31], s[4:5], 3
	v_and_b32_e32 v9, 0x3ff, v0
	v_bfe_u32 v11, v0, 10, 10
	s_waitcnt lgkmcnt(0)
	s_add_u32 s4, s12, s30
	s_addc_u32 s5, s13, s31
	s_load_dwordx2 s[12:13], s[4:5], 0x0
	s_lshl_b32 s34, s2, 5
	s_lshl_b32 s35, s3, 5
	v_cmp_eq_f32_e64 s[2:3], s22, 0
	v_cmp_eq_f32_e64 s[4:5], s23, 0
	s_and_b64 s[2:3], s[2:3], s[4:5]
	v_cmp_lt_i64_e64 s[4:5], s[26:27], 1
	s_or_b64 s[2:3], s[2:3], s[4:5]
	v_mov_b32_e32 v30, 0
	s_and_b64 vcc, exec, s[2:3]
	v_mov_b32_e32 v32, 0
	v_mov_b32_e32 v26, 0
	;; [unrolled: 1-line block ×7, first 2 shown]
	s_cbranch_vccnz .LBB523_14
; %bb.6:
	s_load_dwordx8 s[4:11], s[0:1], 0x18
	s_load_dwordx4 s[16:19], s[0:1], 0x38
	v_lshl_add_u32 v0, v11, 4, v9
	v_and_b32_e32 v3, 31, v0
	v_lshrrev_b32_e32 v10, 5, v0
	s_waitcnt lgkmcnt(0)
	s_add_u32 s0, s10, s30
	s_addc_u32 s1, s11, s31
	s_load_dwordx2 s[0:1], s[0:1], 0x0
	s_lshl_b64 s[2:3], s[18:19], 3
	v_or_b32_e32 v2, s34, v3
	v_lshlrev_b32_e32 v3, 3, v3
	v_and_b32_e32 v8, 7, v9
	s_waitcnt lgkmcnt(0)
	s_add_u32 s10, s0, s2
	s_addc_u32 s11, s1, s3
	s_add_u32 s0, s4, s30
	s_addc_u32 s1, s5, s31
	s_load_dwordx2 s[2:3], s[0:1], 0x0
	s_lshl_b64 s[4:5], s[8:9], 3
	v_lshl_or_b32 v19, v10, 8, v3
	v_ashrrev_i32_e32 v3, 31, v2
	v_lshrrev_b32_e32 v1, 3, v0
	s_waitcnt lgkmcnt(0)
	s_add_u32 s2, s2, s4
	s_addc_u32 s3, s3, s5
	v_cmp_gt_i32_e64 s[0:1], s33, v2
	v_lshl_add_u64 v[12:13], v[2:3], 3, s[2:3]
	v_lshlrev_b32_e32 v2, 3, v8
	v_add_u32_e32 v0, s35, v1
	v_lshl_or_b32 v1, v1, 6, v2
	v_add_u32_e32 v21, 0x800, v1
	v_ashrrev_i32_e32 v1, 31, v0
	v_cmp_gt_i32_e64 s[2:3], s33, v0
	v_lshl_add_u64 v[14:15], v[0:1], 3, s[10:11]
	v_mov_b32_e32 v0, 0x800
	v_lshlrev_b32_e32 v23, 3, v9
	v_lshl_add_u32 v25, v11, 6, v0
	v_mov_b32_e32 v17, 0
	s_mov_b64 s[4:5], 0
	v_mov_b32_e32 v20, 0
	v_mov_b32_e32 v18, 0
	;; [unrolled: 1-line block ×8, first 2 shown]
	s_branch .LBB523_8
.LBB523_7:                              ;   in Loop: Header=BB523_8 Depth=1
	s_or_b64 exec, exec, s[8:9]
	s_waitcnt vmcnt(0) lgkmcnt(0)
	ds_write_b64 v21, v[0:1]
	s_waitcnt lgkmcnt(0)
	s_barrier
	ds_read2_b64 v[34:37], v23 offset1:16
	ds_read_b128 v[38:41], v25
	ds_read_b128 v[42:45], v25 offset:16
	ds_read_b128 v[4:7], v25 offset:32
	;; [unrolled: 1-line block ×3, first 2 shown]
	s_add_u32 s4, s4, 8
	s_waitcnt lgkmcnt(3)
	v_mul_f32_e32 v16, v39, v35
	v_mul_f32_e32 v27, v38, v35
	v_fma_f32 v16, v38, v34, -v16
	v_fmac_f32_e32 v27, v39, v34
	v_add_f32_e32 v16, v30, v16
	v_add_f32_e32 v50, v32, v27
	ds_read_b128 v[30:33], v25 offset:1024
	v_mul_f32_e32 v27, v39, v37
	v_mul_f32_e32 v29, v38, v37
	v_fma_f32 v27, v38, v36, -v27
	v_fmac_f32_e32 v29, v39, v36
	v_add_f32_e32 v38, v26, v27
	v_add_f32_e32 v39, v28, v29
	ds_read_b128 v[26:29], v25 offset:1040
	s_waitcnt lgkmcnt(1)
	v_mul_f32_e32 v46, v31, v35
	v_fma_f32 v46, v30, v34, -v46
	v_add_f32_e32 v22, v22, v46
	ds_read2_b64 v[46:49], v23 offset0:32 offset1:48
	v_mul_f32_e32 v35, v30, v35
	v_fmac_f32_e32 v35, v31, v34
	v_mul_f32_e32 v34, v31, v37
	v_fma_f32 v34, v30, v36, -v34
	v_mul_f32_e32 v30, v30, v37
	v_fmac_f32_e32 v30, v31, v36
	v_add_f32_e32 v20, v20, v30
	s_waitcnt lgkmcnt(0)
	v_mul_f32_e32 v30, v41, v47
	v_mul_f32_e32 v31, v40, v47
	v_fma_f32 v30, v40, v46, -v30
	v_fmac_f32_e32 v31, v41, v46
	v_add_f32_e32 v18, v18, v34
	v_add_f32_e32 v16, v16, v30
	;; [unrolled: 1-line block ×3, first 2 shown]
	v_mul_f32_e32 v31, v41, v49
	v_mul_f32_e32 v34, v40, v49
	v_fma_f32 v31, v40, v48, -v31
	v_fmac_f32_e32 v34, v41, v48
	v_add_f32_e32 v31, v38, v31
	v_add_f32_e32 v38, v39, v34
	v_mul_f32_e32 v34, v33, v47
	v_add_f32_e32 v24, v24, v35
	v_fma_f32 v34, v32, v46, -v34
	v_mul_f32_e32 v35, v32, v47
	v_fmac_f32_e32 v35, v33, v46
	v_add_f32_e32 v22, v22, v34
	v_mul_f32_e32 v34, v33, v49
	v_add_f32_e32 v24, v24, v35
	v_fma_f32 v39, v32, v48, -v34
	ds_read2_b64 v[34:37], v23 offset0:64 offset1:80
	v_mul_f32_e32 v32, v32, v49
	v_fmac_f32_e32 v32, v33, v48
	v_add_f32_e32 v18, v18, v39
	v_add_f32_e32 v20, v20, v32
	s_waitcnt lgkmcnt(0)
	v_mul_f32_e32 v33, v42, v35
	v_fmac_f32_e32 v33, v43, v34
	v_add_f32_e32 v39, v30, v33
	v_mul_f32_e32 v30, v43, v37
	v_mul_f32_e32 v32, v43, v35
	v_fma_f32 v30, v42, v36, -v30
	v_fma_f32 v32, v42, v34, -v32
	v_add_f32_e32 v40, v31, v30
	v_mul_f32_e32 v30, v27, v35
	v_add_f32_e32 v16, v16, v32
	v_mul_f32_e32 v32, v42, v37
	v_fma_f32 v30, v26, v34, -v30
	v_mul_f32_e32 v31, v26, v35
	v_fmac_f32_e32 v32, v43, v36
	v_fmac_f32_e32 v31, v27, v34
	v_add_f32_e32 v22, v22, v30
	v_mul_f32_e32 v30, v27, v37
	v_add_f32_e32 v38, v38, v32
	v_add_f32_e32 v24, v24, v31
	v_fma_f32 v34, v26, v36, -v30
	ds_read2_b64 v[30:33], v23 offset0:96 offset1:112
	v_mul_f32_e32 v26, v26, v37
	v_fmac_f32_e32 v26, v27, v36
	v_add_f32_e32 v20, v20, v26
	v_add_f32_e32 v18, v18, v34
	s_waitcnt lgkmcnt(0)
	v_mul_f32_e32 v26, v45, v31
	v_mul_f32_e32 v27, v44, v31
	v_fma_f32 v26, v44, v30, -v26
	v_fmac_f32_e32 v27, v45, v30
	v_add_f32_e32 v16, v16, v26
	v_add_f32_e32 v26, v39, v27
	v_mul_f32_e32 v27, v45, v33
	v_mul_f32_e32 v34, v44, v33
	v_fma_f32 v27, v44, v32, -v27
	v_fmac_f32_e32 v34, v45, v32
	v_add_f32_e32 v39, v40, v27
	v_add_f32_e32 v38, v38, v34
	v_mul_f32_e32 v27, v29, v31
	ds_read2_b64 v[34:37], v23 offset0:128 offset1:144
	v_fma_f32 v27, v28, v30, -v27
	v_add_f32_e32 v22, v22, v27
	v_mul_f32_e32 v27, v29, v33
	v_mul_f32_e32 v31, v28, v31
	v_fma_f32 v27, v28, v32, -v27
	v_mul_f32_e32 v28, v28, v33
	v_fmac_f32_e32 v28, v29, v32
	v_add_f32_e32 v20, v20, v28
	s_waitcnt lgkmcnt(0)
	v_mul_f32_e32 v28, v4, v35
	v_add_f32_e32 v18, v18, v27
	v_mul_f32_e32 v27, v5, v35
	v_fmac_f32_e32 v28, v5, v34
	v_fma_f32 v27, v4, v34, -v27
	v_add_f32_e32 v42, v26, v28
	v_mul_f32_e32 v26, v5, v37
	v_fmac_f32_e32 v31, v29, v30
	v_add_f32_e32 v16, v16, v27
	v_fma_f32 v30, v4, v36, -v26
	ds_read_b128 v[26:29], v25 offset:1056
	v_mul_f32_e32 v4, v4, v37
	v_fmac_f32_e32 v4, v5, v36
	v_add_f32_e32 v5, v39, v30
	v_add_f32_e32 v4, v38, v4
	ds_read_b128 v[38:41], v25 offset:1072
	s_waitcnt lgkmcnt(1)
	v_mul_f32_e32 v30, v27, v35
	v_add_f32_e32 v24, v24, v31
	v_fma_f32 v30, v26, v34, -v30
	v_mul_f32_e32 v31, v26, v35
	v_fmac_f32_e32 v31, v27, v34
	v_add_f32_e32 v22, v22, v30
	v_mul_f32_e32 v30, v27, v37
	v_add_f32_e32 v24, v24, v31
	v_fma_f32 v34, v26, v36, -v30
	ds_read2_b64 v[30:33], v23 offset0:160 offset1:176
	v_mul_f32_e32 v26, v26, v37
	v_fmac_f32_e32 v26, v27, v36
	v_add_f32_e32 v20, v20, v26
	v_add_f32_e32 v18, v18, v34
	s_waitcnt lgkmcnt(0)
	v_mul_f32_e32 v26, v7, v31
	v_mul_f32_e32 v27, v6, v31
	v_fma_f32 v26, v6, v30, -v26
	v_fmac_f32_e32 v27, v7, v30
	v_add_f32_e32 v16, v16, v26
	v_add_f32_e32 v26, v42, v27
	v_mul_f32_e32 v27, v7, v33
	v_fma_f32 v27, v6, v32, -v27
	v_mul_f32_e32 v6, v6, v33
	v_fmac_f32_e32 v6, v7, v32
	v_add_f32_e32 v34, v4, v6
	v_mul_f32_e32 v4, v29, v31
	v_add_f32_e32 v27, v5, v27
	v_fma_f32 v4, v28, v30, -v4
	v_mul_f32_e32 v5, v28, v31
	v_fmac_f32_e32 v5, v29, v30
	v_add_f32_e32 v22, v22, v4
	v_mul_f32_e32 v4, v29, v33
	v_add_f32_e32 v24, v24, v5
	v_fma_f32 v30, v28, v32, -v4
	ds_read2_b64 v[4:7], v23 offset0:192 offset1:208
	v_mul_f32_e32 v28, v28, v33
	v_fmac_f32_e32 v28, v29, v32
	v_add_f32_e32 v20, v20, v28
	v_add_f32_e32 v18, v18, v30
	s_waitcnt lgkmcnt(0)
	v_mul_f32_e32 v28, v1, v5
	v_fma_f32 v28, v0, v4, -v28
	v_add_f32_e32 v16, v16, v28
	v_mul_f32_e32 v28, v1, v7
	v_mul_f32_e32 v29, v0, v5
	v_fma_f32 v28, v0, v6, -v28
	v_mul_f32_e32 v0, v0, v7
	v_fmac_f32_e32 v0, v1, v6
	v_add_f32_e32 v0, v34, v0
	ds_read2_b64 v[34:37], v23 offset0:224 offset1:240
	v_fmac_f32_e32 v29, v1, v4
	v_add_f32_e32 v1, v27, v28
	v_mul_f32_e32 v27, v39, v5
	v_fma_f32 v27, v38, v4, -v27
	v_mul_f32_e32 v5, v38, v5
	v_fmac_f32_e32 v5, v39, v4
	v_add_f32_e32 v4, v22, v27
	v_mul_f32_e32 v22, v39, v7
	v_fma_f32 v22, v38, v6, -v22
	v_mul_f32_e32 v7, v38, v7
	v_fmac_f32_e32 v7, v39, v6
	v_add_f32_e32 v6, v18, v22
	s_waitcnt lgkmcnt(0)
	v_mul_f32_e32 v18, v3, v35
	v_fma_f32 v18, v2, v34, -v18
	v_add_f32_e32 v30, v16, v18
	v_mul_f32_e32 v16, v3, v37
	v_add_f32_e32 v7, v20, v7
	v_mul_f32_e32 v20, v2, v35
	v_fma_f32 v16, v2, v36, -v16
	v_mul_f32_e32 v2, v2, v37
	v_add_f32_e32 v26, v26, v29
	v_fmac_f32_e32 v20, v3, v34
	v_fmac_f32_e32 v2, v3, v36
	v_add_f32_e32 v32, v26, v20
	v_add_f32_e32 v26, v1, v16
	;; [unrolled: 1-line block ×3, first 2 shown]
	v_mul_f32_e32 v0, v41, v35
	v_mul_f32_e32 v1, v40, v35
	v_add_f32_e32 v5, v24, v5
	v_fma_f32 v0, v40, v34, -v0
	v_fmac_f32_e32 v1, v41, v34
	v_add_f32_e32 v22, v4, v0
	v_add_f32_e32 v24, v5, v1
	v_mul_f32_e32 v0, v41, v37
	v_mul_f32_e32 v1, v40, v37
	v_fma_f32 v0, v40, v36, -v0
	v_fmac_f32_e32 v1, v41, v36
	s_addc_u32 s5, s5, 0
	v_add_f32_e32 v18, v6, v0
	v_add_f32_e32 v20, v7, v1
	v_mov_b64_e32 v[0:1], s[4:5]
	v_cmp_gt_i64_e32 vcc, s[26:27], v[0:1]
	s_barrier
	s_cbranch_vccz .LBB523_14
.LBB523_8:                              ; =>This Inner Loop Header: Depth=1
	v_mov_b32_e32 v0, 0
	v_mov_b32_e32 v1, 0
	s_and_saveexec_b64 s[8:9], s[0:1]
	s_cbranch_execz .LBB523_12
; %bb.9:                                ;   in Loop: Header=BB523_8 Depth=1
	v_add_u32_e32 v16, s4, v10
	v_cmp_gt_u64_e32 vcc, s[26:27], v[16:17]
	v_mov_b32_e32 v1, 0
	v_mov_b32_e32 v0, 0
	s_and_saveexec_b64 s[10:11], vcc
	s_cbranch_execz .LBB523_11
; %bb.10:                               ;   in Loop: Header=BB523_8 Depth=1
	v_mad_u64_u32 v[0:1], s[18:19], s6, v16, 0
	v_mov_b32_e32 v2, v1
	v_mad_u64_u32 v[2:3], s[18:19], s7, v16, v[2:3]
	v_mov_b32_e32 v1, v2
	v_lshl_add_u64 v[0:1], v[0:1], 3, v[12:13]
	flat_load_dwordx2 v[0:1], v[0:1]
.LBB523_11:                             ;   in Loop: Header=BB523_8 Depth=1
	s_or_b64 exec, exec, s[10:11]
.LBB523_12:                             ;   in Loop: Header=BB523_8 Depth=1
	s_or_b64 exec, exec, s[8:9]
	v_add_u32_e32 v16, s4, v8
	v_cmp_gt_u64_e32 vcc, s[26:27], v[16:17]
	s_waitcnt vmcnt(0) lgkmcnt(0)
	ds_write_b64 v19, v[0:1]
	s_and_b64 s[10:11], vcc, s[2:3]
	v_mov_b32_e32 v0, 0
	v_mov_b32_e32 v1, 0
	s_and_saveexec_b64 s[8:9], s[10:11]
	s_cbranch_execz .LBB523_7
; %bb.13:                               ;   in Loop: Header=BB523_8 Depth=1
	v_mad_u64_u32 v[0:1], s[10:11], s16, v16, 0
	v_mov_b32_e32 v2, v1
	v_mad_u64_u32 v[2:3], s[10:11], s17, v16, v[2:3]
	v_mov_b32_e32 v1, v2
	v_lshl_add_u64 v[0:1], v[0:1], 3, v[14:15]
	flat_load_dwordx2 v[0:1], v[0:1]
	s_branch .LBB523_7
.LBB523_14:
	s_lshl_b64 s[0:1], s[28:29], 3
	v_add_u32_e32 v10, s35, v11
	s_waitcnt lgkmcnt(0)
	s_add_u32 s4, s12, s0
	v_ashrrev_i32_e32 v1, 31, v10
	s_addc_u32 s5, s13, s1
	v_cmp_neq_f32_e64 s[0:1], s20, 0
	s_xor_b64 s[6:7], s[24:25], -1
	v_mul_lo_u32 v1, s14, v1
	v_mul_lo_u32 v4, s15, v10
	v_mad_u64_u32 v[2:3], s[8:9], s14, v10, 0
	v_add_u32_e32 v0, s34, v9
	v_add3_u32 v3, v3, v1, v4
	s_or_b64 s[0:1], s[0:1], s[6:7]
	v_cmp_gt_i32_e64 s[2:3], s33, v10
	v_lshl_add_u64 v[4:5], v[2:3], 3, s[4:5]
	v_cmp_le_i32_e32 vcc, v0, v10
	v_cndmask_b32_e64 v2, 0, 1, s[0:1]
	s_and_b64 s[8:9], s[2:3], vcc
	v_ashrrev_i32_e32 v1, 31, v0
	v_cmp_ne_u32_e64 s[0:1], 1, v2
	s_and_saveexec_b64 s[6:7], s[8:9]
	s_cbranch_execz .LBB523_18
; %bb.15:
	v_pk_mul_f32 v[6:7], v[32:33], s[22:23] op_sel:[0,1] op_sel_hi:[0,0]
	v_pk_fma_f32 v[2:3], v[30:31], s[22:23], v[6:7] op_sel_hi:[0,1,1] neg_lo:[0,0,1] neg_hi:[0,0,1]
	v_pk_fma_f32 v[8:9], v[30:31], s[22:23], v[6:7] op_sel_hi:[0,1,1]
	s_and_b64 vcc, exec, s[0:1]
	v_lshl_add_u64 v[6:7], v[0:1], 3, v[4:5]
	s_cbranch_vccnz .LBB523_17
; %bb.16:
	flat_load_dwordx2 v[12:13], v[6:7]
	s_mov_b32 s8, s21
	v_mov_b32_e32 v3, v9
	s_waitcnt vmcnt(0) lgkmcnt(0)
	v_pk_mul_f32 v[8:9], v[12:13], s[8:9] op_sel:[1,0] op_sel_hi:[0,0]
	v_pk_fma_f32 v[14:15], v[12:13], s[20:21], v[8:9] neg_lo:[0,0,1] neg_hi:[0,0,1]
	v_pk_fma_f32 v[8:9], v[12:13], s[20:21], v[8:9] op_sel_hi:[1,0,1]
	s_nop 0
	v_mov_b32_e32 v15, v9
	v_pk_add_f32 v[2:3], v[2:3], v[14:15]
	s_nop 0
	v_mov_b32_e32 v9, v3
.LBB523_17:
	v_mov_b32_e32 v3, v9
	flat_store_dwordx2 v[6:7], v[2:3]
.LBB523_18:
	s_or_b64 exec, exec, s[6:7]
	v_add_u32_e32 v2, 16, v0
	v_cmp_le_i32_e32 vcc, v2, v10
	s_and_b64 s[6:7], s[2:3], vcc
	v_ashrrev_i32_e32 v3, 31, v2
	s_and_saveexec_b64 s[2:3], s[6:7]
	s_cbranch_execz .LBB523_22
; %bb.19:
	v_pk_mul_f32 v[8:9], v[28:29], s[22:23] op_sel:[0,1] op_sel_hi:[0,0]
	v_pk_fma_f32 v[6:7], v[26:27], s[22:23], v[8:9] op_sel_hi:[0,1,1] neg_lo:[0,0,1] neg_hi:[0,0,1]
	v_pk_fma_f32 v[8:9], v[26:27], s[22:23], v[8:9] op_sel_hi:[0,1,1]
	s_and_b64 vcc, exec, s[0:1]
	v_lshl_add_u64 v[4:5], v[2:3], 3, v[4:5]
	s_cbranch_vccnz .LBB523_21
; %bb.20:
	flat_load_dwordx2 v[12:13], v[4:5]
	s_mov_b32 s6, s21
	v_mov_b32_e32 v7, v9
	s_waitcnt vmcnt(0) lgkmcnt(0)
	v_pk_mul_f32 v[8:9], v[12:13], s[6:7] op_sel:[1,0] op_sel_hi:[0,0]
	v_pk_fma_f32 v[14:15], v[12:13], s[20:21], v[8:9] neg_lo:[0,0,1] neg_hi:[0,0,1]
	v_pk_fma_f32 v[8:9], v[12:13], s[20:21], v[8:9] op_sel_hi:[1,0,1]
	s_nop 0
	v_mov_b32_e32 v15, v9
	v_pk_add_f32 v[6:7], v[6:7], v[14:15]
	s_nop 0
	v_mov_b32_e32 v9, v7
.LBB523_21:
	v_mov_b32_e32 v7, v9
	flat_store_dwordx2 v[4:5], v[6:7]
.LBB523_22:
	s_or_b64 exec, exec, s[2:3]
	v_add_u32_e32 v10, 16, v10
	v_ashrrev_i32_e32 v4, 31, v10
	v_mul_lo_u32 v6, s14, v4
	v_mul_lo_u32 v7, s15, v10
	v_mad_u64_u32 v[4:5], s[6:7], s14, v10, 0
	v_cmp_gt_i32_e64 s[2:3], s33, v10
	v_add3_u32 v5, v5, v6, v7
	v_cmp_le_i32_e32 vcc, v0, v10
	v_lshl_add_u64 v[4:5], v[4:5], 3, s[4:5]
	s_and_b64 s[6:7], s[2:3], vcc
	s_and_saveexec_b64 s[4:5], s[6:7]
	s_cbranch_execz .LBB523_26
; %bb.23:
	v_pk_mul_f32 v[8:9], v[24:25], s[22:23] op_sel:[0,1] op_sel_hi:[0,0]
	v_pk_fma_f32 v[6:7], v[22:23], s[22:23], v[8:9] op_sel_hi:[0,1,1] neg_lo:[0,0,1] neg_hi:[0,0,1]
	v_pk_fma_f32 v[8:9], v[22:23], s[22:23], v[8:9] op_sel_hi:[0,1,1]
	s_and_b64 vcc, exec, s[0:1]
	v_lshl_add_u64 v[0:1], v[0:1], 3, v[4:5]
	s_cbranch_vccnz .LBB523_25
; %bb.24:
	flat_load_dwordx2 v[12:13], v[0:1]
	s_mov_b32 s6, s21
	v_mov_b32_e32 v7, v9
	s_waitcnt vmcnt(0) lgkmcnt(0)
	v_pk_mul_f32 v[8:9], v[12:13], s[6:7] op_sel:[1,0] op_sel_hi:[0,0]
	v_pk_fma_f32 v[14:15], v[12:13], s[20:21], v[8:9] neg_lo:[0,0,1] neg_hi:[0,0,1]
	v_pk_fma_f32 v[8:9], v[12:13], s[20:21], v[8:9] op_sel_hi:[1,0,1]
	s_nop 0
	v_mov_b32_e32 v15, v9
	v_pk_add_f32 v[6:7], v[6:7], v[14:15]
	s_nop 0
	v_mov_b32_e32 v9, v7
.LBB523_25:
	v_mov_b32_e32 v7, v9
	flat_store_dwordx2 v[0:1], v[6:7]
.LBB523_26:
	s_or_b64 exec, exec, s[4:5]
	v_cmp_le_i32_e32 vcc, v2, v10
	s_and_b64 s[2:3], s[2:3], vcc
	s_and_saveexec_b64 s[4:5], s[2:3]
	s_cbranch_execz .LBB523_30
; %bb.27:
	v_pk_mul_f32 v[6:7], v[20:21], s[22:23] op_sel:[0,1] op_sel_hi:[0,0]
	v_pk_fma_f32 v[0:1], v[18:19], s[22:23], v[6:7] op_sel_hi:[0,1,1] neg_lo:[0,0,1] neg_hi:[0,0,1]
	v_pk_fma_f32 v[6:7], v[18:19], s[22:23], v[6:7] op_sel_hi:[0,1,1]
	s_and_b64 vcc, exec, s[0:1]
	v_lshl_add_u64 v[2:3], v[2:3], 3, v[4:5]
	s_cbranch_vccnz .LBB523_29
; %bb.28:
	flat_load_dwordx2 v[4:5], v[2:3]
	s_mov_b32 s0, s21
	v_mov_b32_e32 v1, v7
	s_waitcnt vmcnt(0) lgkmcnt(0)
	v_pk_mul_f32 v[6:7], v[4:5], s[0:1] op_sel:[1,0] op_sel_hi:[0,0]
	v_pk_fma_f32 v[8:9], v[4:5], s[20:21], v[6:7] neg_lo:[0,0,1] neg_hi:[0,0,1]
	v_pk_fma_f32 v[4:5], v[4:5], s[20:21], v[6:7] op_sel_hi:[1,0,1]
	s_nop 0
	v_mov_b32_e32 v9, v5
	v_pk_add_f32 v[0:1], v[0:1], v[8:9]
	s_nop 0
	v_mov_b32_e32 v7, v1
.LBB523_29:
	v_mov_b32_e32 v1, v7
	flat_store_dwordx2 v[2:3], v[0:1]
.LBB523_30:
	s_endpgm
	.section	.rodata,"a",@progbits
	.p2align	6, 0x0
	.amdhsa_kernel _ZL29rocblas_internal_gemmt_kernelIlLi16ELi32ELi8ELc78ELc84ELc85ELb0ELb0E19rocblas_complex_numIfES1_PKPKS1_PKPS1_EviT_T9_T10_S9_lSB_S9_lSA_T11_S9_li
		.amdhsa_group_segment_fixed_size 4096
		.amdhsa_private_segment_fixed_size 0
		.amdhsa_kernarg_size 108
		.amdhsa_user_sgpr_count 2
		.amdhsa_user_sgpr_dispatch_ptr 0
		.amdhsa_user_sgpr_queue_ptr 0
		.amdhsa_user_sgpr_kernarg_segment_ptr 1
		.amdhsa_user_sgpr_dispatch_id 0
		.amdhsa_user_sgpr_kernarg_preload_length 0
		.amdhsa_user_sgpr_kernarg_preload_offset 0
		.amdhsa_user_sgpr_private_segment_size 0
		.amdhsa_uses_dynamic_stack 0
		.amdhsa_enable_private_segment 0
		.amdhsa_system_sgpr_workgroup_id_x 1
		.amdhsa_system_sgpr_workgroup_id_y 1
		.amdhsa_system_sgpr_workgroup_id_z 1
		.amdhsa_system_sgpr_workgroup_info 0
		.amdhsa_system_vgpr_workitem_id 1
		.amdhsa_next_free_vgpr 51
		.amdhsa_next_free_sgpr 36
		.amdhsa_accum_offset 52
		.amdhsa_reserve_vcc 1
		.amdhsa_float_round_mode_32 0
		.amdhsa_float_round_mode_16_64 0
		.amdhsa_float_denorm_mode_32 3
		.amdhsa_float_denorm_mode_16_64 3
		.amdhsa_dx10_clamp 1
		.amdhsa_ieee_mode 1
		.amdhsa_fp16_overflow 0
		.amdhsa_tg_split 0
		.amdhsa_exception_fp_ieee_invalid_op 0
		.amdhsa_exception_fp_denorm_src 0
		.amdhsa_exception_fp_ieee_div_zero 0
		.amdhsa_exception_fp_ieee_overflow 0
		.amdhsa_exception_fp_ieee_underflow 0
		.amdhsa_exception_fp_ieee_inexact 0
		.amdhsa_exception_int_div_zero 0
	.end_amdhsa_kernel
	.section	.text._ZL29rocblas_internal_gemmt_kernelIlLi16ELi32ELi8ELc78ELc84ELc85ELb0ELb0E19rocblas_complex_numIfES1_PKPKS1_PKPS1_EviT_T9_T10_S9_lSB_S9_lSA_T11_S9_li,"axG",@progbits,_ZL29rocblas_internal_gemmt_kernelIlLi16ELi32ELi8ELc78ELc84ELc85ELb0ELb0E19rocblas_complex_numIfES1_PKPKS1_PKPS1_EviT_T9_T10_S9_lSB_S9_lSA_T11_S9_li,comdat
.Lfunc_end523:
	.size	_ZL29rocblas_internal_gemmt_kernelIlLi16ELi32ELi8ELc78ELc84ELc85ELb0ELb0E19rocblas_complex_numIfES1_PKPKS1_PKPS1_EviT_T9_T10_S9_lSB_S9_lSA_T11_S9_li, .Lfunc_end523-_ZL29rocblas_internal_gemmt_kernelIlLi16ELi32ELi8ELc78ELc84ELc85ELb0ELb0E19rocblas_complex_numIfES1_PKPKS1_PKPS1_EviT_T9_T10_S9_lSB_S9_lSA_T11_S9_li
                                        ; -- End function
	.set _ZL29rocblas_internal_gemmt_kernelIlLi16ELi32ELi8ELc78ELc84ELc85ELb0ELb0E19rocblas_complex_numIfES1_PKPKS1_PKPS1_EviT_T9_T10_S9_lSB_S9_lSA_T11_S9_li.num_vgpr, 51
	.set _ZL29rocblas_internal_gemmt_kernelIlLi16ELi32ELi8ELc78ELc84ELc85ELb0ELb0E19rocblas_complex_numIfES1_PKPKS1_PKPS1_EviT_T9_T10_S9_lSB_S9_lSA_T11_S9_li.num_agpr, 0
	.set _ZL29rocblas_internal_gemmt_kernelIlLi16ELi32ELi8ELc78ELc84ELc85ELb0ELb0E19rocblas_complex_numIfES1_PKPKS1_PKPS1_EviT_T9_T10_S9_lSB_S9_lSA_T11_S9_li.numbered_sgpr, 36
	.set _ZL29rocblas_internal_gemmt_kernelIlLi16ELi32ELi8ELc78ELc84ELc85ELb0ELb0E19rocblas_complex_numIfES1_PKPKS1_PKPS1_EviT_T9_T10_S9_lSB_S9_lSA_T11_S9_li.num_named_barrier, 0
	.set _ZL29rocblas_internal_gemmt_kernelIlLi16ELi32ELi8ELc78ELc84ELc85ELb0ELb0E19rocblas_complex_numIfES1_PKPKS1_PKPS1_EviT_T9_T10_S9_lSB_S9_lSA_T11_S9_li.private_seg_size, 0
	.set _ZL29rocblas_internal_gemmt_kernelIlLi16ELi32ELi8ELc78ELc84ELc85ELb0ELb0E19rocblas_complex_numIfES1_PKPKS1_PKPS1_EviT_T9_T10_S9_lSB_S9_lSA_T11_S9_li.uses_vcc, 1
	.set _ZL29rocblas_internal_gemmt_kernelIlLi16ELi32ELi8ELc78ELc84ELc85ELb0ELb0E19rocblas_complex_numIfES1_PKPKS1_PKPS1_EviT_T9_T10_S9_lSB_S9_lSA_T11_S9_li.uses_flat_scratch, 0
	.set _ZL29rocblas_internal_gemmt_kernelIlLi16ELi32ELi8ELc78ELc84ELc85ELb0ELb0E19rocblas_complex_numIfES1_PKPKS1_PKPS1_EviT_T9_T10_S9_lSB_S9_lSA_T11_S9_li.has_dyn_sized_stack, 0
	.set _ZL29rocblas_internal_gemmt_kernelIlLi16ELi32ELi8ELc78ELc84ELc85ELb0ELb0E19rocblas_complex_numIfES1_PKPKS1_PKPS1_EviT_T9_T10_S9_lSB_S9_lSA_T11_S9_li.has_recursion, 0
	.set _ZL29rocblas_internal_gemmt_kernelIlLi16ELi32ELi8ELc78ELc84ELc85ELb0ELb0E19rocblas_complex_numIfES1_PKPKS1_PKPS1_EviT_T9_T10_S9_lSB_S9_lSA_T11_S9_li.has_indirect_call, 0
	.section	.AMDGPU.csdata,"",@progbits
; Kernel info:
; codeLenInByte = 2552
; TotalNumSgprs: 42
; NumVgprs: 51
; NumAgprs: 0
; TotalNumVgprs: 51
; ScratchSize: 0
; MemoryBound: 0
; FloatMode: 240
; IeeeMode: 1
; LDSByteSize: 4096 bytes/workgroup (compile time only)
; SGPRBlocks: 5
; VGPRBlocks: 6
; NumSGPRsForWavesPerEU: 42
; NumVGPRsForWavesPerEU: 51
; AccumOffset: 52
; Occupancy: 8
; WaveLimiterHint : 1
; COMPUTE_PGM_RSRC2:SCRATCH_EN: 0
; COMPUTE_PGM_RSRC2:USER_SGPR: 2
; COMPUTE_PGM_RSRC2:TRAP_HANDLER: 0
; COMPUTE_PGM_RSRC2:TGID_X_EN: 1
; COMPUTE_PGM_RSRC2:TGID_Y_EN: 1
; COMPUTE_PGM_RSRC2:TGID_Z_EN: 1
; COMPUTE_PGM_RSRC2:TIDIG_COMP_CNT: 1
; COMPUTE_PGM_RSRC3_GFX90A:ACCUM_OFFSET: 12
; COMPUTE_PGM_RSRC3_GFX90A:TG_SPLIT: 0
	.section	.text._ZL29rocblas_internal_gemmt_kernelIlLi16ELi32ELi8ELc78ELc67ELc85ELb0ELb1E19rocblas_complex_numIfES1_PKPKS1_PKPS1_EviT_T9_T10_S9_lSB_S9_lSA_T11_S9_li,"axG",@progbits,_ZL29rocblas_internal_gemmt_kernelIlLi16ELi32ELi8ELc78ELc67ELc85ELb0ELb1E19rocblas_complex_numIfES1_PKPKS1_PKPS1_EviT_T9_T10_S9_lSB_S9_lSA_T11_S9_li,comdat
	.globl	_ZL29rocblas_internal_gemmt_kernelIlLi16ELi32ELi8ELc78ELc67ELc85ELb0ELb1E19rocblas_complex_numIfES1_PKPKS1_PKPS1_EviT_T9_T10_S9_lSB_S9_lSA_T11_S9_li ; -- Begin function _ZL29rocblas_internal_gemmt_kernelIlLi16ELi32ELi8ELc78ELc67ELc85ELb0ELb1E19rocblas_complex_numIfES1_PKPKS1_PKPS1_EviT_T9_T10_S9_lSB_S9_lSA_T11_S9_li
	.p2align	8
	.type	_ZL29rocblas_internal_gemmt_kernelIlLi16ELi32ELi8ELc78ELc67ELc85ELb0ELb1E19rocblas_complex_numIfES1_PKPKS1_PKPS1_EviT_T9_T10_S9_lSB_S9_lSA_T11_S9_li,@function
_ZL29rocblas_internal_gemmt_kernelIlLi16ELi32ELi8ELc78ELc67ELc85ELb0ELb1E19rocblas_complex_numIfES1_PKPKS1_PKPS1_EviT_T9_T10_S9_lSB_S9_lSA_T11_S9_li: ; @_ZL29rocblas_internal_gemmt_kernelIlLi16ELi32ELi8ELc78ELc67ELc85ELb0ELb1E19rocblas_complex_numIfES1_PKPKS1_PKPS1_EviT_T9_T10_S9_lSB_S9_lSA_T11_S9_li
; %bb.0:
	s_load_dwordx2 s[20:21], s[0:1], 0x48
	s_load_dwordx2 s[22:23], s[0:1], 0x10
	s_waitcnt lgkmcnt(0)
	s_and_b32 s5, s21, 0x7fffffff
	s_cmp_eq_u32 s5, 0
	v_cmp_eq_f32_e64 s[6:7], s20, 1.0
	s_cselect_b64 s[24:25], -1, 0
	s_and_b64 s[6:7], s[6:7], s[24:25]
	s_and_b64 vcc, exec, s[6:7]
	s_cbranch_vccnz .LBB524_2
; %bb.1:
	s_mov_b64 s[6:7], -1
	s_load_dwordx2 s[26:27], s[0:1], 0x8
	s_cbranch_execz .LBB524_3
	s_branch .LBB524_4
.LBB524_2:
	s_mov_b64 s[6:7], 0
	s_load_dwordx2 s[26:27], s[0:1], 0x8
.LBB524_3:
	s_waitcnt lgkmcnt(0)
	s_cmp_lg_u64 s[26:27], 0
	v_cmp_neq_f32_e64 s[8:9], s22, 0
	v_cmp_neq_f32_e64 s[10:11], s23, 0
	s_cselect_b64 s[6:7], -1, 0
	s_or_b64 s[8:9], s[8:9], s[10:11]
	s_and_b64 s[6:7], s[6:7], s[8:9]
.LBB524_4:
	s_andn2_b64 vcc, exec, s[6:7]
	s_cbranch_vccnz .LBB524_32
; %bb.5:
	s_load_dwordx2 s[28:29], s[0:1], 0x60
	s_load_dword s33, s[0:1], 0x0
	s_load_dwordx4 s[12:15], s[0:1], 0x50
	s_mov_b32 s5, 0
	s_lshl_b64 s[30:31], s[4:5], 3
	v_and_b32_e32 v9, 0x3ff, v0
	v_bfe_u32 v11, v0, 10, 10
	s_waitcnt lgkmcnt(0)
	s_add_u32 s4, s12, s30
	s_addc_u32 s5, s13, s31
	s_load_dwordx2 s[12:13], s[4:5], 0x0
	s_lshl_b32 s34, s2, 5
	s_lshl_b32 s35, s3, 5
	v_cmp_eq_f32_e64 s[2:3], s22, 0
	v_cmp_eq_f32_e64 s[4:5], s23, 0
	s_and_b64 s[2:3], s[2:3], s[4:5]
	v_cmp_lt_i64_e64 s[4:5], s[26:27], 1
	s_or_b64 s[2:3], s[2:3], s[4:5]
	v_mov_b32_e32 v30, 0
	s_and_b64 vcc, exec, s[2:3]
	v_mov_b32_e32 v32, 0
	v_mov_b32_e32 v26, 0
	;; [unrolled: 1-line block ×7, first 2 shown]
	s_cbranch_vccnz .LBB524_16
; %bb.6:
	s_load_dwordx8 s[4:11], s[0:1], 0x18
	s_load_dwordx4 s[16:19], s[0:1], 0x38
	v_lshl_add_u32 v0, v11, 4, v9
	v_and_b32_e32 v3, 31, v0
	v_lshrrev_b32_e32 v10, 5, v0
	s_waitcnt lgkmcnt(0)
	s_add_u32 s0, s10, s30
	s_addc_u32 s1, s11, s31
	s_load_dwordx2 s[0:1], s[0:1], 0x0
	s_lshl_b64 s[2:3], s[18:19], 3
	v_or_b32_e32 v2, s34, v3
	v_lshlrev_b32_e32 v3, 3, v3
	v_and_b32_e32 v8, 7, v9
	s_waitcnt lgkmcnt(0)
	s_add_u32 s2, s0, s2
	s_addc_u32 s3, s1, s3
	s_add_u32 s0, s4, s30
	s_addc_u32 s1, s5, s31
	s_load_dwordx2 s[4:5], s[0:1], 0x0
	s_lshl_b64 s[8:9], s[8:9], 3
	v_lshl_or_b32 v19, v10, 8, v3
	v_ashrrev_i32_e32 v3, 31, v2
	v_lshrrev_b32_e32 v1, 3, v0
	s_waitcnt lgkmcnt(0)
	s_add_u32 s4, s4, s8
	s_addc_u32 s5, s5, s9
	v_cmp_gt_i32_e64 s[0:1], s33, v2
	v_lshl_add_u64 v[12:13], v[2:3], 3, s[4:5]
	v_lshlrev_b32_e32 v2, 3, v8
	v_add_u32_e32 v0, s35, v1
	v_lshl_or_b32 v1, v1, 6, v2
	v_add_u32_e32 v21, 0x800, v1
	v_ashrrev_i32_e32 v1, 31, v0
	v_cmp_gt_i32_e32 vcc, s33, v0
	v_lshl_add_u64 v[14:15], v[0:1], 3, s[2:3]
	v_mov_b32_e32 v0, 0x800
	v_lshlrev_b32_e32 v23, 3, v9
	v_lshl_add_u32 v25, v11, 6, v0
	v_mov_b32_e32 v17, 0
	s_mov_b64 s[2:3], 0
	s_xor_b64 s[4:5], vcc, -1
	v_mov_b32_e32 v20, 0
	v_mov_b32_e32 v18, 0
	;; [unrolled: 1-line block ×8, first 2 shown]
	s_branch .LBB524_8
.LBB524_7:                              ;   in Loop: Header=BB524_8 Depth=1
	s_or_b64 exec, exec, s[8:9]
	ds_write_b32 v21, v0 offset:4
	s_waitcnt lgkmcnt(0)
	s_barrier
	ds_read2_b64 v[34:37], v23 offset1:16
	ds_read_b128 v[38:41], v25
	ds_read_b128 v[42:45], v25 offset:16
	ds_read_b128 v[4:7], v25 offset:32
	;; [unrolled: 1-line block ×3, first 2 shown]
	s_add_u32 s2, s2, 8
	s_waitcnt lgkmcnt(3)
	v_mul_f32_e32 v16, v39, v35
	v_mul_f32_e32 v27, v38, v35
	v_fma_f32 v16, v38, v34, -v16
	v_fmac_f32_e32 v27, v39, v34
	v_add_f32_e32 v16, v30, v16
	v_add_f32_e32 v50, v32, v27
	ds_read_b128 v[30:33], v25 offset:1024
	v_mul_f32_e32 v27, v39, v37
	v_mul_f32_e32 v29, v38, v37
	v_fma_f32 v27, v38, v36, -v27
	v_fmac_f32_e32 v29, v39, v36
	v_add_f32_e32 v38, v26, v27
	v_add_f32_e32 v39, v28, v29
	ds_read_b128 v[26:29], v25 offset:1040
	s_waitcnt lgkmcnt(1)
	v_mul_f32_e32 v46, v31, v35
	v_fma_f32 v46, v30, v34, -v46
	v_add_f32_e32 v22, v22, v46
	ds_read2_b64 v[46:49], v23 offset0:32 offset1:48
	v_mul_f32_e32 v35, v30, v35
	v_fmac_f32_e32 v35, v31, v34
	v_mul_f32_e32 v34, v31, v37
	v_fma_f32 v34, v30, v36, -v34
	v_mul_f32_e32 v30, v30, v37
	v_fmac_f32_e32 v30, v31, v36
	v_add_f32_e32 v20, v20, v30
	s_waitcnt lgkmcnt(0)
	v_mul_f32_e32 v30, v41, v47
	v_mul_f32_e32 v31, v40, v47
	v_fma_f32 v30, v40, v46, -v30
	v_fmac_f32_e32 v31, v41, v46
	v_add_f32_e32 v18, v18, v34
	v_add_f32_e32 v16, v16, v30
	;; [unrolled: 1-line block ×3, first 2 shown]
	v_mul_f32_e32 v31, v41, v49
	v_mul_f32_e32 v34, v40, v49
	v_fma_f32 v31, v40, v48, -v31
	v_fmac_f32_e32 v34, v41, v48
	v_add_f32_e32 v31, v38, v31
	v_add_f32_e32 v38, v39, v34
	v_mul_f32_e32 v34, v33, v47
	v_add_f32_e32 v24, v24, v35
	v_fma_f32 v34, v32, v46, -v34
	v_mul_f32_e32 v35, v32, v47
	v_fmac_f32_e32 v35, v33, v46
	v_add_f32_e32 v22, v22, v34
	v_mul_f32_e32 v34, v33, v49
	v_add_f32_e32 v24, v24, v35
	v_fma_f32 v39, v32, v48, -v34
	ds_read2_b64 v[34:37], v23 offset0:64 offset1:80
	v_mul_f32_e32 v32, v32, v49
	v_fmac_f32_e32 v32, v33, v48
	v_add_f32_e32 v18, v18, v39
	v_add_f32_e32 v20, v20, v32
	s_waitcnt lgkmcnt(0)
	v_mul_f32_e32 v33, v42, v35
	v_fmac_f32_e32 v33, v43, v34
	v_add_f32_e32 v39, v30, v33
	v_mul_f32_e32 v30, v43, v37
	v_mul_f32_e32 v32, v43, v35
	v_fma_f32 v30, v42, v36, -v30
	v_fma_f32 v32, v42, v34, -v32
	v_add_f32_e32 v40, v31, v30
	v_mul_f32_e32 v30, v27, v35
	v_add_f32_e32 v16, v16, v32
	v_mul_f32_e32 v32, v42, v37
	v_fma_f32 v30, v26, v34, -v30
	v_mul_f32_e32 v31, v26, v35
	v_fmac_f32_e32 v32, v43, v36
	v_fmac_f32_e32 v31, v27, v34
	v_add_f32_e32 v22, v22, v30
	v_mul_f32_e32 v30, v27, v37
	v_add_f32_e32 v38, v38, v32
	v_add_f32_e32 v24, v24, v31
	v_fma_f32 v34, v26, v36, -v30
	ds_read2_b64 v[30:33], v23 offset0:96 offset1:112
	v_mul_f32_e32 v26, v26, v37
	v_fmac_f32_e32 v26, v27, v36
	v_add_f32_e32 v20, v20, v26
	v_add_f32_e32 v18, v18, v34
	s_waitcnt lgkmcnt(0)
	v_mul_f32_e32 v26, v45, v31
	v_mul_f32_e32 v27, v44, v31
	v_fma_f32 v26, v44, v30, -v26
	v_fmac_f32_e32 v27, v45, v30
	v_add_f32_e32 v16, v16, v26
	v_add_f32_e32 v26, v39, v27
	v_mul_f32_e32 v27, v45, v33
	v_mul_f32_e32 v34, v44, v33
	v_fma_f32 v27, v44, v32, -v27
	v_fmac_f32_e32 v34, v45, v32
	v_add_f32_e32 v39, v40, v27
	v_add_f32_e32 v38, v38, v34
	v_mul_f32_e32 v27, v29, v31
	ds_read2_b64 v[34:37], v23 offset0:128 offset1:144
	v_fma_f32 v27, v28, v30, -v27
	v_add_f32_e32 v22, v22, v27
	v_mul_f32_e32 v27, v29, v33
	v_mul_f32_e32 v31, v28, v31
	v_fma_f32 v27, v28, v32, -v27
	v_mul_f32_e32 v28, v28, v33
	v_fmac_f32_e32 v28, v29, v32
	v_add_f32_e32 v20, v20, v28
	s_waitcnt lgkmcnt(0)
	v_mul_f32_e32 v28, v4, v35
	v_add_f32_e32 v18, v18, v27
	v_mul_f32_e32 v27, v5, v35
	v_fmac_f32_e32 v28, v5, v34
	v_fma_f32 v27, v4, v34, -v27
	v_add_f32_e32 v42, v26, v28
	v_mul_f32_e32 v26, v5, v37
	v_fmac_f32_e32 v31, v29, v30
	v_add_f32_e32 v16, v16, v27
	v_fma_f32 v30, v4, v36, -v26
	ds_read_b128 v[26:29], v25 offset:1056
	v_mul_f32_e32 v4, v4, v37
	v_fmac_f32_e32 v4, v5, v36
	v_add_f32_e32 v5, v39, v30
	v_add_f32_e32 v4, v38, v4
	ds_read_b128 v[38:41], v25 offset:1072
	s_waitcnt lgkmcnt(1)
	v_mul_f32_e32 v30, v27, v35
	v_add_f32_e32 v24, v24, v31
	v_fma_f32 v30, v26, v34, -v30
	v_mul_f32_e32 v31, v26, v35
	v_fmac_f32_e32 v31, v27, v34
	v_add_f32_e32 v22, v22, v30
	v_mul_f32_e32 v30, v27, v37
	v_add_f32_e32 v24, v24, v31
	v_fma_f32 v34, v26, v36, -v30
	ds_read2_b64 v[30:33], v23 offset0:160 offset1:176
	v_mul_f32_e32 v26, v26, v37
	v_fmac_f32_e32 v26, v27, v36
	v_add_f32_e32 v20, v20, v26
	v_add_f32_e32 v18, v18, v34
	s_waitcnt lgkmcnt(0)
	v_mul_f32_e32 v26, v7, v31
	v_mul_f32_e32 v27, v6, v31
	v_fma_f32 v26, v6, v30, -v26
	v_fmac_f32_e32 v27, v7, v30
	v_add_f32_e32 v16, v16, v26
	v_add_f32_e32 v26, v42, v27
	v_mul_f32_e32 v27, v7, v33
	v_fma_f32 v27, v6, v32, -v27
	v_mul_f32_e32 v6, v6, v33
	v_fmac_f32_e32 v6, v7, v32
	v_add_f32_e32 v34, v4, v6
	v_mul_f32_e32 v4, v29, v31
	v_add_f32_e32 v27, v5, v27
	v_fma_f32 v4, v28, v30, -v4
	v_mul_f32_e32 v5, v28, v31
	v_fmac_f32_e32 v5, v29, v30
	v_add_f32_e32 v22, v22, v4
	v_mul_f32_e32 v4, v29, v33
	v_add_f32_e32 v24, v24, v5
	v_fma_f32 v30, v28, v32, -v4
	ds_read2_b64 v[4:7], v23 offset0:192 offset1:208
	v_mul_f32_e32 v28, v28, v33
	v_fmac_f32_e32 v28, v29, v32
	v_add_f32_e32 v20, v20, v28
	v_add_f32_e32 v18, v18, v30
	s_waitcnt lgkmcnt(0)
	v_mul_f32_e32 v28, v1, v5
	v_fma_f32 v28, v0, v4, -v28
	v_add_f32_e32 v16, v16, v28
	v_mul_f32_e32 v28, v1, v7
	v_mul_f32_e32 v29, v0, v5
	v_fma_f32 v28, v0, v6, -v28
	v_mul_f32_e32 v0, v0, v7
	v_fmac_f32_e32 v0, v1, v6
	v_add_f32_e32 v0, v34, v0
	ds_read2_b64 v[34:37], v23 offset0:224 offset1:240
	v_fmac_f32_e32 v29, v1, v4
	v_add_f32_e32 v1, v27, v28
	v_mul_f32_e32 v27, v39, v5
	v_fma_f32 v27, v38, v4, -v27
	v_mul_f32_e32 v5, v38, v5
	v_fmac_f32_e32 v5, v39, v4
	v_add_f32_e32 v4, v22, v27
	v_mul_f32_e32 v22, v39, v7
	v_fma_f32 v22, v38, v6, -v22
	v_mul_f32_e32 v7, v38, v7
	v_fmac_f32_e32 v7, v39, v6
	v_add_f32_e32 v6, v18, v22
	s_waitcnt lgkmcnt(0)
	v_mul_f32_e32 v18, v3, v35
	v_fma_f32 v18, v2, v34, -v18
	v_add_f32_e32 v30, v16, v18
	v_mul_f32_e32 v16, v3, v37
	v_add_f32_e32 v7, v20, v7
	v_mul_f32_e32 v20, v2, v35
	v_fma_f32 v16, v2, v36, -v16
	v_mul_f32_e32 v2, v2, v37
	v_add_f32_e32 v26, v26, v29
	v_fmac_f32_e32 v20, v3, v34
	v_fmac_f32_e32 v2, v3, v36
	v_add_f32_e32 v32, v26, v20
	v_add_f32_e32 v26, v1, v16
	;; [unrolled: 1-line block ×3, first 2 shown]
	v_mul_f32_e32 v0, v41, v35
	v_mul_f32_e32 v1, v40, v35
	v_add_f32_e32 v5, v24, v5
	v_fma_f32 v0, v40, v34, -v0
	v_fmac_f32_e32 v1, v41, v34
	v_add_f32_e32 v22, v4, v0
	v_add_f32_e32 v24, v5, v1
	v_mul_f32_e32 v0, v41, v37
	v_mul_f32_e32 v1, v40, v37
	v_fma_f32 v0, v40, v36, -v0
	v_fmac_f32_e32 v1, v41, v36
	s_addc_u32 s3, s3, 0
	v_add_f32_e32 v18, v6, v0
	v_add_f32_e32 v20, v7, v1
	v_mov_b64_e32 v[0:1], s[2:3]
	v_cmp_gt_i64_e32 vcc, s[26:27], v[0:1]
	s_barrier
	s_cbranch_vccz .LBB524_16
.LBB524_8:                              ; =>This Inner Loop Header: Depth=1
	v_mov_b32_e32 v0, 0
	v_mov_b32_e32 v1, 0
	s_and_saveexec_b64 s[8:9], s[0:1]
	s_cbranch_execz .LBB524_12
; %bb.9:                                ;   in Loop: Header=BB524_8 Depth=1
	v_add_u32_e32 v16, s2, v10
	v_cmp_gt_u64_e32 vcc, s[26:27], v[16:17]
	v_mov_b32_e32 v1, 0
	v_mov_b32_e32 v0, 0
	s_and_saveexec_b64 s[10:11], vcc
	s_cbranch_execz .LBB524_11
; %bb.10:                               ;   in Loop: Header=BB524_8 Depth=1
	v_mad_u64_u32 v[0:1], s[18:19], s6, v16, 0
	v_mov_b32_e32 v2, v1
	v_mad_u64_u32 v[2:3], s[18:19], s7, v16, v[2:3]
	v_mov_b32_e32 v1, v2
	v_lshl_add_u64 v[0:1], v[0:1], 3, v[12:13]
	flat_load_dwordx2 v[0:1], v[0:1]
.LBB524_11:                             ;   in Loop: Header=BB524_8 Depth=1
	s_or_b64 exec, exec, s[10:11]
.LBB524_12:                             ;   in Loop: Header=BB524_8 Depth=1
	s_or_b64 exec, exec, s[8:9]
	v_add_u32_e32 v16, s2, v8
	v_cmp_le_u64_e32 vcc, s[26:27], v[16:17]
	s_or_b64 s[8:9], vcc, s[4:5]
	s_waitcnt vmcnt(0) lgkmcnt(0)
	ds_write_b64 v19, v[0:1]
	s_and_saveexec_b64 s[10:11], s[8:9]
	s_xor_b64 s[8:9], exec, s[10:11]
; %bb.13:                               ;   in Loop: Header=BB524_8 Depth=1
	ds_write_b32 v21, v17
; %bb.14:                               ;   in Loop: Header=BB524_8 Depth=1
	s_or_saveexec_b64 s[8:9], s[8:9]
	v_mov_b32_e32 v0, 0
	s_xor_b64 exec, exec, s[8:9]
	s_cbranch_execz .LBB524_7
; %bb.15:                               ;   in Loop: Header=BB524_8 Depth=1
	v_mad_u64_u32 v[0:1], s[10:11], s16, v16, 0
	v_mov_b32_e32 v2, v1
	v_mad_u64_u32 v[2:3], s[10:11], s17, v16, v[2:3]
	v_mov_b32_e32 v1, v2
	v_lshl_add_u64 v[0:1], v[0:1], 3, v[14:15]
	flat_load_dwordx2 v[2:3], v[0:1]
	s_waitcnt vmcnt(0) lgkmcnt(0)
	v_xor_b32_e32 v0, 0x80000000, v3
	ds_write_b32 v21, v2
	s_branch .LBB524_7
.LBB524_16:
	s_lshl_b64 s[0:1], s[28:29], 3
	v_add_u32_e32 v10, s35, v11
	s_waitcnt lgkmcnt(0)
	s_add_u32 s4, s12, s0
	v_ashrrev_i32_e32 v1, 31, v10
	s_addc_u32 s5, s13, s1
	v_cmp_neq_f32_e64 s[0:1], s20, 0
	s_xor_b64 s[6:7], s[24:25], -1
	v_mul_lo_u32 v1, s14, v1
	v_mul_lo_u32 v4, s15, v10
	v_mad_u64_u32 v[2:3], s[8:9], s14, v10, 0
	v_add_u32_e32 v0, s34, v9
	v_add3_u32 v3, v3, v1, v4
	s_or_b64 s[0:1], s[0:1], s[6:7]
	v_cmp_gt_i32_e64 s[2:3], s33, v10
	v_lshl_add_u64 v[4:5], v[2:3], 3, s[4:5]
	v_cmp_le_i32_e32 vcc, v0, v10
	v_cndmask_b32_e64 v2, 0, 1, s[0:1]
	s_and_b64 s[8:9], s[2:3], vcc
	v_ashrrev_i32_e32 v1, 31, v0
	v_cmp_ne_u32_e64 s[0:1], 1, v2
	s_and_saveexec_b64 s[6:7], s[8:9]
	s_cbranch_execz .LBB524_20
; %bb.17:
	v_pk_mul_f32 v[6:7], v[32:33], s[22:23] op_sel:[0,1] op_sel_hi:[0,0]
	v_pk_fma_f32 v[2:3], v[30:31], s[22:23], v[6:7] op_sel_hi:[0,1,1] neg_lo:[0,0,1] neg_hi:[0,0,1]
	v_pk_fma_f32 v[8:9], v[30:31], s[22:23], v[6:7] op_sel_hi:[0,1,1]
	s_and_b64 vcc, exec, s[0:1]
	v_lshl_add_u64 v[6:7], v[0:1], 3, v[4:5]
	s_cbranch_vccnz .LBB524_19
; %bb.18:
	flat_load_dwordx2 v[12:13], v[6:7]
	s_mov_b32 s8, s21
	v_mov_b32_e32 v3, v9
	s_waitcnt vmcnt(0) lgkmcnt(0)
	v_pk_mul_f32 v[8:9], v[12:13], s[8:9] op_sel:[1,0] op_sel_hi:[0,0]
	v_pk_fma_f32 v[14:15], v[12:13], s[20:21], v[8:9] neg_lo:[0,0,1] neg_hi:[0,0,1]
	v_pk_fma_f32 v[8:9], v[12:13], s[20:21], v[8:9] op_sel_hi:[1,0,1]
	s_nop 0
	v_mov_b32_e32 v15, v9
	v_pk_add_f32 v[2:3], v[2:3], v[14:15]
	s_nop 0
	v_mov_b32_e32 v9, v3
.LBB524_19:
	v_mov_b32_e32 v3, v9
	flat_store_dwordx2 v[6:7], v[2:3]
.LBB524_20:
	s_or_b64 exec, exec, s[6:7]
	v_add_u32_e32 v2, 16, v0
	v_cmp_le_i32_e32 vcc, v2, v10
	s_and_b64 s[6:7], s[2:3], vcc
	v_ashrrev_i32_e32 v3, 31, v2
	s_and_saveexec_b64 s[2:3], s[6:7]
	s_cbranch_execz .LBB524_24
; %bb.21:
	v_pk_mul_f32 v[8:9], v[28:29], s[22:23] op_sel:[0,1] op_sel_hi:[0,0]
	v_pk_fma_f32 v[6:7], v[26:27], s[22:23], v[8:9] op_sel_hi:[0,1,1] neg_lo:[0,0,1] neg_hi:[0,0,1]
	v_pk_fma_f32 v[8:9], v[26:27], s[22:23], v[8:9] op_sel_hi:[0,1,1]
	s_and_b64 vcc, exec, s[0:1]
	v_lshl_add_u64 v[4:5], v[2:3], 3, v[4:5]
	s_cbranch_vccnz .LBB524_23
; %bb.22:
	flat_load_dwordx2 v[12:13], v[4:5]
	s_mov_b32 s6, s21
	v_mov_b32_e32 v7, v9
	s_waitcnt vmcnt(0) lgkmcnt(0)
	v_pk_mul_f32 v[8:9], v[12:13], s[6:7] op_sel:[1,0] op_sel_hi:[0,0]
	v_pk_fma_f32 v[14:15], v[12:13], s[20:21], v[8:9] neg_lo:[0,0,1] neg_hi:[0,0,1]
	v_pk_fma_f32 v[8:9], v[12:13], s[20:21], v[8:9] op_sel_hi:[1,0,1]
	s_nop 0
	v_mov_b32_e32 v15, v9
	v_pk_add_f32 v[6:7], v[6:7], v[14:15]
	s_nop 0
	v_mov_b32_e32 v9, v7
.LBB524_23:
	v_mov_b32_e32 v7, v9
	flat_store_dwordx2 v[4:5], v[6:7]
.LBB524_24:
	s_or_b64 exec, exec, s[2:3]
	v_add_u32_e32 v10, 16, v10
	v_ashrrev_i32_e32 v4, 31, v10
	v_mul_lo_u32 v6, s14, v4
	v_mul_lo_u32 v7, s15, v10
	v_mad_u64_u32 v[4:5], s[6:7], s14, v10, 0
	v_cmp_gt_i32_e64 s[2:3], s33, v10
	v_add3_u32 v5, v5, v6, v7
	v_cmp_le_i32_e32 vcc, v0, v10
	v_lshl_add_u64 v[4:5], v[4:5], 3, s[4:5]
	s_and_b64 s[6:7], s[2:3], vcc
	s_and_saveexec_b64 s[4:5], s[6:7]
	s_cbranch_execz .LBB524_28
; %bb.25:
	v_pk_mul_f32 v[8:9], v[24:25], s[22:23] op_sel:[0,1] op_sel_hi:[0,0]
	v_pk_fma_f32 v[6:7], v[22:23], s[22:23], v[8:9] op_sel_hi:[0,1,1] neg_lo:[0,0,1] neg_hi:[0,0,1]
	v_pk_fma_f32 v[8:9], v[22:23], s[22:23], v[8:9] op_sel_hi:[0,1,1]
	s_and_b64 vcc, exec, s[0:1]
	v_lshl_add_u64 v[0:1], v[0:1], 3, v[4:5]
	s_cbranch_vccnz .LBB524_27
; %bb.26:
	flat_load_dwordx2 v[12:13], v[0:1]
	s_mov_b32 s6, s21
	v_mov_b32_e32 v7, v9
	s_waitcnt vmcnt(0) lgkmcnt(0)
	v_pk_mul_f32 v[8:9], v[12:13], s[6:7] op_sel:[1,0] op_sel_hi:[0,0]
	v_pk_fma_f32 v[14:15], v[12:13], s[20:21], v[8:9] neg_lo:[0,0,1] neg_hi:[0,0,1]
	v_pk_fma_f32 v[8:9], v[12:13], s[20:21], v[8:9] op_sel_hi:[1,0,1]
	s_nop 0
	v_mov_b32_e32 v15, v9
	v_pk_add_f32 v[6:7], v[6:7], v[14:15]
	s_nop 0
	v_mov_b32_e32 v9, v7
.LBB524_27:
	v_mov_b32_e32 v7, v9
	flat_store_dwordx2 v[0:1], v[6:7]
.LBB524_28:
	s_or_b64 exec, exec, s[4:5]
	v_cmp_le_i32_e32 vcc, v2, v10
	s_and_b64 s[2:3], s[2:3], vcc
	s_and_saveexec_b64 s[4:5], s[2:3]
	s_cbranch_execz .LBB524_32
; %bb.29:
	v_pk_mul_f32 v[6:7], v[20:21], s[22:23] op_sel:[0,1] op_sel_hi:[0,0]
	v_pk_fma_f32 v[0:1], v[18:19], s[22:23], v[6:7] op_sel_hi:[0,1,1] neg_lo:[0,0,1] neg_hi:[0,0,1]
	v_pk_fma_f32 v[6:7], v[18:19], s[22:23], v[6:7] op_sel_hi:[0,1,1]
	s_and_b64 vcc, exec, s[0:1]
	v_lshl_add_u64 v[2:3], v[2:3], 3, v[4:5]
	s_cbranch_vccnz .LBB524_31
; %bb.30:
	flat_load_dwordx2 v[4:5], v[2:3]
	s_mov_b32 s0, s21
	v_mov_b32_e32 v1, v7
	s_waitcnt vmcnt(0) lgkmcnt(0)
	v_pk_mul_f32 v[6:7], v[4:5], s[0:1] op_sel:[1,0] op_sel_hi:[0,0]
	v_pk_fma_f32 v[8:9], v[4:5], s[20:21], v[6:7] neg_lo:[0,0,1] neg_hi:[0,0,1]
	v_pk_fma_f32 v[4:5], v[4:5], s[20:21], v[6:7] op_sel_hi:[1,0,1]
	s_nop 0
	v_mov_b32_e32 v9, v5
	v_pk_add_f32 v[0:1], v[0:1], v[8:9]
	s_nop 0
	v_mov_b32_e32 v7, v1
.LBB524_31:
	v_mov_b32_e32 v1, v7
	flat_store_dwordx2 v[2:3], v[0:1]
.LBB524_32:
	s_endpgm
	.section	.rodata,"a",@progbits
	.p2align	6, 0x0
	.amdhsa_kernel _ZL29rocblas_internal_gemmt_kernelIlLi16ELi32ELi8ELc78ELc67ELc85ELb0ELb1E19rocblas_complex_numIfES1_PKPKS1_PKPS1_EviT_T9_T10_S9_lSB_S9_lSA_T11_S9_li
		.amdhsa_group_segment_fixed_size 4096
		.amdhsa_private_segment_fixed_size 0
		.amdhsa_kernarg_size 108
		.amdhsa_user_sgpr_count 2
		.amdhsa_user_sgpr_dispatch_ptr 0
		.amdhsa_user_sgpr_queue_ptr 0
		.amdhsa_user_sgpr_kernarg_segment_ptr 1
		.amdhsa_user_sgpr_dispatch_id 0
		.amdhsa_user_sgpr_kernarg_preload_length 0
		.amdhsa_user_sgpr_kernarg_preload_offset 0
		.amdhsa_user_sgpr_private_segment_size 0
		.amdhsa_uses_dynamic_stack 0
		.amdhsa_enable_private_segment 0
		.amdhsa_system_sgpr_workgroup_id_x 1
		.amdhsa_system_sgpr_workgroup_id_y 1
		.amdhsa_system_sgpr_workgroup_id_z 1
		.amdhsa_system_sgpr_workgroup_info 0
		.amdhsa_system_vgpr_workitem_id 1
		.amdhsa_next_free_vgpr 51
		.amdhsa_next_free_sgpr 36
		.amdhsa_accum_offset 52
		.amdhsa_reserve_vcc 1
		.amdhsa_float_round_mode_32 0
		.amdhsa_float_round_mode_16_64 0
		.amdhsa_float_denorm_mode_32 3
		.amdhsa_float_denorm_mode_16_64 3
		.amdhsa_dx10_clamp 1
		.amdhsa_ieee_mode 1
		.amdhsa_fp16_overflow 0
		.amdhsa_tg_split 0
		.amdhsa_exception_fp_ieee_invalid_op 0
		.amdhsa_exception_fp_denorm_src 0
		.amdhsa_exception_fp_ieee_div_zero 0
		.amdhsa_exception_fp_ieee_overflow 0
		.amdhsa_exception_fp_ieee_underflow 0
		.amdhsa_exception_fp_ieee_inexact 0
		.amdhsa_exception_int_div_zero 0
	.end_amdhsa_kernel
	.section	.text._ZL29rocblas_internal_gemmt_kernelIlLi16ELi32ELi8ELc78ELc67ELc85ELb0ELb1E19rocblas_complex_numIfES1_PKPKS1_PKPS1_EviT_T9_T10_S9_lSB_S9_lSA_T11_S9_li,"axG",@progbits,_ZL29rocblas_internal_gemmt_kernelIlLi16ELi32ELi8ELc78ELc67ELc85ELb0ELb1E19rocblas_complex_numIfES1_PKPKS1_PKPS1_EviT_T9_T10_S9_lSB_S9_lSA_T11_S9_li,comdat
.Lfunc_end524:
	.size	_ZL29rocblas_internal_gemmt_kernelIlLi16ELi32ELi8ELc78ELc67ELc85ELb0ELb1E19rocblas_complex_numIfES1_PKPKS1_PKPS1_EviT_T9_T10_S9_lSB_S9_lSA_T11_S9_li, .Lfunc_end524-_ZL29rocblas_internal_gemmt_kernelIlLi16ELi32ELi8ELc78ELc67ELc85ELb0ELb1E19rocblas_complex_numIfES1_PKPKS1_PKPS1_EviT_T9_T10_S9_lSB_S9_lSA_T11_S9_li
                                        ; -- End function
	.set _ZL29rocblas_internal_gemmt_kernelIlLi16ELi32ELi8ELc78ELc67ELc85ELb0ELb1E19rocblas_complex_numIfES1_PKPKS1_PKPS1_EviT_T9_T10_S9_lSB_S9_lSA_T11_S9_li.num_vgpr, 51
	.set _ZL29rocblas_internal_gemmt_kernelIlLi16ELi32ELi8ELc78ELc67ELc85ELb0ELb1E19rocblas_complex_numIfES1_PKPKS1_PKPS1_EviT_T9_T10_S9_lSB_S9_lSA_T11_S9_li.num_agpr, 0
	.set _ZL29rocblas_internal_gemmt_kernelIlLi16ELi32ELi8ELc78ELc67ELc85ELb0ELb1E19rocblas_complex_numIfES1_PKPKS1_PKPS1_EviT_T9_T10_S9_lSB_S9_lSA_T11_S9_li.numbered_sgpr, 36
	.set _ZL29rocblas_internal_gemmt_kernelIlLi16ELi32ELi8ELc78ELc67ELc85ELb0ELb1E19rocblas_complex_numIfES1_PKPKS1_PKPS1_EviT_T9_T10_S9_lSB_S9_lSA_T11_S9_li.num_named_barrier, 0
	.set _ZL29rocblas_internal_gemmt_kernelIlLi16ELi32ELi8ELc78ELc67ELc85ELb0ELb1E19rocblas_complex_numIfES1_PKPKS1_PKPS1_EviT_T9_T10_S9_lSB_S9_lSA_T11_S9_li.private_seg_size, 0
	.set _ZL29rocblas_internal_gemmt_kernelIlLi16ELi32ELi8ELc78ELc67ELc85ELb0ELb1E19rocblas_complex_numIfES1_PKPKS1_PKPS1_EviT_T9_T10_S9_lSB_S9_lSA_T11_S9_li.uses_vcc, 1
	.set _ZL29rocblas_internal_gemmt_kernelIlLi16ELi32ELi8ELc78ELc67ELc85ELb0ELb1E19rocblas_complex_numIfES1_PKPKS1_PKPS1_EviT_T9_T10_S9_lSB_S9_lSA_T11_S9_li.uses_flat_scratch, 0
	.set _ZL29rocblas_internal_gemmt_kernelIlLi16ELi32ELi8ELc78ELc67ELc85ELb0ELb1E19rocblas_complex_numIfES1_PKPKS1_PKPS1_EviT_T9_T10_S9_lSB_S9_lSA_T11_S9_li.has_dyn_sized_stack, 0
	.set _ZL29rocblas_internal_gemmt_kernelIlLi16ELi32ELi8ELc78ELc67ELc85ELb0ELb1E19rocblas_complex_numIfES1_PKPKS1_PKPS1_EviT_T9_T10_S9_lSB_S9_lSA_T11_S9_li.has_recursion, 0
	.set _ZL29rocblas_internal_gemmt_kernelIlLi16ELi32ELi8ELc78ELc67ELc85ELb0ELb1E19rocblas_complex_numIfES1_PKPKS1_PKPS1_EviT_T9_T10_S9_lSB_S9_lSA_T11_S9_li.has_indirect_call, 0
	.section	.AMDGPU.csdata,"",@progbits
; Kernel info:
; codeLenInByte = 2584
; TotalNumSgprs: 42
; NumVgprs: 51
; NumAgprs: 0
; TotalNumVgprs: 51
; ScratchSize: 0
; MemoryBound: 0
; FloatMode: 240
; IeeeMode: 1
; LDSByteSize: 4096 bytes/workgroup (compile time only)
; SGPRBlocks: 5
; VGPRBlocks: 6
; NumSGPRsForWavesPerEU: 42
; NumVGPRsForWavesPerEU: 51
; AccumOffset: 52
; Occupancy: 8
; WaveLimiterHint : 1
; COMPUTE_PGM_RSRC2:SCRATCH_EN: 0
; COMPUTE_PGM_RSRC2:USER_SGPR: 2
; COMPUTE_PGM_RSRC2:TRAP_HANDLER: 0
; COMPUTE_PGM_RSRC2:TGID_X_EN: 1
; COMPUTE_PGM_RSRC2:TGID_Y_EN: 1
; COMPUTE_PGM_RSRC2:TGID_Z_EN: 1
; COMPUTE_PGM_RSRC2:TIDIG_COMP_CNT: 1
; COMPUTE_PGM_RSRC3_GFX90A:ACCUM_OFFSET: 12
; COMPUTE_PGM_RSRC3_GFX90A:TG_SPLIT: 0
	.section	.text._ZL29rocblas_internal_gemmt_kernelIlLi16ELi32ELi8ELc84ELc78ELc85ELb0ELb0E19rocblas_complex_numIfES1_PKPKS1_PKPS1_EviT_T9_T10_S9_lSB_S9_lSA_T11_S9_li,"axG",@progbits,_ZL29rocblas_internal_gemmt_kernelIlLi16ELi32ELi8ELc84ELc78ELc85ELb0ELb0E19rocblas_complex_numIfES1_PKPKS1_PKPS1_EviT_T9_T10_S9_lSB_S9_lSA_T11_S9_li,comdat
	.globl	_ZL29rocblas_internal_gemmt_kernelIlLi16ELi32ELi8ELc84ELc78ELc85ELb0ELb0E19rocblas_complex_numIfES1_PKPKS1_PKPS1_EviT_T9_T10_S9_lSB_S9_lSA_T11_S9_li ; -- Begin function _ZL29rocblas_internal_gemmt_kernelIlLi16ELi32ELi8ELc84ELc78ELc85ELb0ELb0E19rocblas_complex_numIfES1_PKPKS1_PKPS1_EviT_T9_T10_S9_lSB_S9_lSA_T11_S9_li
	.p2align	8
	.type	_ZL29rocblas_internal_gemmt_kernelIlLi16ELi32ELi8ELc84ELc78ELc85ELb0ELb0E19rocblas_complex_numIfES1_PKPKS1_PKPS1_EviT_T9_T10_S9_lSB_S9_lSA_T11_S9_li,@function
_ZL29rocblas_internal_gemmt_kernelIlLi16ELi32ELi8ELc84ELc78ELc85ELb0ELb0E19rocblas_complex_numIfES1_PKPKS1_PKPS1_EviT_T9_T10_S9_lSB_S9_lSA_T11_S9_li: ; @_ZL29rocblas_internal_gemmt_kernelIlLi16ELi32ELi8ELc84ELc78ELc85ELb0ELb0E19rocblas_complex_numIfES1_PKPKS1_PKPS1_EviT_T9_T10_S9_lSB_S9_lSA_T11_S9_li
; %bb.0:
	s_load_dwordx2 s[20:21], s[0:1], 0x48
	s_load_dwordx2 s[22:23], s[0:1], 0x10
	s_waitcnt lgkmcnt(0)
	s_and_b32 s5, s21, 0x7fffffff
	s_cmp_eq_u32 s5, 0
	v_cmp_eq_f32_e64 s[6:7], s20, 1.0
	s_cselect_b64 s[24:25], -1, 0
	s_and_b64 s[6:7], s[6:7], s[24:25]
	s_and_b64 vcc, exec, s[6:7]
	s_cbranch_vccnz .LBB525_2
; %bb.1:
	s_mov_b64 s[6:7], -1
	s_load_dwordx2 s[26:27], s[0:1], 0x8
	s_cbranch_execz .LBB525_3
	s_branch .LBB525_4
.LBB525_2:
	s_mov_b64 s[6:7], 0
	s_load_dwordx2 s[26:27], s[0:1], 0x8
.LBB525_3:
	s_waitcnt lgkmcnt(0)
	s_cmp_lg_u64 s[26:27], 0
	v_cmp_neq_f32_e64 s[8:9], s22, 0
	v_cmp_neq_f32_e64 s[10:11], s23, 0
	s_cselect_b64 s[6:7], -1, 0
	s_or_b64 s[8:9], s[8:9], s[10:11]
	s_and_b64 s[6:7], s[6:7], s[8:9]
.LBB525_4:
	s_andn2_b64 vcc, exec, s[6:7]
	s_cbranch_vccnz .LBB525_30
; %bb.5:
	s_load_dwordx2 s[28:29], s[0:1], 0x60
	s_load_dword s33, s[0:1], 0x0
	s_load_dwordx4 s[12:15], s[0:1], 0x50
	s_mov_b32 s5, 0
	s_lshl_b64 s[30:31], s[4:5], 3
	v_and_b32_e32 v9, 0x3ff, v0
	v_bfe_u32 v11, v0, 10, 10
	s_waitcnt lgkmcnt(0)
	s_add_u32 s4, s12, s30
	s_addc_u32 s5, s13, s31
	s_load_dwordx2 s[12:13], s[4:5], 0x0
	s_lshl_b32 s34, s2, 5
	s_lshl_b32 s35, s3, 5
	v_cmp_eq_f32_e64 s[2:3], s22, 0
	v_cmp_eq_f32_e64 s[4:5], s23, 0
	s_and_b64 s[2:3], s[2:3], s[4:5]
	v_cmp_lt_i64_e64 s[4:5], s[26:27], 1
	s_or_b64 s[2:3], s[2:3], s[4:5]
	v_mov_b32_e32 v30, 0
	s_and_b64 vcc, exec, s[2:3]
	v_mov_b32_e32 v32, 0
	v_mov_b32_e32 v26, 0
	;; [unrolled: 1-line block ×7, first 2 shown]
	s_cbranch_vccnz .LBB525_14
; %bb.6:
	s_load_dwordx8 s[4:11], s[0:1], 0x18
	s_load_dwordx4 s[16:19], s[0:1], 0x38
	v_lshl_add_u32 v0, v11, 4, v9
	v_lshrrev_b32_e32 v10, 5, v0
	v_lshrrev_b32_e32 v2, 3, v0
	s_waitcnt lgkmcnt(0)
	s_add_u32 s0, s10, s30
	s_addc_u32 s1, s11, s31
	s_load_dwordx2 s[0:1], s[0:1], 0x0
	s_lshl_b64 s[2:3], s[18:19], 3
	v_and_b32_e32 v0, 31, v0
	v_or_b32_e32 v1, s34, v0
	v_lshlrev_b32_e32 v0, 3, v0
	s_waitcnt lgkmcnt(0)
	s_add_u32 s10, s0, s2
	s_addc_u32 s11, s1, s3
	s_add_u32 s0, s4, s30
	s_addc_u32 s1, s5, s31
	s_load_dwordx2 s[2:3], s[0:1], 0x0
	s_lshl_b64 s[4:5], s[8:9], 3
	v_cmp_gt_i32_e64 s[0:1], s33, v1
	v_lshl_or_b32 v19, v10, 8, v0
	v_mul_lo_u32 v4, s7, v1
	s_waitcnt lgkmcnt(0)
	s_add_u32 s2, s2, s4
	s_addc_u32 s3, s3, s5
	s_ashr_i32 s8, s34, 31
	v_mad_u64_u32 v[0:1], s[4:5], s6, v1, 0
	s_mul_i32 s4, s6, s8
	v_and_b32_e32 v8, 7, v9
	v_add3_u32 v1, v1, s4, v4
	v_lshl_add_u64 v[12:13], v[0:1], 3, s[2:3]
	v_lshlrev_b32_e32 v0, 3, v8
	v_add_u32_e32 v3, s35, v2
	v_lshl_or_b32 v0, v2, 6, v0
	v_add_u32_e32 v21, 0x800, v0
	v_ashrrev_i32_e32 v0, 31, v3
	v_mul_lo_u32 v2, s16, v0
	v_mul_lo_u32 v4, s17, v3
	v_mad_u64_u32 v[0:1], s[4:5], s16, v3, 0
	v_add3_u32 v1, v1, v2, v4
	v_lshl_add_u64 v[14:15], v[0:1], 3, s[10:11]
	v_mov_b32_e32 v0, 0x800
	v_cmp_gt_i32_e64 s[2:3], s33, v3
	v_lshlrev_b32_e32 v23, 3, v9
	v_lshl_add_u32 v25, v11, 6, v0
	v_mov_b32_e32 v17, 0
	s_mov_b64 s[4:5], 0
	v_mov_b32_e32 v20, 0
	v_mov_b32_e32 v18, 0
	;; [unrolled: 1-line block ×8, first 2 shown]
	s_branch .LBB525_8
.LBB525_7:                              ;   in Loop: Header=BB525_8 Depth=1
	s_or_b64 exec, exec, s[6:7]
	s_waitcnt vmcnt(0) lgkmcnt(0)
	ds_write_b64 v21, v[0:1]
	s_waitcnt lgkmcnt(0)
	s_barrier
	ds_read2_b64 v[34:37], v23 offset1:16
	ds_read_b128 v[38:41], v25
	ds_read_b128 v[42:45], v25 offset:16
	ds_read_b128 v[4:7], v25 offset:32
	;; [unrolled: 1-line block ×3, first 2 shown]
	s_add_u32 s4, s4, 8
	s_waitcnt lgkmcnt(3)
	v_mul_f32_e32 v16, v39, v35
	v_mul_f32_e32 v27, v38, v35
	v_fma_f32 v16, v38, v34, -v16
	v_fmac_f32_e32 v27, v39, v34
	v_add_f32_e32 v16, v30, v16
	v_add_f32_e32 v50, v32, v27
	ds_read_b128 v[30:33], v25 offset:1024
	v_mul_f32_e32 v27, v39, v37
	v_mul_f32_e32 v29, v38, v37
	v_fma_f32 v27, v38, v36, -v27
	v_fmac_f32_e32 v29, v39, v36
	v_add_f32_e32 v38, v26, v27
	v_add_f32_e32 v39, v28, v29
	ds_read_b128 v[26:29], v25 offset:1040
	s_waitcnt lgkmcnt(1)
	v_mul_f32_e32 v46, v31, v35
	v_fma_f32 v46, v30, v34, -v46
	v_add_f32_e32 v22, v22, v46
	ds_read2_b64 v[46:49], v23 offset0:32 offset1:48
	v_mul_f32_e32 v35, v30, v35
	v_fmac_f32_e32 v35, v31, v34
	v_mul_f32_e32 v34, v31, v37
	v_fma_f32 v34, v30, v36, -v34
	v_mul_f32_e32 v30, v30, v37
	v_fmac_f32_e32 v30, v31, v36
	v_add_f32_e32 v20, v20, v30
	s_waitcnt lgkmcnt(0)
	v_mul_f32_e32 v30, v41, v47
	v_mul_f32_e32 v31, v40, v47
	v_fma_f32 v30, v40, v46, -v30
	v_fmac_f32_e32 v31, v41, v46
	v_add_f32_e32 v18, v18, v34
	v_add_f32_e32 v16, v16, v30
	;; [unrolled: 1-line block ×3, first 2 shown]
	v_mul_f32_e32 v31, v41, v49
	v_mul_f32_e32 v34, v40, v49
	v_fma_f32 v31, v40, v48, -v31
	v_fmac_f32_e32 v34, v41, v48
	v_add_f32_e32 v31, v38, v31
	v_add_f32_e32 v38, v39, v34
	v_mul_f32_e32 v34, v33, v47
	v_add_f32_e32 v24, v24, v35
	v_fma_f32 v34, v32, v46, -v34
	v_mul_f32_e32 v35, v32, v47
	v_fmac_f32_e32 v35, v33, v46
	v_add_f32_e32 v22, v22, v34
	v_mul_f32_e32 v34, v33, v49
	v_add_f32_e32 v24, v24, v35
	v_fma_f32 v39, v32, v48, -v34
	ds_read2_b64 v[34:37], v23 offset0:64 offset1:80
	v_mul_f32_e32 v32, v32, v49
	v_fmac_f32_e32 v32, v33, v48
	v_add_f32_e32 v18, v18, v39
	v_add_f32_e32 v20, v20, v32
	s_waitcnt lgkmcnt(0)
	v_mul_f32_e32 v33, v42, v35
	v_fmac_f32_e32 v33, v43, v34
	v_add_f32_e32 v39, v30, v33
	v_mul_f32_e32 v30, v43, v37
	v_mul_f32_e32 v32, v43, v35
	v_fma_f32 v30, v42, v36, -v30
	v_fma_f32 v32, v42, v34, -v32
	v_add_f32_e32 v40, v31, v30
	v_mul_f32_e32 v30, v27, v35
	v_add_f32_e32 v16, v16, v32
	v_mul_f32_e32 v32, v42, v37
	v_fma_f32 v30, v26, v34, -v30
	v_mul_f32_e32 v31, v26, v35
	v_fmac_f32_e32 v32, v43, v36
	v_fmac_f32_e32 v31, v27, v34
	v_add_f32_e32 v22, v22, v30
	v_mul_f32_e32 v30, v27, v37
	v_add_f32_e32 v38, v38, v32
	v_add_f32_e32 v24, v24, v31
	v_fma_f32 v34, v26, v36, -v30
	ds_read2_b64 v[30:33], v23 offset0:96 offset1:112
	v_mul_f32_e32 v26, v26, v37
	v_fmac_f32_e32 v26, v27, v36
	v_add_f32_e32 v20, v20, v26
	v_add_f32_e32 v18, v18, v34
	s_waitcnt lgkmcnt(0)
	v_mul_f32_e32 v26, v45, v31
	v_mul_f32_e32 v27, v44, v31
	v_fma_f32 v26, v44, v30, -v26
	v_fmac_f32_e32 v27, v45, v30
	v_add_f32_e32 v16, v16, v26
	v_add_f32_e32 v26, v39, v27
	v_mul_f32_e32 v27, v45, v33
	v_mul_f32_e32 v34, v44, v33
	v_fma_f32 v27, v44, v32, -v27
	v_fmac_f32_e32 v34, v45, v32
	v_add_f32_e32 v39, v40, v27
	v_add_f32_e32 v38, v38, v34
	v_mul_f32_e32 v27, v29, v31
	ds_read2_b64 v[34:37], v23 offset0:128 offset1:144
	v_fma_f32 v27, v28, v30, -v27
	v_add_f32_e32 v22, v22, v27
	v_mul_f32_e32 v27, v29, v33
	v_mul_f32_e32 v31, v28, v31
	v_fma_f32 v27, v28, v32, -v27
	v_mul_f32_e32 v28, v28, v33
	v_fmac_f32_e32 v28, v29, v32
	v_add_f32_e32 v20, v20, v28
	s_waitcnt lgkmcnt(0)
	v_mul_f32_e32 v28, v4, v35
	v_add_f32_e32 v18, v18, v27
	v_mul_f32_e32 v27, v5, v35
	v_fmac_f32_e32 v28, v5, v34
	v_fma_f32 v27, v4, v34, -v27
	v_add_f32_e32 v42, v26, v28
	v_mul_f32_e32 v26, v5, v37
	v_fmac_f32_e32 v31, v29, v30
	v_add_f32_e32 v16, v16, v27
	v_fma_f32 v30, v4, v36, -v26
	ds_read_b128 v[26:29], v25 offset:1056
	v_mul_f32_e32 v4, v4, v37
	v_fmac_f32_e32 v4, v5, v36
	v_add_f32_e32 v5, v39, v30
	v_add_f32_e32 v4, v38, v4
	ds_read_b128 v[38:41], v25 offset:1072
	s_waitcnt lgkmcnt(1)
	v_mul_f32_e32 v30, v27, v35
	v_add_f32_e32 v24, v24, v31
	v_fma_f32 v30, v26, v34, -v30
	v_mul_f32_e32 v31, v26, v35
	v_fmac_f32_e32 v31, v27, v34
	v_add_f32_e32 v22, v22, v30
	v_mul_f32_e32 v30, v27, v37
	v_add_f32_e32 v24, v24, v31
	v_fma_f32 v34, v26, v36, -v30
	ds_read2_b64 v[30:33], v23 offset0:160 offset1:176
	v_mul_f32_e32 v26, v26, v37
	v_fmac_f32_e32 v26, v27, v36
	v_add_f32_e32 v20, v20, v26
	v_add_f32_e32 v18, v18, v34
	s_waitcnt lgkmcnt(0)
	v_mul_f32_e32 v26, v7, v31
	v_mul_f32_e32 v27, v6, v31
	v_fma_f32 v26, v6, v30, -v26
	v_fmac_f32_e32 v27, v7, v30
	v_add_f32_e32 v16, v16, v26
	v_add_f32_e32 v26, v42, v27
	v_mul_f32_e32 v27, v7, v33
	v_fma_f32 v27, v6, v32, -v27
	v_mul_f32_e32 v6, v6, v33
	v_fmac_f32_e32 v6, v7, v32
	v_add_f32_e32 v34, v4, v6
	v_mul_f32_e32 v4, v29, v31
	v_add_f32_e32 v27, v5, v27
	v_fma_f32 v4, v28, v30, -v4
	v_mul_f32_e32 v5, v28, v31
	v_fmac_f32_e32 v5, v29, v30
	v_add_f32_e32 v22, v22, v4
	v_mul_f32_e32 v4, v29, v33
	v_add_f32_e32 v24, v24, v5
	v_fma_f32 v30, v28, v32, -v4
	ds_read2_b64 v[4:7], v23 offset0:192 offset1:208
	v_mul_f32_e32 v28, v28, v33
	v_fmac_f32_e32 v28, v29, v32
	v_add_f32_e32 v20, v20, v28
	v_add_f32_e32 v18, v18, v30
	s_waitcnt lgkmcnt(0)
	v_mul_f32_e32 v28, v1, v5
	v_fma_f32 v28, v0, v4, -v28
	v_add_f32_e32 v16, v16, v28
	v_mul_f32_e32 v28, v1, v7
	v_mul_f32_e32 v29, v0, v5
	v_fma_f32 v28, v0, v6, -v28
	v_mul_f32_e32 v0, v0, v7
	v_fmac_f32_e32 v0, v1, v6
	v_add_f32_e32 v0, v34, v0
	ds_read2_b64 v[34:37], v23 offset0:224 offset1:240
	v_fmac_f32_e32 v29, v1, v4
	v_add_f32_e32 v1, v27, v28
	v_mul_f32_e32 v27, v39, v5
	v_fma_f32 v27, v38, v4, -v27
	v_mul_f32_e32 v5, v38, v5
	v_fmac_f32_e32 v5, v39, v4
	v_add_f32_e32 v4, v22, v27
	v_mul_f32_e32 v22, v39, v7
	v_fma_f32 v22, v38, v6, -v22
	v_mul_f32_e32 v7, v38, v7
	v_fmac_f32_e32 v7, v39, v6
	v_add_f32_e32 v6, v18, v22
	s_waitcnt lgkmcnt(0)
	v_mul_f32_e32 v18, v3, v35
	v_fma_f32 v18, v2, v34, -v18
	v_add_f32_e32 v30, v16, v18
	v_mul_f32_e32 v16, v3, v37
	v_add_f32_e32 v7, v20, v7
	v_mul_f32_e32 v20, v2, v35
	v_fma_f32 v16, v2, v36, -v16
	v_mul_f32_e32 v2, v2, v37
	v_add_f32_e32 v26, v26, v29
	v_fmac_f32_e32 v20, v3, v34
	v_fmac_f32_e32 v2, v3, v36
	v_add_f32_e32 v32, v26, v20
	v_add_f32_e32 v26, v1, v16
	;; [unrolled: 1-line block ×3, first 2 shown]
	v_mul_f32_e32 v0, v41, v35
	v_mul_f32_e32 v1, v40, v35
	v_add_f32_e32 v5, v24, v5
	v_fma_f32 v0, v40, v34, -v0
	v_fmac_f32_e32 v1, v41, v34
	v_add_f32_e32 v22, v4, v0
	v_add_f32_e32 v24, v5, v1
	v_mul_f32_e32 v0, v41, v37
	v_mul_f32_e32 v1, v40, v37
	v_fma_f32 v0, v40, v36, -v0
	v_fmac_f32_e32 v1, v41, v36
	s_addc_u32 s5, s5, 0
	v_add_f32_e32 v18, v6, v0
	v_add_f32_e32 v20, v7, v1
	v_mov_b64_e32 v[0:1], s[4:5]
	v_cmp_gt_i64_e32 vcc, s[26:27], v[0:1]
	s_barrier
	s_cbranch_vccz .LBB525_14
.LBB525_8:                              ; =>This Inner Loop Header: Depth=1
	v_mov_b32_e32 v0, 0
	v_mov_b32_e32 v1, 0
	s_and_saveexec_b64 s[6:7], s[0:1]
	s_cbranch_execz .LBB525_12
; %bb.9:                                ;   in Loop: Header=BB525_8 Depth=1
	v_add_u32_e32 v16, s4, v10
	v_cmp_gt_u64_e32 vcc, s[26:27], v[16:17]
	v_mov_b32_e32 v1, 0
	v_mov_b32_e32 v0, 0
	s_and_saveexec_b64 s[8:9], vcc
	s_cbranch_execz .LBB525_11
; %bb.10:                               ;   in Loop: Header=BB525_8 Depth=1
	v_lshl_add_u64 v[0:1], v[16:17], 3, v[12:13]
	flat_load_dwordx2 v[0:1], v[0:1]
.LBB525_11:                             ;   in Loop: Header=BB525_8 Depth=1
	s_or_b64 exec, exec, s[8:9]
.LBB525_12:                             ;   in Loop: Header=BB525_8 Depth=1
	s_or_b64 exec, exec, s[6:7]
	v_add_u32_e32 v16, s4, v8
	v_cmp_gt_u64_e32 vcc, s[26:27], v[16:17]
	s_waitcnt vmcnt(0) lgkmcnt(0)
	ds_write_b64 v19, v[0:1]
	s_and_b64 s[8:9], vcc, s[2:3]
	v_mov_b32_e32 v0, 0
	v_mov_b32_e32 v1, 0
	s_and_saveexec_b64 s[6:7], s[8:9]
	s_cbranch_execz .LBB525_7
; %bb.13:                               ;   in Loop: Header=BB525_8 Depth=1
	v_lshl_add_u64 v[0:1], v[16:17], 3, v[14:15]
	flat_load_dwordx2 v[0:1], v[0:1]
	s_branch .LBB525_7
.LBB525_14:
	s_lshl_b64 s[0:1], s[28:29], 3
	v_add_u32_e32 v10, s35, v11
	s_waitcnt lgkmcnt(0)
	s_add_u32 s4, s12, s0
	v_ashrrev_i32_e32 v1, 31, v10
	s_addc_u32 s5, s13, s1
	v_cmp_neq_f32_e64 s[0:1], s20, 0
	s_xor_b64 s[6:7], s[24:25], -1
	v_mul_lo_u32 v1, s14, v1
	v_mul_lo_u32 v4, s15, v10
	v_mad_u64_u32 v[2:3], s[8:9], s14, v10, 0
	v_add_u32_e32 v0, s34, v9
	v_add3_u32 v3, v3, v1, v4
	s_or_b64 s[0:1], s[0:1], s[6:7]
	v_cmp_gt_i32_e64 s[2:3], s33, v10
	v_lshl_add_u64 v[4:5], v[2:3], 3, s[4:5]
	v_cmp_le_i32_e32 vcc, v0, v10
	v_cndmask_b32_e64 v2, 0, 1, s[0:1]
	s_and_b64 s[8:9], s[2:3], vcc
	v_ashrrev_i32_e32 v1, 31, v0
	v_cmp_ne_u32_e64 s[0:1], 1, v2
	s_and_saveexec_b64 s[6:7], s[8:9]
	s_cbranch_execz .LBB525_18
; %bb.15:
	v_pk_mul_f32 v[6:7], v[32:33], s[22:23] op_sel:[0,1] op_sel_hi:[0,0]
	v_pk_fma_f32 v[2:3], v[30:31], s[22:23], v[6:7] op_sel_hi:[0,1,1] neg_lo:[0,0,1] neg_hi:[0,0,1]
	v_pk_fma_f32 v[8:9], v[30:31], s[22:23], v[6:7] op_sel_hi:[0,1,1]
	s_and_b64 vcc, exec, s[0:1]
	v_lshl_add_u64 v[6:7], v[0:1], 3, v[4:5]
	s_cbranch_vccnz .LBB525_17
; %bb.16:
	flat_load_dwordx2 v[12:13], v[6:7]
	s_mov_b32 s8, s21
	v_mov_b32_e32 v3, v9
	s_waitcnt vmcnt(0) lgkmcnt(0)
	v_pk_mul_f32 v[8:9], v[12:13], s[8:9] op_sel:[1,0] op_sel_hi:[0,0]
	v_pk_fma_f32 v[14:15], v[12:13], s[20:21], v[8:9] neg_lo:[0,0,1] neg_hi:[0,0,1]
	v_pk_fma_f32 v[8:9], v[12:13], s[20:21], v[8:9] op_sel_hi:[1,0,1]
	s_nop 0
	v_mov_b32_e32 v15, v9
	v_pk_add_f32 v[2:3], v[2:3], v[14:15]
	s_nop 0
	v_mov_b32_e32 v9, v3
.LBB525_17:
	v_mov_b32_e32 v3, v9
	flat_store_dwordx2 v[6:7], v[2:3]
.LBB525_18:
	s_or_b64 exec, exec, s[6:7]
	v_add_u32_e32 v2, 16, v0
	v_cmp_le_i32_e32 vcc, v2, v10
	s_and_b64 s[6:7], s[2:3], vcc
	v_ashrrev_i32_e32 v3, 31, v2
	s_and_saveexec_b64 s[2:3], s[6:7]
	s_cbranch_execz .LBB525_22
; %bb.19:
	v_pk_mul_f32 v[8:9], v[28:29], s[22:23] op_sel:[0,1] op_sel_hi:[0,0]
	v_pk_fma_f32 v[6:7], v[26:27], s[22:23], v[8:9] op_sel_hi:[0,1,1] neg_lo:[0,0,1] neg_hi:[0,0,1]
	v_pk_fma_f32 v[8:9], v[26:27], s[22:23], v[8:9] op_sel_hi:[0,1,1]
	s_and_b64 vcc, exec, s[0:1]
	v_lshl_add_u64 v[4:5], v[2:3], 3, v[4:5]
	s_cbranch_vccnz .LBB525_21
; %bb.20:
	flat_load_dwordx2 v[12:13], v[4:5]
	s_mov_b32 s6, s21
	v_mov_b32_e32 v7, v9
	s_waitcnt vmcnt(0) lgkmcnt(0)
	v_pk_mul_f32 v[8:9], v[12:13], s[6:7] op_sel:[1,0] op_sel_hi:[0,0]
	v_pk_fma_f32 v[14:15], v[12:13], s[20:21], v[8:9] neg_lo:[0,0,1] neg_hi:[0,0,1]
	v_pk_fma_f32 v[8:9], v[12:13], s[20:21], v[8:9] op_sel_hi:[1,0,1]
	s_nop 0
	v_mov_b32_e32 v15, v9
	v_pk_add_f32 v[6:7], v[6:7], v[14:15]
	s_nop 0
	v_mov_b32_e32 v9, v7
.LBB525_21:
	v_mov_b32_e32 v7, v9
	flat_store_dwordx2 v[4:5], v[6:7]
.LBB525_22:
	s_or_b64 exec, exec, s[2:3]
	v_add_u32_e32 v10, 16, v10
	v_ashrrev_i32_e32 v4, 31, v10
	v_mul_lo_u32 v6, s14, v4
	v_mul_lo_u32 v7, s15, v10
	v_mad_u64_u32 v[4:5], s[6:7], s14, v10, 0
	v_cmp_gt_i32_e64 s[2:3], s33, v10
	v_add3_u32 v5, v5, v6, v7
	v_cmp_le_i32_e32 vcc, v0, v10
	v_lshl_add_u64 v[4:5], v[4:5], 3, s[4:5]
	s_and_b64 s[6:7], s[2:3], vcc
	s_and_saveexec_b64 s[4:5], s[6:7]
	s_cbranch_execz .LBB525_26
; %bb.23:
	v_pk_mul_f32 v[8:9], v[24:25], s[22:23] op_sel:[0,1] op_sel_hi:[0,0]
	v_pk_fma_f32 v[6:7], v[22:23], s[22:23], v[8:9] op_sel_hi:[0,1,1] neg_lo:[0,0,1] neg_hi:[0,0,1]
	v_pk_fma_f32 v[8:9], v[22:23], s[22:23], v[8:9] op_sel_hi:[0,1,1]
	s_and_b64 vcc, exec, s[0:1]
	v_lshl_add_u64 v[0:1], v[0:1], 3, v[4:5]
	s_cbranch_vccnz .LBB525_25
; %bb.24:
	flat_load_dwordx2 v[12:13], v[0:1]
	s_mov_b32 s6, s21
	v_mov_b32_e32 v7, v9
	s_waitcnt vmcnt(0) lgkmcnt(0)
	v_pk_mul_f32 v[8:9], v[12:13], s[6:7] op_sel:[1,0] op_sel_hi:[0,0]
	v_pk_fma_f32 v[14:15], v[12:13], s[20:21], v[8:9] neg_lo:[0,0,1] neg_hi:[0,0,1]
	v_pk_fma_f32 v[8:9], v[12:13], s[20:21], v[8:9] op_sel_hi:[1,0,1]
	s_nop 0
	v_mov_b32_e32 v15, v9
	v_pk_add_f32 v[6:7], v[6:7], v[14:15]
	s_nop 0
	v_mov_b32_e32 v9, v7
.LBB525_25:
	v_mov_b32_e32 v7, v9
	flat_store_dwordx2 v[0:1], v[6:7]
.LBB525_26:
	s_or_b64 exec, exec, s[4:5]
	v_cmp_le_i32_e32 vcc, v2, v10
	s_and_b64 s[2:3], s[2:3], vcc
	s_and_saveexec_b64 s[4:5], s[2:3]
	s_cbranch_execz .LBB525_30
; %bb.27:
	v_pk_mul_f32 v[6:7], v[20:21], s[22:23] op_sel:[0,1] op_sel_hi:[0,0]
	v_pk_fma_f32 v[0:1], v[18:19], s[22:23], v[6:7] op_sel_hi:[0,1,1] neg_lo:[0,0,1] neg_hi:[0,0,1]
	v_pk_fma_f32 v[6:7], v[18:19], s[22:23], v[6:7] op_sel_hi:[0,1,1]
	s_and_b64 vcc, exec, s[0:1]
	v_lshl_add_u64 v[2:3], v[2:3], 3, v[4:5]
	s_cbranch_vccnz .LBB525_29
; %bb.28:
	flat_load_dwordx2 v[4:5], v[2:3]
	s_mov_b32 s0, s21
	v_mov_b32_e32 v1, v7
	s_waitcnt vmcnt(0) lgkmcnt(0)
	v_pk_mul_f32 v[6:7], v[4:5], s[0:1] op_sel:[1,0] op_sel_hi:[0,0]
	v_pk_fma_f32 v[8:9], v[4:5], s[20:21], v[6:7] neg_lo:[0,0,1] neg_hi:[0,0,1]
	v_pk_fma_f32 v[4:5], v[4:5], s[20:21], v[6:7] op_sel_hi:[1,0,1]
	s_nop 0
	v_mov_b32_e32 v9, v5
	v_pk_add_f32 v[0:1], v[0:1], v[8:9]
	s_nop 0
	v_mov_b32_e32 v7, v1
.LBB525_29:
	v_mov_b32_e32 v1, v7
	flat_store_dwordx2 v[2:3], v[0:1]
.LBB525_30:
	s_endpgm
	.section	.rodata,"a",@progbits
	.p2align	6, 0x0
	.amdhsa_kernel _ZL29rocblas_internal_gemmt_kernelIlLi16ELi32ELi8ELc84ELc78ELc85ELb0ELb0E19rocblas_complex_numIfES1_PKPKS1_PKPS1_EviT_T9_T10_S9_lSB_S9_lSA_T11_S9_li
		.amdhsa_group_segment_fixed_size 4096
		.amdhsa_private_segment_fixed_size 0
		.amdhsa_kernarg_size 108
		.amdhsa_user_sgpr_count 2
		.amdhsa_user_sgpr_dispatch_ptr 0
		.amdhsa_user_sgpr_queue_ptr 0
		.amdhsa_user_sgpr_kernarg_segment_ptr 1
		.amdhsa_user_sgpr_dispatch_id 0
		.amdhsa_user_sgpr_kernarg_preload_length 0
		.amdhsa_user_sgpr_kernarg_preload_offset 0
		.amdhsa_user_sgpr_private_segment_size 0
		.amdhsa_uses_dynamic_stack 0
		.amdhsa_enable_private_segment 0
		.amdhsa_system_sgpr_workgroup_id_x 1
		.amdhsa_system_sgpr_workgroup_id_y 1
		.amdhsa_system_sgpr_workgroup_id_z 1
		.amdhsa_system_sgpr_workgroup_info 0
		.amdhsa_system_vgpr_workitem_id 1
		.amdhsa_next_free_vgpr 51
		.amdhsa_next_free_sgpr 36
		.amdhsa_accum_offset 52
		.amdhsa_reserve_vcc 1
		.amdhsa_float_round_mode_32 0
		.amdhsa_float_round_mode_16_64 0
		.amdhsa_float_denorm_mode_32 3
		.amdhsa_float_denorm_mode_16_64 3
		.amdhsa_dx10_clamp 1
		.amdhsa_ieee_mode 1
		.amdhsa_fp16_overflow 0
		.amdhsa_tg_split 0
		.amdhsa_exception_fp_ieee_invalid_op 0
		.amdhsa_exception_fp_denorm_src 0
		.amdhsa_exception_fp_ieee_div_zero 0
		.amdhsa_exception_fp_ieee_overflow 0
		.amdhsa_exception_fp_ieee_underflow 0
		.amdhsa_exception_fp_ieee_inexact 0
		.amdhsa_exception_int_div_zero 0
	.end_amdhsa_kernel
	.section	.text._ZL29rocblas_internal_gemmt_kernelIlLi16ELi32ELi8ELc84ELc78ELc85ELb0ELb0E19rocblas_complex_numIfES1_PKPKS1_PKPS1_EviT_T9_T10_S9_lSB_S9_lSA_T11_S9_li,"axG",@progbits,_ZL29rocblas_internal_gemmt_kernelIlLi16ELi32ELi8ELc84ELc78ELc85ELb0ELb0E19rocblas_complex_numIfES1_PKPKS1_PKPS1_EviT_T9_T10_S9_lSB_S9_lSA_T11_S9_li,comdat
.Lfunc_end525:
	.size	_ZL29rocblas_internal_gemmt_kernelIlLi16ELi32ELi8ELc84ELc78ELc85ELb0ELb0E19rocblas_complex_numIfES1_PKPKS1_PKPS1_EviT_T9_T10_S9_lSB_S9_lSA_T11_S9_li, .Lfunc_end525-_ZL29rocblas_internal_gemmt_kernelIlLi16ELi32ELi8ELc84ELc78ELc85ELb0ELb0E19rocblas_complex_numIfES1_PKPKS1_PKPS1_EviT_T9_T10_S9_lSB_S9_lSA_T11_S9_li
                                        ; -- End function
	.set _ZL29rocblas_internal_gemmt_kernelIlLi16ELi32ELi8ELc84ELc78ELc85ELb0ELb0E19rocblas_complex_numIfES1_PKPKS1_PKPS1_EviT_T9_T10_S9_lSB_S9_lSA_T11_S9_li.num_vgpr, 51
	.set _ZL29rocblas_internal_gemmt_kernelIlLi16ELi32ELi8ELc84ELc78ELc85ELb0ELb0E19rocblas_complex_numIfES1_PKPKS1_PKPS1_EviT_T9_T10_S9_lSB_S9_lSA_T11_S9_li.num_agpr, 0
	.set _ZL29rocblas_internal_gemmt_kernelIlLi16ELi32ELi8ELc84ELc78ELc85ELb0ELb0E19rocblas_complex_numIfES1_PKPKS1_PKPS1_EviT_T9_T10_S9_lSB_S9_lSA_T11_S9_li.numbered_sgpr, 36
	.set _ZL29rocblas_internal_gemmt_kernelIlLi16ELi32ELi8ELc84ELc78ELc85ELb0ELb0E19rocblas_complex_numIfES1_PKPKS1_PKPS1_EviT_T9_T10_S9_lSB_S9_lSA_T11_S9_li.num_named_barrier, 0
	.set _ZL29rocblas_internal_gemmt_kernelIlLi16ELi32ELi8ELc84ELc78ELc85ELb0ELb0E19rocblas_complex_numIfES1_PKPKS1_PKPS1_EviT_T9_T10_S9_lSB_S9_lSA_T11_S9_li.private_seg_size, 0
	.set _ZL29rocblas_internal_gemmt_kernelIlLi16ELi32ELi8ELc84ELc78ELc85ELb0ELb0E19rocblas_complex_numIfES1_PKPKS1_PKPS1_EviT_T9_T10_S9_lSB_S9_lSA_T11_S9_li.uses_vcc, 1
	.set _ZL29rocblas_internal_gemmt_kernelIlLi16ELi32ELi8ELc84ELc78ELc85ELb0ELb0E19rocblas_complex_numIfES1_PKPKS1_PKPS1_EviT_T9_T10_S9_lSB_S9_lSA_T11_S9_li.uses_flat_scratch, 0
	.set _ZL29rocblas_internal_gemmt_kernelIlLi16ELi32ELi8ELc84ELc78ELc85ELb0ELb0E19rocblas_complex_numIfES1_PKPKS1_PKPS1_EviT_T9_T10_S9_lSB_S9_lSA_T11_S9_li.has_dyn_sized_stack, 0
	.set _ZL29rocblas_internal_gemmt_kernelIlLi16ELi32ELi8ELc84ELc78ELc85ELb0ELb0E19rocblas_complex_numIfES1_PKPKS1_PKPS1_EviT_T9_T10_S9_lSB_S9_lSA_T11_S9_li.has_recursion, 0
	.set _ZL29rocblas_internal_gemmt_kernelIlLi16ELi32ELi8ELc84ELc78ELc85ELb0ELb0E19rocblas_complex_numIfES1_PKPKS1_PKPS1_EviT_T9_T10_S9_lSB_S9_lSA_T11_S9_li.has_indirect_call, 0
	.section	.AMDGPU.csdata,"",@progbits
; Kernel info:
; codeLenInByte = 2564
; TotalNumSgprs: 42
; NumVgprs: 51
; NumAgprs: 0
; TotalNumVgprs: 51
; ScratchSize: 0
; MemoryBound: 0
; FloatMode: 240
; IeeeMode: 1
; LDSByteSize: 4096 bytes/workgroup (compile time only)
; SGPRBlocks: 5
; VGPRBlocks: 6
; NumSGPRsForWavesPerEU: 42
; NumVGPRsForWavesPerEU: 51
; AccumOffset: 52
; Occupancy: 8
; WaveLimiterHint : 1
; COMPUTE_PGM_RSRC2:SCRATCH_EN: 0
; COMPUTE_PGM_RSRC2:USER_SGPR: 2
; COMPUTE_PGM_RSRC2:TRAP_HANDLER: 0
; COMPUTE_PGM_RSRC2:TGID_X_EN: 1
; COMPUTE_PGM_RSRC2:TGID_Y_EN: 1
; COMPUTE_PGM_RSRC2:TGID_Z_EN: 1
; COMPUTE_PGM_RSRC2:TIDIG_COMP_CNT: 1
; COMPUTE_PGM_RSRC3_GFX90A:ACCUM_OFFSET: 12
; COMPUTE_PGM_RSRC3_GFX90A:TG_SPLIT: 0
	.section	.text._ZL29rocblas_internal_gemmt_kernelIlLi16ELi32ELi8ELc84ELc84ELc85ELb0ELb0E19rocblas_complex_numIfES1_PKPKS1_PKPS1_EviT_T9_T10_S9_lSB_S9_lSA_T11_S9_li,"axG",@progbits,_ZL29rocblas_internal_gemmt_kernelIlLi16ELi32ELi8ELc84ELc84ELc85ELb0ELb0E19rocblas_complex_numIfES1_PKPKS1_PKPS1_EviT_T9_T10_S9_lSB_S9_lSA_T11_S9_li,comdat
	.globl	_ZL29rocblas_internal_gemmt_kernelIlLi16ELi32ELi8ELc84ELc84ELc85ELb0ELb0E19rocblas_complex_numIfES1_PKPKS1_PKPS1_EviT_T9_T10_S9_lSB_S9_lSA_T11_S9_li ; -- Begin function _ZL29rocblas_internal_gemmt_kernelIlLi16ELi32ELi8ELc84ELc84ELc85ELb0ELb0E19rocblas_complex_numIfES1_PKPKS1_PKPS1_EviT_T9_T10_S9_lSB_S9_lSA_T11_S9_li
	.p2align	8
	.type	_ZL29rocblas_internal_gemmt_kernelIlLi16ELi32ELi8ELc84ELc84ELc85ELb0ELb0E19rocblas_complex_numIfES1_PKPKS1_PKPS1_EviT_T9_T10_S9_lSB_S9_lSA_T11_S9_li,@function
_ZL29rocblas_internal_gemmt_kernelIlLi16ELi32ELi8ELc84ELc84ELc85ELb0ELb0E19rocblas_complex_numIfES1_PKPKS1_PKPS1_EviT_T9_T10_S9_lSB_S9_lSA_T11_S9_li: ; @_ZL29rocblas_internal_gemmt_kernelIlLi16ELi32ELi8ELc84ELc84ELc85ELb0ELb0E19rocblas_complex_numIfES1_PKPKS1_PKPS1_EviT_T9_T10_S9_lSB_S9_lSA_T11_S9_li
; %bb.0:
	s_load_dwordx2 s[20:21], s[0:1], 0x48
	s_load_dwordx2 s[22:23], s[0:1], 0x10
	s_waitcnt lgkmcnt(0)
	s_and_b32 s5, s21, 0x7fffffff
	s_cmp_eq_u32 s5, 0
	v_cmp_eq_f32_e64 s[6:7], s20, 1.0
	s_cselect_b64 s[24:25], -1, 0
	s_and_b64 s[6:7], s[6:7], s[24:25]
	s_and_b64 vcc, exec, s[6:7]
	s_cbranch_vccnz .LBB526_2
; %bb.1:
	s_mov_b64 s[6:7], -1
	s_load_dwordx2 s[26:27], s[0:1], 0x8
	s_cbranch_execz .LBB526_3
	s_branch .LBB526_4
.LBB526_2:
	s_mov_b64 s[6:7], 0
	s_load_dwordx2 s[26:27], s[0:1], 0x8
.LBB526_3:
	s_waitcnt lgkmcnt(0)
	s_cmp_lg_u64 s[26:27], 0
	v_cmp_neq_f32_e64 s[8:9], s22, 0
	v_cmp_neq_f32_e64 s[10:11], s23, 0
	s_cselect_b64 s[6:7], -1, 0
	s_or_b64 s[8:9], s[8:9], s[10:11]
	s_and_b64 s[6:7], s[6:7], s[8:9]
.LBB526_4:
	s_andn2_b64 vcc, exec, s[6:7]
	s_cbranch_vccnz .LBB526_30
; %bb.5:
	s_load_dwordx2 s[28:29], s[0:1], 0x60
	s_load_dword s33, s[0:1], 0x0
	s_load_dwordx4 s[12:15], s[0:1], 0x50
	s_mov_b32 s5, 0
	s_lshl_b64 s[30:31], s[4:5], 3
	v_and_b32_e32 v9, 0x3ff, v0
	v_bfe_u32 v11, v0, 10, 10
	s_waitcnt lgkmcnt(0)
	s_add_u32 s4, s12, s30
	s_addc_u32 s5, s13, s31
	s_load_dwordx2 s[12:13], s[4:5], 0x0
	s_lshl_b32 s34, s2, 5
	s_lshl_b32 s35, s3, 5
	v_cmp_eq_f32_e64 s[2:3], s22, 0
	v_cmp_eq_f32_e64 s[4:5], s23, 0
	s_and_b64 s[2:3], s[2:3], s[4:5]
	v_cmp_lt_i64_e64 s[4:5], s[26:27], 1
	s_or_b64 s[2:3], s[2:3], s[4:5]
	v_mov_b32_e32 v30, 0
	s_and_b64 vcc, exec, s[2:3]
	v_mov_b32_e32 v32, 0
	v_mov_b32_e32 v26, 0
	;; [unrolled: 1-line block ×7, first 2 shown]
	s_cbranch_vccnz .LBB526_14
; %bb.6:
	s_load_dwordx8 s[4:11], s[0:1], 0x18
	s_load_dwordx4 s[16:19], s[0:1], 0x38
	v_lshl_add_u32 v0, v11, 4, v9
	v_and_b32_e32 v2, 31, v0
	v_lshrrev_b32_e32 v10, 5, v0
	s_waitcnt lgkmcnt(0)
	s_add_u32 s0, s10, s30
	s_addc_u32 s1, s11, s31
	s_load_dwordx2 s[0:1], s[0:1], 0x0
	s_lshl_b64 s[2:3], s[18:19], 3
	v_or_b32_e32 v3, s34, v2
	v_lshlrev_b32_e32 v2, 3, v2
	v_lshl_or_b32 v19, v10, 8, v2
	s_waitcnt lgkmcnt(0)
	s_add_u32 s10, s0, s2
	s_addc_u32 s11, s1, s3
	s_add_u32 s0, s4, s30
	s_addc_u32 s1, s5, s31
	s_load_dwordx2 s[2:3], s[0:1], 0x0
	s_lshl_b64 s[4:5], s[8:9], 3
	v_cmp_gt_i32_e64 s[0:1], s33, v3
	v_mul_lo_u32 v4, s7, v3
	v_and_b32_e32 v8, 7, v9
	s_waitcnt lgkmcnt(0)
	s_add_u32 s2, s2, s4
	s_addc_u32 s3, s3, s5
	s_ashr_i32 s8, s34, 31
	v_mad_u64_u32 v[2:3], s[4:5], s6, v3, 0
	s_mul_i32 s4, s6, s8
	s_nop 0
	v_add3_u32 v3, v3, s4, v4
	v_lshrrev_b32_e32 v1, 3, v0
	v_lshl_add_u64 v[12:13], v[2:3], 3, s[2:3]
	v_lshlrev_b32_e32 v2, 3, v8
	v_add_u32_e32 v0, s35, v1
	v_lshl_or_b32 v1, v1, 6, v2
	v_add_u32_e32 v21, 0x800, v1
	v_ashrrev_i32_e32 v1, 31, v0
	v_cmp_gt_i32_e64 s[2:3], s33, v0
	v_lshl_add_u64 v[14:15], v[0:1], 3, s[10:11]
	v_mov_b32_e32 v0, 0x800
	v_lshlrev_b32_e32 v23, 3, v9
	v_lshl_add_u32 v25, v11, 6, v0
	v_mov_b32_e32 v17, 0
	s_mov_b64 s[4:5], 0
	v_mov_b32_e32 v20, 0
	v_mov_b32_e32 v18, 0
	;; [unrolled: 1-line block ×8, first 2 shown]
	s_branch .LBB526_8
.LBB526_7:                              ;   in Loop: Header=BB526_8 Depth=1
	s_or_b64 exec, exec, s[6:7]
	s_waitcnt vmcnt(0) lgkmcnt(0)
	ds_write_b64 v21, v[0:1]
	s_waitcnt lgkmcnt(0)
	s_barrier
	ds_read2_b64 v[34:37], v23 offset1:16
	ds_read_b128 v[38:41], v25
	ds_read_b128 v[42:45], v25 offset:16
	ds_read_b128 v[4:7], v25 offset:32
	;; [unrolled: 1-line block ×3, first 2 shown]
	s_add_u32 s4, s4, 8
	s_waitcnt lgkmcnt(3)
	v_mul_f32_e32 v16, v39, v35
	v_mul_f32_e32 v27, v38, v35
	v_fma_f32 v16, v38, v34, -v16
	v_fmac_f32_e32 v27, v39, v34
	v_add_f32_e32 v16, v30, v16
	v_add_f32_e32 v50, v32, v27
	ds_read_b128 v[30:33], v25 offset:1024
	v_mul_f32_e32 v27, v39, v37
	v_mul_f32_e32 v29, v38, v37
	v_fma_f32 v27, v38, v36, -v27
	v_fmac_f32_e32 v29, v39, v36
	v_add_f32_e32 v38, v26, v27
	v_add_f32_e32 v39, v28, v29
	ds_read_b128 v[26:29], v25 offset:1040
	s_waitcnt lgkmcnt(1)
	v_mul_f32_e32 v46, v31, v35
	v_fma_f32 v46, v30, v34, -v46
	v_add_f32_e32 v22, v22, v46
	ds_read2_b64 v[46:49], v23 offset0:32 offset1:48
	v_mul_f32_e32 v35, v30, v35
	v_fmac_f32_e32 v35, v31, v34
	v_mul_f32_e32 v34, v31, v37
	v_fma_f32 v34, v30, v36, -v34
	v_mul_f32_e32 v30, v30, v37
	v_fmac_f32_e32 v30, v31, v36
	v_add_f32_e32 v20, v20, v30
	s_waitcnt lgkmcnt(0)
	v_mul_f32_e32 v30, v41, v47
	v_mul_f32_e32 v31, v40, v47
	v_fma_f32 v30, v40, v46, -v30
	v_fmac_f32_e32 v31, v41, v46
	v_add_f32_e32 v18, v18, v34
	v_add_f32_e32 v16, v16, v30
	;; [unrolled: 1-line block ×3, first 2 shown]
	v_mul_f32_e32 v31, v41, v49
	v_mul_f32_e32 v34, v40, v49
	v_fma_f32 v31, v40, v48, -v31
	v_fmac_f32_e32 v34, v41, v48
	v_add_f32_e32 v31, v38, v31
	v_add_f32_e32 v38, v39, v34
	v_mul_f32_e32 v34, v33, v47
	v_add_f32_e32 v24, v24, v35
	v_fma_f32 v34, v32, v46, -v34
	v_mul_f32_e32 v35, v32, v47
	v_fmac_f32_e32 v35, v33, v46
	v_add_f32_e32 v22, v22, v34
	v_mul_f32_e32 v34, v33, v49
	v_add_f32_e32 v24, v24, v35
	v_fma_f32 v39, v32, v48, -v34
	ds_read2_b64 v[34:37], v23 offset0:64 offset1:80
	v_mul_f32_e32 v32, v32, v49
	v_fmac_f32_e32 v32, v33, v48
	v_add_f32_e32 v18, v18, v39
	v_add_f32_e32 v20, v20, v32
	s_waitcnt lgkmcnt(0)
	v_mul_f32_e32 v33, v42, v35
	v_fmac_f32_e32 v33, v43, v34
	v_add_f32_e32 v39, v30, v33
	v_mul_f32_e32 v30, v43, v37
	v_mul_f32_e32 v32, v43, v35
	v_fma_f32 v30, v42, v36, -v30
	v_fma_f32 v32, v42, v34, -v32
	v_add_f32_e32 v40, v31, v30
	v_mul_f32_e32 v30, v27, v35
	v_add_f32_e32 v16, v16, v32
	v_mul_f32_e32 v32, v42, v37
	v_fma_f32 v30, v26, v34, -v30
	v_mul_f32_e32 v31, v26, v35
	v_fmac_f32_e32 v32, v43, v36
	v_fmac_f32_e32 v31, v27, v34
	v_add_f32_e32 v22, v22, v30
	v_mul_f32_e32 v30, v27, v37
	v_add_f32_e32 v38, v38, v32
	v_add_f32_e32 v24, v24, v31
	v_fma_f32 v34, v26, v36, -v30
	ds_read2_b64 v[30:33], v23 offset0:96 offset1:112
	v_mul_f32_e32 v26, v26, v37
	v_fmac_f32_e32 v26, v27, v36
	v_add_f32_e32 v20, v20, v26
	v_add_f32_e32 v18, v18, v34
	s_waitcnt lgkmcnt(0)
	v_mul_f32_e32 v26, v45, v31
	v_mul_f32_e32 v27, v44, v31
	v_fma_f32 v26, v44, v30, -v26
	v_fmac_f32_e32 v27, v45, v30
	v_add_f32_e32 v16, v16, v26
	v_add_f32_e32 v26, v39, v27
	v_mul_f32_e32 v27, v45, v33
	v_mul_f32_e32 v34, v44, v33
	v_fma_f32 v27, v44, v32, -v27
	v_fmac_f32_e32 v34, v45, v32
	v_add_f32_e32 v39, v40, v27
	v_add_f32_e32 v38, v38, v34
	v_mul_f32_e32 v27, v29, v31
	ds_read2_b64 v[34:37], v23 offset0:128 offset1:144
	v_fma_f32 v27, v28, v30, -v27
	v_add_f32_e32 v22, v22, v27
	v_mul_f32_e32 v27, v29, v33
	v_mul_f32_e32 v31, v28, v31
	v_fma_f32 v27, v28, v32, -v27
	v_mul_f32_e32 v28, v28, v33
	v_fmac_f32_e32 v28, v29, v32
	v_add_f32_e32 v20, v20, v28
	s_waitcnt lgkmcnt(0)
	v_mul_f32_e32 v28, v4, v35
	v_add_f32_e32 v18, v18, v27
	v_mul_f32_e32 v27, v5, v35
	v_fmac_f32_e32 v28, v5, v34
	v_fma_f32 v27, v4, v34, -v27
	v_add_f32_e32 v42, v26, v28
	v_mul_f32_e32 v26, v5, v37
	v_fmac_f32_e32 v31, v29, v30
	v_add_f32_e32 v16, v16, v27
	v_fma_f32 v30, v4, v36, -v26
	ds_read_b128 v[26:29], v25 offset:1056
	v_mul_f32_e32 v4, v4, v37
	v_fmac_f32_e32 v4, v5, v36
	v_add_f32_e32 v5, v39, v30
	v_add_f32_e32 v4, v38, v4
	ds_read_b128 v[38:41], v25 offset:1072
	s_waitcnt lgkmcnt(1)
	v_mul_f32_e32 v30, v27, v35
	v_add_f32_e32 v24, v24, v31
	v_fma_f32 v30, v26, v34, -v30
	v_mul_f32_e32 v31, v26, v35
	v_fmac_f32_e32 v31, v27, v34
	v_add_f32_e32 v22, v22, v30
	v_mul_f32_e32 v30, v27, v37
	v_add_f32_e32 v24, v24, v31
	v_fma_f32 v34, v26, v36, -v30
	ds_read2_b64 v[30:33], v23 offset0:160 offset1:176
	v_mul_f32_e32 v26, v26, v37
	v_fmac_f32_e32 v26, v27, v36
	v_add_f32_e32 v20, v20, v26
	v_add_f32_e32 v18, v18, v34
	s_waitcnt lgkmcnt(0)
	v_mul_f32_e32 v26, v7, v31
	v_mul_f32_e32 v27, v6, v31
	v_fma_f32 v26, v6, v30, -v26
	v_fmac_f32_e32 v27, v7, v30
	v_add_f32_e32 v16, v16, v26
	v_add_f32_e32 v26, v42, v27
	v_mul_f32_e32 v27, v7, v33
	v_fma_f32 v27, v6, v32, -v27
	v_mul_f32_e32 v6, v6, v33
	v_fmac_f32_e32 v6, v7, v32
	v_add_f32_e32 v34, v4, v6
	v_mul_f32_e32 v4, v29, v31
	v_add_f32_e32 v27, v5, v27
	v_fma_f32 v4, v28, v30, -v4
	v_mul_f32_e32 v5, v28, v31
	v_fmac_f32_e32 v5, v29, v30
	v_add_f32_e32 v22, v22, v4
	v_mul_f32_e32 v4, v29, v33
	v_add_f32_e32 v24, v24, v5
	v_fma_f32 v30, v28, v32, -v4
	ds_read2_b64 v[4:7], v23 offset0:192 offset1:208
	v_mul_f32_e32 v28, v28, v33
	v_fmac_f32_e32 v28, v29, v32
	v_add_f32_e32 v20, v20, v28
	v_add_f32_e32 v18, v18, v30
	s_waitcnt lgkmcnt(0)
	v_mul_f32_e32 v28, v1, v5
	v_fma_f32 v28, v0, v4, -v28
	v_add_f32_e32 v16, v16, v28
	v_mul_f32_e32 v28, v1, v7
	v_mul_f32_e32 v29, v0, v5
	v_fma_f32 v28, v0, v6, -v28
	v_mul_f32_e32 v0, v0, v7
	v_fmac_f32_e32 v0, v1, v6
	v_add_f32_e32 v0, v34, v0
	ds_read2_b64 v[34:37], v23 offset0:224 offset1:240
	v_fmac_f32_e32 v29, v1, v4
	v_add_f32_e32 v1, v27, v28
	v_mul_f32_e32 v27, v39, v5
	v_fma_f32 v27, v38, v4, -v27
	v_mul_f32_e32 v5, v38, v5
	v_fmac_f32_e32 v5, v39, v4
	v_add_f32_e32 v4, v22, v27
	v_mul_f32_e32 v22, v39, v7
	v_fma_f32 v22, v38, v6, -v22
	v_mul_f32_e32 v7, v38, v7
	v_fmac_f32_e32 v7, v39, v6
	v_add_f32_e32 v6, v18, v22
	s_waitcnt lgkmcnt(0)
	v_mul_f32_e32 v18, v3, v35
	v_fma_f32 v18, v2, v34, -v18
	v_add_f32_e32 v30, v16, v18
	v_mul_f32_e32 v16, v3, v37
	v_add_f32_e32 v7, v20, v7
	v_mul_f32_e32 v20, v2, v35
	v_fma_f32 v16, v2, v36, -v16
	v_mul_f32_e32 v2, v2, v37
	v_add_f32_e32 v26, v26, v29
	v_fmac_f32_e32 v20, v3, v34
	v_fmac_f32_e32 v2, v3, v36
	v_add_f32_e32 v32, v26, v20
	v_add_f32_e32 v26, v1, v16
	;; [unrolled: 1-line block ×3, first 2 shown]
	v_mul_f32_e32 v0, v41, v35
	v_mul_f32_e32 v1, v40, v35
	v_add_f32_e32 v5, v24, v5
	v_fma_f32 v0, v40, v34, -v0
	v_fmac_f32_e32 v1, v41, v34
	v_add_f32_e32 v22, v4, v0
	v_add_f32_e32 v24, v5, v1
	v_mul_f32_e32 v0, v41, v37
	v_mul_f32_e32 v1, v40, v37
	v_fma_f32 v0, v40, v36, -v0
	v_fmac_f32_e32 v1, v41, v36
	s_addc_u32 s5, s5, 0
	v_add_f32_e32 v18, v6, v0
	v_add_f32_e32 v20, v7, v1
	v_mov_b64_e32 v[0:1], s[4:5]
	v_cmp_gt_i64_e32 vcc, s[26:27], v[0:1]
	s_barrier
	s_cbranch_vccz .LBB526_14
.LBB526_8:                              ; =>This Inner Loop Header: Depth=1
	v_mov_b32_e32 v0, 0
	v_mov_b32_e32 v1, 0
	s_and_saveexec_b64 s[6:7], s[0:1]
	s_cbranch_execz .LBB526_12
; %bb.9:                                ;   in Loop: Header=BB526_8 Depth=1
	v_add_u32_e32 v16, s4, v10
	v_cmp_gt_u64_e32 vcc, s[26:27], v[16:17]
	v_mov_b32_e32 v1, 0
	v_mov_b32_e32 v0, 0
	s_and_saveexec_b64 s[8:9], vcc
	s_cbranch_execz .LBB526_11
; %bb.10:                               ;   in Loop: Header=BB526_8 Depth=1
	v_lshl_add_u64 v[0:1], v[16:17], 3, v[12:13]
	flat_load_dwordx2 v[0:1], v[0:1]
.LBB526_11:                             ;   in Loop: Header=BB526_8 Depth=1
	s_or_b64 exec, exec, s[8:9]
.LBB526_12:                             ;   in Loop: Header=BB526_8 Depth=1
	s_or_b64 exec, exec, s[6:7]
	v_add_u32_e32 v16, s4, v8
	v_cmp_gt_u64_e32 vcc, s[26:27], v[16:17]
	s_waitcnt vmcnt(0) lgkmcnt(0)
	ds_write_b64 v19, v[0:1]
	s_and_b64 s[8:9], vcc, s[2:3]
	v_mov_b32_e32 v0, 0
	v_mov_b32_e32 v1, 0
	s_and_saveexec_b64 s[6:7], s[8:9]
	s_cbranch_execz .LBB526_7
; %bb.13:                               ;   in Loop: Header=BB526_8 Depth=1
	v_mad_u64_u32 v[0:1], s[8:9], s16, v16, 0
	v_mov_b32_e32 v2, v1
	v_mad_u64_u32 v[2:3], s[8:9], s17, v16, v[2:3]
	v_mov_b32_e32 v1, v2
	v_lshl_add_u64 v[0:1], v[0:1], 3, v[14:15]
	flat_load_dwordx2 v[0:1], v[0:1]
	s_branch .LBB526_7
.LBB526_14:
	s_lshl_b64 s[0:1], s[28:29], 3
	v_add_u32_e32 v10, s35, v11
	s_waitcnt lgkmcnt(0)
	s_add_u32 s4, s12, s0
	v_ashrrev_i32_e32 v1, 31, v10
	s_addc_u32 s5, s13, s1
	v_cmp_neq_f32_e64 s[0:1], s20, 0
	s_xor_b64 s[6:7], s[24:25], -1
	v_mul_lo_u32 v1, s14, v1
	v_mul_lo_u32 v4, s15, v10
	v_mad_u64_u32 v[2:3], s[8:9], s14, v10, 0
	v_add_u32_e32 v0, s34, v9
	v_add3_u32 v3, v3, v1, v4
	s_or_b64 s[0:1], s[0:1], s[6:7]
	v_cmp_gt_i32_e64 s[2:3], s33, v10
	v_lshl_add_u64 v[4:5], v[2:3], 3, s[4:5]
	v_cmp_le_i32_e32 vcc, v0, v10
	v_cndmask_b32_e64 v2, 0, 1, s[0:1]
	s_and_b64 s[8:9], s[2:3], vcc
	v_ashrrev_i32_e32 v1, 31, v0
	v_cmp_ne_u32_e64 s[0:1], 1, v2
	s_and_saveexec_b64 s[6:7], s[8:9]
	s_cbranch_execz .LBB526_18
; %bb.15:
	v_pk_mul_f32 v[6:7], v[32:33], s[22:23] op_sel:[0,1] op_sel_hi:[0,0]
	v_pk_fma_f32 v[2:3], v[30:31], s[22:23], v[6:7] op_sel_hi:[0,1,1] neg_lo:[0,0,1] neg_hi:[0,0,1]
	v_pk_fma_f32 v[8:9], v[30:31], s[22:23], v[6:7] op_sel_hi:[0,1,1]
	s_and_b64 vcc, exec, s[0:1]
	v_lshl_add_u64 v[6:7], v[0:1], 3, v[4:5]
	s_cbranch_vccnz .LBB526_17
; %bb.16:
	flat_load_dwordx2 v[12:13], v[6:7]
	s_mov_b32 s8, s21
	v_mov_b32_e32 v3, v9
	s_waitcnt vmcnt(0) lgkmcnt(0)
	v_pk_mul_f32 v[8:9], v[12:13], s[8:9] op_sel:[1,0] op_sel_hi:[0,0]
	v_pk_fma_f32 v[14:15], v[12:13], s[20:21], v[8:9] neg_lo:[0,0,1] neg_hi:[0,0,1]
	v_pk_fma_f32 v[8:9], v[12:13], s[20:21], v[8:9] op_sel_hi:[1,0,1]
	s_nop 0
	v_mov_b32_e32 v15, v9
	v_pk_add_f32 v[2:3], v[2:3], v[14:15]
	s_nop 0
	v_mov_b32_e32 v9, v3
.LBB526_17:
	v_mov_b32_e32 v3, v9
	flat_store_dwordx2 v[6:7], v[2:3]
.LBB526_18:
	s_or_b64 exec, exec, s[6:7]
	v_add_u32_e32 v2, 16, v0
	v_cmp_le_i32_e32 vcc, v2, v10
	s_and_b64 s[6:7], s[2:3], vcc
	v_ashrrev_i32_e32 v3, 31, v2
	s_and_saveexec_b64 s[2:3], s[6:7]
	s_cbranch_execz .LBB526_22
; %bb.19:
	v_pk_mul_f32 v[8:9], v[28:29], s[22:23] op_sel:[0,1] op_sel_hi:[0,0]
	v_pk_fma_f32 v[6:7], v[26:27], s[22:23], v[8:9] op_sel_hi:[0,1,1] neg_lo:[0,0,1] neg_hi:[0,0,1]
	v_pk_fma_f32 v[8:9], v[26:27], s[22:23], v[8:9] op_sel_hi:[0,1,1]
	s_and_b64 vcc, exec, s[0:1]
	v_lshl_add_u64 v[4:5], v[2:3], 3, v[4:5]
	s_cbranch_vccnz .LBB526_21
; %bb.20:
	flat_load_dwordx2 v[12:13], v[4:5]
	s_mov_b32 s6, s21
	v_mov_b32_e32 v7, v9
	s_waitcnt vmcnt(0) lgkmcnt(0)
	v_pk_mul_f32 v[8:9], v[12:13], s[6:7] op_sel:[1,0] op_sel_hi:[0,0]
	v_pk_fma_f32 v[14:15], v[12:13], s[20:21], v[8:9] neg_lo:[0,0,1] neg_hi:[0,0,1]
	v_pk_fma_f32 v[8:9], v[12:13], s[20:21], v[8:9] op_sel_hi:[1,0,1]
	s_nop 0
	v_mov_b32_e32 v15, v9
	v_pk_add_f32 v[6:7], v[6:7], v[14:15]
	s_nop 0
	v_mov_b32_e32 v9, v7
.LBB526_21:
	v_mov_b32_e32 v7, v9
	flat_store_dwordx2 v[4:5], v[6:7]
.LBB526_22:
	s_or_b64 exec, exec, s[2:3]
	v_add_u32_e32 v10, 16, v10
	v_ashrrev_i32_e32 v4, 31, v10
	v_mul_lo_u32 v6, s14, v4
	v_mul_lo_u32 v7, s15, v10
	v_mad_u64_u32 v[4:5], s[6:7], s14, v10, 0
	v_cmp_gt_i32_e64 s[2:3], s33, v10
	v_add3_u32 v5, v5, v6, v7
	v_cmp_le_i32_e32 vcc, v0, v10
	v_lshl_add_u64 v[4:5], v[4:5], 3, s[4:5]
	s_and_b64 s[6:7], s[2:3], vcc
	s_and_saveexec_b64 s[4:5], s[6:7]
	s_cbranch_execz .LBB526_26
; %bb.23:
	v_pk_mul_f32 v[8:9], v[24:25], s[22:23] op_sel:[0,1] op_sel_hi:[0,0]
	v_pk_fma_f32 v[6:7], v[22:23], s[22:23], v[8:9] op_sel_hi:[0,1,1] neg_lo:[0,0,1] neg_hi:[0,0,1]
	v_pk_fma_f32 v[8:9], v[22:23], s[22:23], v[8:9] op_sel_hi:[0,1,1]
	s_and_b64 vcc, exec, s[0:1]
	v_lshl_add_u64 v[0:1], v[0:1], 3, v[4:5]
	s_cbranch_vccnz .LBB526_25
; %bb.24:
	flat_load_dwordx2 v[12:13], v[0:1]
	s_mov_b32 s6, s21
	v_mov_b32_e32 v7, v9
	s_waitcnt vmcnt(0) lgkmcnt(0)
	v_pk_mul_f32 v[8:9], v[12:13], s[6:7] op_sel:[1,0] op_sel_hi:[0,0]
	v_pk_fma_f32 v[14:15], v[12:13], s[20:21], v[8:9] neg_lo:[0,0,1] neg_hi:[0,0,1]
	v_pk_fma_f32 v[8:9], v[12:13], s[20:21], v[8:9] op_sel_hi:[1,0,1]
	s_nop 0
	v_mov_b32_e32 v15, v9
	v_pk_add_f32 v[6:7], v[6:7], v[14:15]
	s_nop 0
	v_mov_b32_e32 v9, v7
.LBB526_25:
	v_mov_b32_e32 v7, v9
	flat_store_dwordx2 v[0:1], v[6:7]
.LBB526_26:
	s_or_b64 exec, exec, s[4:5]
	v_cmp_le_i32_e32 vcc, v2, v10
	s_and_b64 s[2:3], s[2:3], vcc
	s_and_saveexec_b64 s[4:5], s[2:3]
	s_cbranch_execz .LBB526_30
; %bb.27:
	v_pk_mul_f32 v[6:7], v[20:21], s[22:23] op_sel:[0,1] op_sel_hi:[0,0]
	v_pk_fma_f32 v[0:1], v[18:19], s[22:23], v[6:7] op_sel_hi:[0,1,1] neg_lo:[0,0,1] neg_hi:[0,0,1]
	v_pk_fma_f32 v[6:7], v[18:19], s[22:23], v[6:7] op_sel_hi:[0,1,1]
	s_and_b64 vcc, exec, s[0:1]
	v_lshl_add_u64 v[2:3], v[2:3], 3, v[4:5]
	s_cbranch_vccnz .LBB526_29
; %bb.28:
	flat_load_dwordx2 v[4:5], v[2:3]
	s_mov_b32 s0, s21
	v_mov_b32_e32 v1, v7
	s_waitcnt vmcnt(0) lgkmcnt(0)
	v_pk_mul_f32 v[6:7], v[4:5], s[0:1] op_sel:[1,0] op_sel_hi:[0,0]
	v_pk_fma_f32 v[8:9], v[4:5], s[20:21], v[6:7] neg_lo:[0,0,1] neg_hi:[0,0,1]
	v_pk_fma_f32 v[4:5], v[4:5], s[20:21], v[6:7] op_sel_hi:[1,0,1]
	s_nop 0
	v_mov_b32_e32 v9, v5
	v_pk_add_f32 v[0:1], v[0:1], v[8:9]
	s_nop 0
	v_mov_b32_e32 v7, v1
.LBB526_29:
	v_mov_b32_e32 v1, v7
	flat_store_dwordx2 v[2:3], v[0:1]
.LBB526_30:
	s_endpgm
	.section	.rodata,"a",@progbits
	.p2align	6, 0x0
	.amdhsa_kernel _ZL29rocblas_internal_gemmt_kernelIlLi16ELi32ELi8ELc84ELc84ELc85ELb0ELb0E19rocblas_complex_numIfES1_PKPKS1_PKPS1_EviT_T9_T10_S9_lSB_S9_lSA_T11_S9_li
		.amdhsa_group_segment_fixed_size 4096
		.amdhsa_private_segment_fixed_size 0
		.amdhsa_kernarg_size 108
		.amdhsa_user_sgpr_count 2
		.amdhsa_user_sgpr_dispatch_ptr 0
		.amdhsa_user_sgpr_queue_ptr 0
		.amdhsa_user_sgpr_kernarg_segment_ptr 1
		.amdhsa_user_sgpr_dispatch_id 0
		.amdhsa_user_sgpr_kernarg_preload_length 0
		.amdhsa_user_sgpr_kernarg_preload_offset 0
		.amdhsa_user_sgpr_private_segment_size 0
		.amdhsa_uses_dynamic_stack 0
		.amdhsa_enable_private_segment 0
		.amdhsa_system_sgpr_workgroup_id_x 1
		.amdhsa_system_sgpr_workgroup_id_y 1
		.amdhsa_system_sgpr_workgroup_id_z 1
		.amdhsa_system_sgpr_workgroup_info 0
		.amdhsa_system_vgpr_workitem_id 1
		.amdhsa_next_free_vgpr 51
		.amdhsa_next_free_sgpr 36
		.amdhsa_accum_offset 52
		.amdhsa_reserve_vcc 1
		.amdhsa_float_round_mode_32 0
		.amdhsa_float_round_mode_16_64 0
		.amdhsa_float_denorm_mode_32 3
		.amdhsa_float_denorm_mode_16_64 3
		.amdhsa_dx10_clamp 1
		.amdhsa_ieee_mode 1
		.amdhsa_fp16_overflow 0
		.amdhsa_tg_split 0
		.amdhsa_exception_fp_ieee_invalid_op 0
		.amdhsa_exception_fp_denorm_src 0
		.amdhsa_exception_fp_ieee_div_zero 0
		.amdhsa_exception_fp_ieee_overflow 0
		.amdhsa_exception_fp_ieee_underflow 0
		.amdhsa_exception_fp_ieee_inexact 0
		.amdhsa_exception_int_div_zero 0
	.end_amdhsa_kernel
	.section	.text._ZL29rocblas_internal_gemmt_kernelIlLi16ELi32ELi8ELc84ELc84ELc85ELb0ELb0E19rocblas_complex_numIfES1_PKPKS1_PKPS1_EviT_T9_T10_S9_lSB_S9_lSA_T11_S9_li,"axG",@progbits,_ZL29rocblas_internal_gemmt_kernelIlLi16ELi32ELi8ELc84ELc84ELc85ELb0ELb0E19rocblas_complex_numIfES1_PKPKS1_PKPS1_EviT_T9_T10_S9_lSB_S9_lSA_T11_S9_li,comdat
.Lfunc_end526:
	.size	_ZL29rocblas_internal_gemmt_kernelIlLi16ELi32ELi8ELc84ELc84ELc85ELb0ELb0E19rocblas_complex_numIfES1_PKPKS1_PKPS1_EviT_T9_T10_S9_lSB_S9_lSA_T11_S9_li, .Lfunc_end526-_ZL29rocblas_internal_gemmt_kernelIlLi16ELi32ELi8ELc84ELc84ELc85ELb0ELb0E19rocblas_complex_numIfES1_PKPKS1_PKPS1_EviT_T9_T10_S9_lSB_S9_lSA_T11_S9_li
                                        ; -- End function
	.set _ZL29rocblas_internal_gemmt_kernelIlLi16ELi32ELi8ELc84ELc84ELc85ELb0ELb0E19rocblas_complex_numIfES1_PKPKS1_PKPS1_EviT_T9_T10_S9_lSB_S9_lSA_T11_S9_li.num_vgpr, 51
	.set _ZL29rocblas_internal_gemmt_kernelIlLi16ELi32ELi8ELc84ELc84ELc85ELb0ELb0E19rocblas_complex_numIfES1_PKPKS1_PKPS1_EviT_T9_T10_S9_lSB_S9_lSA_T11_S9_li.num_agpr, 0
	.set _ZL29rocblas_internal_gemmt_kernelIlLi16ELi32ELi8ELc84ELc84ELc85ELb0ELb0E19rocblas_complex_numIfES1_PKPKS1_PKPS1_EviT_T9_T10_S9_lSB_S9_lSA_T11_S9_li.numbered_sgpr, 36
	.set _ZL29rocblas_internal_gemmt_kernelIlLi16ELi32ELi8ELc84ELc84ELc85ELb0ELb0E19rocblas_complex_numIfES1_PKPKS1_PKPS1_EviT_T9_T10_S9_lSB_S9_lSA_T11_S9_li.num_named_barrier, 0
	.set _ZL29rocblas_internal_gemmt_kernelIlLi16ELi32ELi8ELc84ELc84ELc85ELb0ELb0E19rocblas_complex_numIfES1_PKPKS1_PKPS1_EviT_T9_T10_S9_lSB_S9_lSA_T11_S9_li.private_seg_size, 0
	.set _ZL29rocblas_internal_gemmt_kernelIlLi16ELi32ELi8ELc84ELc84ELc85ELb0ELb0E19rocblas_complex_numIfES1_PKPKS1_PKPS1_EviT_T9_T10_S9_lSB_S9_lSA_T11_S9_li.uses_vcc, 1
	.set _ZL29rocblas_internal_gemmt_kernelIlLi16ELi32ELi8ELc84ELc84ELc85ELb0ELb0E19rocblas_complex_numIfES1_PKPKS1_PKPS1_EviT_T9_T10_S9_lSB_S9_lSA_T11_S9_li.uses_flat_scratch, 0
	.set _ZL29rocblas_internal_gemmt_kernelIlLi16ELi32ELi8ELc84ELc84ELc85ELb0ELb0E19rocblas_complex_numIfES1_PKPKS1_PKPS1_EviT_T9_T10_S9_lSB_S9_lSA_T11_S9_li.has_dyn_sized_stack, 0
	.set _ZL29rocblas_internal_gemmt_kernelIlLi16ELi32ELi8ELc84ELc84ELc85ELb0ELb0E19rocblas_complex_numIfES1_PKPKS1_PKPS1_EviT_T9_T10_S9_lSB_S9_lSA_T11_S9_li.has_recursion, 0
	.set _ZL29rocblas_internal_gemmt_kernelIlLi16ELi32ELi8ELc84ELc84ELc85ELb0ELb0E19rocblas_complex_numIfES1_PKPKS1_PKPS1_EviT_T9_T10_S9_lSB_S9_lSA_T11_S9_li.has_indirect_call, 0
	.section	.AMDGPU.csdata,"",@progbits
; Kernel info:
; codeLenInByte = 2560
; TotalNumSgprs: 42
; NumVgprs: 51
; NumAgprs: 0
; TotalNumVgprs: 51
; ScratchSize: 0
; MemoryBound: 0
; FloatMode: 240
; IeeeMode: 1
; LDSByteSize: 4096 bytes/workgroup (compile time only)
; SGPRBlocks: 5
; VGPRBlocks: 6
; NumSGPRsForWavesPerEU: 42
; NumVGPRsForWavesPerEU: 51
; AccumOffset: 52
; Occupancy: 8
; WaveLimiterHint : 1
; COMPUTE_PGM_RSRC2:SCRATCH_EN: 0
; COMPUTE_PGM_RSRC2:USER_SGPR: 2
; COMPUTE_PGM_RSRC2:TRAP_HANDLER: 0
; COMPUTE_PGM_RSRC2:TGID_X_EN: 1
; COMPUTE_PGM_RSRC2:TGID_Y_EN: 1
; COMPUTE_PGM_RSRC2:TGID_Z_EN: 1
; COMPUTE_PGM_RSRC2:TIDIG_COMP_CNT: 1
; COMPUTE_PGM_RSRC3_GFX90A:ACCUM_OFFSET: 12
; COMPUTE_PGM_RSRC3_GFX90A:TG_SPLIT: 0
	.section	.text._ZL29rocblas_internal_gemmt_kernelIlLi16ELi32ELi8ELc84ELc67ELc85ELb0ELb1E19rocblas_complex_numIfES1_PKPKS1_PKPS1_EviT_T9_T10_S9_lSB_S9_lSA_T11_S9_li,"axG",@progbits,_ZL29rocblas_internal_gemmt_kernelIlLi16ELi32ELi8ELc84ELc67ELc85ELb0ELb1E19rocblas_complex_numIfES1_PKPKS1_PKPS1_EviT_T9_T10_S9_lSB_S9_lSA_T11_S9_li,comdat
	.globl	_ZL29rocblas_internal_gemmt_kernelIlLi16ELi32ELi8ELc84ELc67ELc85ELb0ELb1E19rocblas_complex_numIfES1_PKPKS1_PKPS1_EviT_T9_T10_S9_lSB_S9_lSA_T11_S9_li ; -- Begin function _ZL29rocblas_internal_gemmt_kernelIlLi16ELi32ELi8ELc84ELc67ELc85ELb0ELb1E19rocblas_complex_numIfES1_PKPKS1_PKPS1_EviT_T9_T10_S9_lSB_S9_lSA_T11_S9_li
	.p2align	8
	.type	_ZL29rocblas_internal_gemmt_kernelIlLi16ELi32ELi8ELc84ELc67ELc85ELb0ELb1E19rocblas_complex_numIfES1_PKPKS1_PKPS1_EviT_T9_T10_S9_lSB_S9_lSA_T11_S9_li,@function
_ZL29rocblas_internal_gemmt_kernelIlLi16ELi32ELi8ELc84ELc67ELc85ELb0ELb1E19rocblas_complex_numIfES1_PKPKS1_PKPS1_EviT_T9_T10_S9_lSB_S9_lSA_T11_S9_li: ; @_ZL29rocblas_internal_gemmt_kernelIlLi16ELi32ELi8ELc84ELc67ELc85ELb0ELb1E19rocblas_complex_numIfES1_PKPKS1_PKPS1_EviT_T9_T10_S9_lSB_S9_lSA_T11_S9_li
; %bb.0:
	s_load_dwordx2 s[20:21], s[0:1], 0x48
	s_load_dwordx2 s[22:23], s[0:1], 0x10
	s_waitcnt lgkmcnt(0)
	s_and_b32 s5, s21, 0x7fffffff
	s_cmp_eq_u32 s5, 0
	v_cmp_eq_f32_e64 s[6:7], s20, 1.0
	s_cselect_b64 s[24:25], -1, 0
	s_and_b64 s[6:7], s[6:7], s[24:25]
	s_and_b64 vcc, exec, s[6:7]
	s_cbranch_vccnz .LBB527_2
; %bb.1:
	s_mov_b64 s[6:7], -1
	s_load_dwordx2 s[26:27], s[0:1], 0x8
	s_cbranch_execz .LBB527_3
	s_branch .LBB527_4
.LBB527_2:
	s_mov_b64 s[6:7], 0
	s_load_dwordx2 s[26:27], s[0:1], 0x8
.LBB527_3:
	s_waitcnt lgkmcnt(0)
	s_cmp_lg_u64 s[26:27], 0
	v_cmp_neq_f32_e64 s[8:9], s22, 0
	v_cmp_neq_f32_e64 s[10:11], s23, 0
	s_cselect_b64 s[6:7], -1, 0
	s_or_b64 s[8:9], s[8:9], s[10:11]
	s_and_b64 s[6:7], s[6:7], s[8:9]
.LBB527_4:
	s_andn2_b64 vcc, exec, s[6:7]
	s_cbranch_vccnz .LBB527_32
; %bb.5:
	s_load_dwordx2 s[28:29], s[0:1], 0x60
	s_load_dword s33, s[0:1], 0x0
	s_load_dwordx4 s[12:15], s[0:1], 0x50
	s_mov_b32 s5, 0
	s_lshl_b64 s[30:31], s[4:5], 3
	v_and_b32_e32 v9, 0x3ff, v0
	v_bfe_u32 v11, v0, 10, 10
	s_waitcnt lgkmcnt(0)
	s_add_u32 s4, s12, s30
	s_addc_u32 s5, s13, s31
	s_load_dwordx2 s[12:13], s[4:5], 0x0
	s_lshl_b32 s34, s2, 5
	s_lshl_b32 s35, s3, 5
	v_cmp_eq_f32_e64 s[2:3], s22, 0
	v_cmp_eq_f32_e64 s[4:5], s23, 0
	s_and_b64 s[2:3], s[2:3], s[4:5]
	v_cmp_lt_i64_e64 s[4:5], s[26:27], 1
	s_or_b64 s[2:3], s[2:3], s[4:5]
	v_mov_b32_e32 v30, 0
	s_and_b64 vcc, exec, s[2:3]
	v_mov_b32_e32 v32, 0
	v_mov_b32_e32 v26, 0
	;; [unrolled: 1-line block ×7, first 2 shown]
	s_cbranch_vccnz .LBB527_16
; %bb.6:
	s_load_dwordx8 s[4:11], s[0:1], 0x18
	s_load_dwordx4 s[16:19], s[0:1], 0x38
	v_lshl_add_u32 v0, v11, 4, v9
	v_and_b32_e32 v2, 31, v0
	v_lshrrev_b32_e32 v10, 5, v0
	s_waitcnt lgkmcnt(0)
	s_add_u32 s0, s10, s30
	s_addc_u32 s1, s11, s31
	s_load_dwordx2 s[0:1], s[0:1], 0x0
	s_lshl_b64 s[2:3], s[18:19], 3
	v_or_b32_e32 v3, s34, v2
	v_lshlrev_b32_e32 v2, 3, v2
	v_lshl_or_b32 v19, v10, 8, v2
	s_waitcnt lgkmcnt(0)
	s_add_u32 s2, s0, s2
	s_addc_u32 s3, s1, s3
	s_add_u32 s0, s4, s30
	s_addc_u32 s1, s5, s31
	s_load_dwordx2 s[4:5], s[0:1], 0x0
	s_lshl_b64 s[8:9], s[8:9], 3
	v_cmp_gt_i32_e64 s[0:1], s33, v3
	v_mul_lo_u32 v4, s7, v3
	v_and_b32_e32 v8, 7, v9
	s_waitcnt lgkmcnt(0)
	s_add_u32 s4, s4, s8
	s_addc_u32 s5, s5, s9
	s_ashr_i32 s10, s34, 31
	v_mad_u64_u32 v[2:3], s[8:9], s6, v3, 0
	s_mul_i32 s6, s6, s10
	v_add3_u32 v3, v3, s6, v4
	v_lshrrev_b32_e32 v1, 3, v0
	v_lshl_add_u64 v[12:13], v[2:3], 3, s[4:5]
	v_lshlrev_b32_e32 v2, 3, v8
	v_add_u32_e32 v0, s35, v1
	v_lshl_or_b32 v1, v1, 6, v2
	v_add_u32_e32 v21, 0x800, v1
	v_ashrrev_i32_e32 v1, 31, v0
	v_cmp_gt_i32_e32 vcc, s33, v0
	v_lshl_add_u64 v[14:15], v[0:1], 3, s[2:3]
	v_mov_b32_e32 v0, 0x800
	v_lshlrev_b32_e32 v23, 3, v9
	v_lshl_add_u32 v25, v11, 6, v0
	v_mov_b32_e32 v17, 0
	s_mov_b64 s[2:3], 0
	s_xor_b64 s[4:5], vcc, -1
	v_mov_b32_e32 v20, 0
	v_mov_b32_e32 v18, 0
	;; [unrolled: 1-line block ×8, first 2 shown]
	s_branch .LBB527_8
.LBB527_7:                              ;   in Loop: Header=BB527_8 Depth=1
	s_or_b64 exec, exec, s[6:7]
	ds_write_b32 v21, v0 offset:4
	s_waitcnt lgkmcnt(0)
	s_barrier
	ds_read2_b64 v[34:37], v23 offset1:16
	ds_read_b128 v[38:41], v25
	ds_read_b128 v[42:45], v25 offset:16
	ds_read_b128 v[4:7], v25 offset:32
	;; [unrolled: 1-line block ×3, first 2 shown]
	s_add_u32 s2, s2, 8
	s_waitcnt lgkmcnt(3)
	v_mul_f32_e32 v16, v39, v35
	v_mul_f32_e32 v27, v38, v35
	v_fma_f32 v16, v38, v34, -v16
	v_fmac_f32_e32 v27, v39, v34
	v_add_f32_e32 v16, v30, v16
	v_add_f32_e32 v50, v32, v27
	ds_read_b128 v[30:33], v25 offset:1024
	v_mul_f32_e32 v27, v39, v37
	v_mul_f32_e32 v29, v38, v37
	v_fma_f32 v27, v38, v36, -v27
	v_fmac_f32_e32 v29, v39, v36
	v_add_f32_e32 v38, v26, v27
	v_add_f32_e32 v39, v28, v29
	ds_read_b128 v[26:29], v25 offset:1040
	s_waitcnt lgkmcnt(1)
	v_mul_f32_e32 v46, v31, v35
	v_fma_f32 v46, v30, v34, -v46
	v_add_f32_e32 v22, v22, v46
	ds_read2_b64 v[46:49], v23 offset0:32 offset1:48
	v_mul_f32_e32 v35, v30, v35
	v_fmac_f32_e32 v35, v31, v34
	v_mul_f32_e32 v34, v31, v37
	v_fma_f32 v34, v30, v36, -v34
	v_mul_f32_e32 v30, v30, v37
	v_fmac_f32_e32 v30, v31, v36
	v_add_f32_e32 v20, v20, v30
	s_waitcnt lgkmcnt(0)
	v_mul_f32_e32 v30, v41, v47
	v_mul_f32_e32 v31, v40, v47
	v_fma_f32 v30, v40, v46, -v30
	v_fmac_f32_e32 v31, v41, v46
	v_add_f32_e32 v18, v18, v34
	v_add_f32_e32 v16, v16, v30
	;; [unrolled: 1-line block ×3, first 2 shown]
	v_mul_f32_e32 v31, v41, v49
	v_mul_f32_e32 v34, v40, v49
	v_fma_f32 v31, v40, v48, -v31
	v_fmac_f32_e32 v34, v41, v48
	v_add_f32_e32 v31, v38, v31
	v_add_f32_e32 v38, v39, v34
	v_mul_f32_e32 v34, v33, v47
	v_add_f32_e32 v24, v24, v35
	v_fma_f32 v34, v32, v46, -v34
	v_mul_f32_e32 v35, v32, v47
	v_fmac_f32_e32 v35, v33, v46
	v_add_f32_e32 v22, v22, v34
	v_mul_f32_e32 v34, v33, v49
	v_add_f32_e32 v24, v24, v35
	v_fma_f32 v39, v32, v48, -v34
	ds_read2_b64 v[34:37], v23 offset0:64 offset1:80
	v_mul_f32_e32 v32, v32, v49
	v_fmac_f32_e32 v32, v33, v48
	v_add_f32_e32 v18, v18, v39
	v_add_f32_e32 v20, v20, v32
	s_waitcnt lgkmcnt(0)
	v_mul_f32_e32 v33, v42, v35
	v_fmac_f32_e32 v33, v43, v34
	v_add_f32_e32 v39, v30, v33
	v_mul_f32_e32 v30, v43, v37
	v_mul_f32_e32 v32, v43, v35
	v_fma_f32 v30, v42, v36, -v30
	v_fma_f32 v32, v42, v34, -v32
	v_add_f32_e32 v40, v31, v30
	v_mul_f32_e32 v30, v27, v35
	v_add_f32_e32 v16, v16, v32
	v_mul_f32_e32 v32, v42, v37
	v_fma_f32 v30, v26, v34, -v30
	v_mul_f32_e32 v31, v26, v35
	v_fmac_f32_e32 v32, v43, v36
	v_fmac_f32_e32 v31, v27, v34
	v_add_f32_e32 v22, v22, v30
	v_mul_f32_e32 v30, v27, v37
	v_add_f32_e32 v38, v38, v32
	v_add_f32_e32 v24, v24, v31
	v_fma_f32 v34, v26, v36, -v30
	ds_read2_b64 v[30:33], v23 offset0:96 offset1:112
	v_mul_f32_e32 v26, v26, v37
	v_fmac_f32_e32 v26, v27, v36
	v_add_f32_e32 v20, v20, v26
	v_add_f32_e32 v18, v18, v34
	s_waitcnt lgkmcnt(0)
	v_mul_f32_e32 v26, v45, v31
	v_mul_f32_e32 v27, v44, v31
	v_fma_f32 v26, v44, v30, -v26
	v_fmac_f32_e32 v27, v45, v30
	v_add_f32_e32 v16, v16, v26
	v_add_f32_e32 v26, v39, v27
	v_mul_f32_e32 v27, v45, v33
	v_mul_f32_e32 v34, v44, v33
	v_fma_f32 v27, v44, v32, -v27
	v_fmac_f32_e32 v34, v45, v32
	v_add_f32_e32 v39, v40, v27
	v_add_f32_e32 v38, v38, v34
	v_mul_f32_e32 v27, v29, v31
	ds_read2_b64 v[34:37], v23 offset0:128 offset1:144
	v_fma_f32 v27, v28, v30, -v27
	v_add_f32_e32 v22, v22, v27
	v_mul_f32_e32 v27, v29, v33
	v_mul_f32_e32 v31, v28, v31
	v_fma_f32 v27, v28, v32, -v27
	v_mul_f32_e32 v28, v28, v33
	v_fmac_f32_e32 v28, v29, v32
	v_add_f32_e32 v20, v20, v28
	s_waitcnt lgkmcnt(0)
	v_mul_f32_e32 v28, v4, v35
	v_add_f32_e32 v18, v18, v27
	v_mul_f32_e32 v27, v5, v35
	v_fmac_f32_e32 v28, v5, v34
	v_fma_f32 v27, v4, v34, -v27
	v_add_f32_e32 v42, v26, v28
	v_mul_f32_e32 v26, v5, v37
	v_fmac_f32_e32 v31, v29, v30
	v_add_f32_e32 v16, v16, v27
	v_fma_f32 v30, v4, v36, -v26
	ds_read_b128 v[26:29], v25 offset:1056
	v_mul_f32_e32 v4, v4, v37
	v_fmac_f32_e32 v4, v5, v36
	v_add_f32_e32 v5, v39, v30
	v_add_f32_e32 v4, v38, v4
	ds_read_b128 v[38:41], v25 offset:1072
	s_waitcnt lgkmcnt(1)
	v_mul_f32_e32 v30, v27, v35
	v_add_f32_e32 v24, v24, v31
	v_fma_f32 v30, v26, v34, -v30
	v_mul_f32_e32 v31, v26, v35
	v_fmac_f32_e32 v31, v27, v34
	v_add_f32_e32 v22, v22, v30
	v_mul_f32_e32 v30, v27, v37
	v_add_f32_e32 v24, v24, v31
	v_fma_f32 v34, v26, v36, -v30
	ds_read2_b64 v[30:33], v23 offset0:160 offset1:176
	v_mul_f32_e32 v26, v26, v37
	v_fmac_f32_e32 v26, v27, v36
	v_add_f32_e32 v20, v20, v26
	v_add_f32_e32 v18, v18, v34
	s_waitcnt lgkmcnt(0)
	v_mul_f32_e32 v26, v7, v31
	v_mul_f32_e32 v27, v6, v31
	v_fma_f32 v26, v6, v30, -v26
	v_fmac_f32_e32 v27, v7, v30
	v_add_f32_e32 v16, v16, v26
	v_add_f32_e32 v26, v42, v27
	v_mul_f32_e32 v27, v7, v33
	v_fma_f32 v27, v6, v32, -v27
	v_mul_f32_e32 v6, v6, v33
	v_fmac_f32_e32 v6, v7, v32
	v_add_f32_e32 v34, v4, v6
	v_mul_f32_e32 v4, v29, v31
	v_add_f32_e32 v27, v5, v27
	v_fma_f32 v4, v28, v30, -v4
	v_mul_f32_e32 v5, v28, v31
	v_fmac_f32_e32 v5, v29, v30
	v_add_f32_e32 v22, v22, v4
	v_mul_f32_e32 v4, v29, v33
	v_add_f32_e32 v24, v24, v5
	v_fma_f32 v30, v28, v32, -v4
	ds_read2_b64 v[4:7], v23 offset0:192 offset1:208
	v_mul_f32_e32 v28, v28, v33
	v_fmac_f32_e32 v28, v29, v32
	v_add_f32_e32 v20, v20, v28
	v_add_f32_e32 v18, v18, v30
	s_waitcnt lgkmcnt(0)
	v_mul_f32_e32 v28, v1, v5
	v_fma_f32 v28, v0, v4, -v28
	v_add_f32_e32 v16, v16, v28
	v_mul_f32_e32 v28, v1, v7
	v_mul_f32_e32 v29, v0, v5
	v_fma_f32 v28, v0, v6, -v28
	v_mul_f32_e32 v0, v0, v7
	v_fmac_f32_e32 v0, v1, v6
	v_add_f32_e32 v0, v34, v0
	ds_read2_b64 v[34:37], v23 offset0:224 offset1:240
	v_fmac_f32_e32 v29, v1, v4
	v_add_f32_e32 v1, v27, v28
	v_mul_f32_e32 v27, v39, v5
	v_fma_f32 v27, v38, v4, -v27
	v_mul_f32_e32 v5, v38, v5
	v_fmac_f32_e32 v5, v39, v4
	v_add_f32_e32 v4, v22, v27
	v_mul_f32_e32 v22, v39, v7
	v_fma_f32 v22, v38, v6, -v22
	v_mul_f32_e32 v7, v38, v7
	v_fmac_f32_e32 v7, v39, v6
	v_add_f32_e32 v6, v18, v22
	s_waitcnt lgkmcnt(0)
	v_mul_f32_e32 v18, v3, v35
	v_fma_f32 v18, v2, v34, -v18
	v_add_f32_e32 v30, v16, v18
	v_mul_f32_e32 v16, v3, v37
	v_add_f32_e32 v7, v20, v7
	v_mul_f32_e32 v20, v2, v35
	v_fma_f32 v16, v2, v36, -v16
	v_mul_f32_e32 v2, v2, v37
	v_add_f32_e32 v26, v26, v29
	v_fmac_f32_e32 v20, v3, v34
	v_fmac_f32_e32 v2, v3, v36
	v_add_f32_e32 v32, v26, v20
	v_add_f32_e32 v26, v1, v16
	;; [unrolled: 1-line block ×3, first 2 shown]
	v_mul_f32_e32 v0, v41, v35
	v_mul_f32_e32 v1, v40, v35
	v_add_f32_e32 v5, v24, v5
	v_fma_f32 v0, v40, v34, -v0
	v_fmac_f32_e32 v1, v41, v34
	v_add_f32_e32 v22, v4, v0
	v_add_f32_e32 v24, v5, v1
	v_mul_f32_e32 v0, v41, v37
	v_mul_f32_e32 v1, v40, v37
	v_fma_f32 v0, v40, v36, -v0
	v_fmac_f32_e32 v1, v41, v36
	s_addc_u32 s3, s3, 0
	v_add_f32_e32 v18, v6, v0
	v_add_f32_e32 v20, v7, v1
	v_mov_b64_e32 v[0:1], s[2:3]
	v_cmp_gt_i64_e32 vcc, s[26:27], v[0:1]
	s_barrier
	s_cbranch_vccz .LBB527_16
.LBB527_8:                              ; =>This Inner Loop Header: Depth=1
	v_mov_b32_e32 v0, 0
	v_mov_b32_e32 v1, 0
	s_and_saveexec_b64 s[6:7], s[0:1]
	s_cbranch_execz .LBB527_12
; %bb.9:                                ;   in Loop: Header=BB527_8 Depth=1
	v_add_u32_e32 v16, s2, v10
	v_cmp_gt_u64_e32 vcc, s[26:27], v[16:17]
	v_mov_b32_e32 v1, 0
	v_mov_b32_e32 v0, 0
	s_and_saveexec_b64 s[8:9], vcc
	s_cbranch_execz .LBB527_11
; %bb.10:                               ;   in Loop: Header=BB527_8 Depth=1
	v_lshl_add_u64 v[0:1], v[16:17], 3, v[12:13]
	flat_load_dwordx2 v[0:1], v[0:1]
.LBB527_11:                             ;   in Loop: Header=BB527_8 Depth=1
	s_or_b64 exec, exec, s[8:9]
.LBB527_12:                             ;   in Loop: Header=BB527_8 Depth=1
	s_or_b64 exec, exec, s[6:7]
	v_add_u32_e32 v16, s2, v8
	v_cmp_le_u64_e32 vcc, s[26:27], v[16:17]
	s_or_b64 s[6:7], vcc, s[4:5]
	s_waitcnt vmcnt(0) lgkmcnt(0)
	ds_write_b64 v19, v[0:1]
	s_and_saveexec_b64 s[8:9], s[6:7]
	s_xor_b64 s[6:7], exec, s[8:9]
; %bb.13:                               ;   in Loop: Header=BB527_8 Depth=1
	ds_write_b32 v21, v17
; %bb.14:                               ;   in Loop: Header=BB527_8 Depth=1
	s_or_saveexec_b64 s[6:7], s[6:7]
	v_mov_b32_e32 v0, 0
	s_xor_b64 exec, exec, s[6:7]
	s_cbranch_execz .LBB527_7
; %bb.15:                               ;   in Loop: Header=BB527_8 Depth=1
	v_mad_u64_u32 v[0:1], s[8:9], s16, v16, 0
	v_mov_b32_e32 v2, v1
	v_mad_u64_u32 v[2:3], s[8:9], s17, v16, v[2:3]
	v_mov_b32_e32 v1, v2
	v_lshl_add_u64 v[0:1], v[0:1], 3, v[14:15]
	flat_load_dwordx2 v[2:3], v[0:1]
	s_waitcnt vmcnt(0) lgkmcnt(0)
	v_xor_b32_e32 v0, 0x80000000, v3
	ds_write_b32 v21, v2
	s_branch .LBB527_7
.LBB527_16:
	s_lshl_b64 s[0:1], s[28:29], 3
	v_add_u32_e32 v10, s35, v11
	s_waitcnt lgkmcnt(0)
	s_add_u32 s4, s12, s0
	v_ashrrev_i32_e32 v1, 31, v10
	s_addc_u32 s5, s13, s1
	v_cmp_neq_f32_e64 s[0:1], s20, 0
	s_xor_b64 s[6:7], s[24:25], -1
	v_mul_lo_u32 v1, s14, v1
	v_mul_lo_u32 v4, s15, v10
	v_mad_u64_u32 v[2:3], s[8:9], s14, v10, 0
	v_add_u32_e32 v0, s34, v9
	v_add3_u32 v3, v3, v1, v4
	s_or_b64 s[0:1], s[0:1], s[6:7]
	v_cmp_gt_i32_e64 s[2:3], s33, v10
	v_lshl_add_u64 v[4:5], v[2:3], 3, s[4:5]
	v_cmp_le_i32_e32 vcc, v0, v10
	v_cndmask_b32_e64 v2, 0, 1, s[0:1]
	s_and_b64 s[8:9], s[2:3], vcc
	v_ashrrev_i32_e32 v1, 31, v0
	v_cmp_ne_u32_e64 s[0:1], 1, v2
	s_and_saveexec_b64 s[6:7], s[8:9]
	s_cbranch_execz .LBB527_20
; %bb.17:
	v_pk_mul_f32 v[6:7], v[32:33], s[22:23] op_sel:[0,1] op_sel_hi:[0,0]
	v_pk_fma_f32 v[2:3], v[30:31], s[22:23], v[6:7] op_sel_hi:[0,1,1] neg_lo:[0,0,1] neg_hi:[0,0,1]
	v_pk_fma_f32 v[8:9], v[30:31], s[22:23], v[6:7] op_sel_hi:[0,1,1]
	s_and_b64 vcc, exec, s[0:1]
	v_lshl_add_u64 v[6:7], v[0:1], 3, v[4:5]
	s_cbranch_vccnz .LBB527_19
; %bb.18:
	flat_load_dwordx2 v[12:13], v[6:7]
	s_mov_b32 s8, s21
	v_mov_b32_e32 v3, v9
	s_waitcnt vmcnt(0) lgkmcnt(0)
	v_pk_mul_f32 v[8:9], v[12:13], s[8:9] op_sel:[1,0] op_sel_hi:[0,0]
	v_pk_fma_f32 v[14:15], v[12:13], s[20:21], v[8:9] neg_lo:[0,0,1] neg_hi:[0,0,1]
	v_pk_fma_f32 v[8:9], v[12:13], s[20:21], v[8:9] op_sel_hi:[1,0,1]
	s_nop 0
	v_mov_b32_e32 v15, v9
	v_pk_add_f32 v[2:3], v[2:3], v[14:15]
	s_nop 0
	v_mov_b32_e32 v9, v3
.LBB527_19:
	v_mov_b32_e32 v3, v9
	flat_store_dwordx2 v[6:7], v[2:3]
.LBB527_20:
	s_or_b64 exec, exec, s[6:7]
	v_add_u32_e32 v2, 16, v0
	v_cmp_le_i32_e32 vcc, v2, v10
	s_and_b64 s[6:7], s[2:3], vcc
	v_ashrrev_i32_e32 v3, 31, v2
	s_and_saveexec_b64 s[2:3], s[6:7]
	s_cbranch_execz .LBB527_24
; %bb.21:
	v_pk_mul_f32 v[8:9], v[28:29], s[22:23] op_sel:[0,1] op_sel_hi:[0,0]
	v_pk_fma_f32 v[6:7], v[26:27], s[22:23], v[8:9] op_sel_hi:[0,1,1] neg_lo:[0,0,1] neg_hi:[0,0,1]
	v_pk_fma_f32 v[8:9], v[26:27], s[22:23], v[8:9] op_sel_hi:[0,1,1]
	s_and_b64 vcc, exec, s[0:1]
	v_lshl_add_u64 v[4:5], v[2:3], 3, v[4:5]
	s_cbranch_vccnz .LBB527_23
; %bb.22:
	flat_load_dwordx2 v[12:13], v[4:5]
	s_mov_b32 s6, s21
	v_mov_b32_e32 v7, v9
	s_waitcnt vmcnt(0) lgkmcnt(0)
	v_pk_mul_f32 v[8:9], v[12:13], s[6:7] op_sel:[1,0] op_sel_hi:[0,0]
	v_pk_fma_f32 v[14:15], v[12:13], s[20:21], v[8:9] neg_lo:[0,0,1] neg_hi:[0,0,1]
	v_pk_fma_f32 v[8:9], v[12:13], s[20:21], v[8:9] op_sel_hi:[1,0,1]
	s_nop 0
	v_mov_b32_e32 v15, v9
	v_pk_add_f32 v[6:7], v[6:7], v[14:15]
	s_nop 0
	v_mov_b32_e32 v9, v7
.LBB527_23:
	v_mov_b32_e32 v7, v9
	flat_store_dwordx2 v[4:5], v[6:7]
.LBB527_24:
	s_or_b64 exec, exec, s[2:3]
	v_add_u32_e32 v10, 16, v10
	v_ashrrev_i32_e32 v4, 31, v10
	v_mul_lo_u32 v6, s14, v4
	v_mul_lo_u32 v7, s15, v10
	v_mad_u64_u32 v[4:5], s[6:7], s14, v10, 0
	v_cmp_gt_i32_e64 s[2:3], s33, v10
	v_add3_u32 v5, v5, v6, v7
	v_cmp_le_i32_e32 vcc, v0, v10
	v_lshl_add_u64 v[4:5], v[4:5], 3, s[4:5]
	s_and_b64 s[6:7], s[2:3], vcc
	s_and_saveexec_b64 s[4:5], s[6:7]
	s_cbranch_execz .LBB527_28
; %bb.25:
	v_pk_mul_f32 v[8:9], v[24:25], s[22:23] op_sel:[0,1] op_sel_hi:[0,0]
	v_pk_fma_f32 v[6:7], v[22:23], s[22:23], v[8:9] op_sel_hi:[0,1,1] neg_lo:[0,0,1] neg_hi:[0,0,1]
	v_pk_fma_f32 v[8:9], v[22:23], s[22:23], v[8:9] op_sel_hi:[0,1,1]
	s_and_b64 vcc, exec, s[0:1]
	v_lshl_add_u64 v[0:1], v[0:1], 3, v[4:5]
	s_cbranch_vccnz .LBB527_27
; %bb.26:
	flat_load_dwordx2 v[12:13], v[0:1]
	s_mov_b32 s6, s21
	v_mov_b32_e32 v7, v9
	s_waitcnt vmcnt(0) lgkmcnt(0)
	v_pk_mul_f32 v[8:9], v[12:13], s[6:7] op_sel:[1,0] op_sel_hi:[0,0]
	v_pk_fma_f32 v[14:15], v[12:13], s[20:21], v[8:9] neg_lo:[0,0,1] neg_hi:[0,0,1]
	v_pk_fma_f32 v[8:9], v[12:13], s[20:21], v[8:9] op_sel_hi:[1,0,1]
	s_nop 0
	v_mov_b32_e32 v15, v9
	v_pk_add_f32 v[6:7], v[6:7], v[14:15]
	s_nop 0
	v_mov_b32_e32 v9, v7
.LBB527_27:
	v_mov_b32_e32 v7, v9
	flat_store_dwordx2 v[0:1], v[6:7]
.LBB527_28:
	s_or_b64 exec, exec, s[4:5]
	v_cmp_le_i32_e32 vcc, v2, v10
	s_and_b64 s[2:3], s[2:3], vcc
	s_and_saveexec_b64 s[4:5], s[2:3]
	s_cbranch_execz .LBB527_32
; %bb.29:
	v_pk_mul_f32 v[6:7], v[20:21], s[22:23] op_sel:[0,1] op_sel_hi:[0,0]
	v_pk_fma_f32 v[0:1], v[18:19], s[22:23], v[6:7] op_sel_hi:[0,1,1] neg_lo:[0,0,1] neg_hi:[0,0,1]
	v_pk_fma_f32 v[6:7], v[18:19], s[22:23], v[6:7] op_sel_hi:[0,1,1]
	s_and_b64 vcc, exec, s[0:1]
	v_lshl_add_u64 v[2:3], v[2:3], 3, v[4:5]
	s_cbranch_vccnz .LBB527_31
; %bb.30:
	flat_load_dwordx2 v[4:5], v[2:3]
	s_mov_b32 s0, s21
	v_mov_b32_e32 v1, v7
	s_waitcnt vmcnt(0) lgkmcnt(0)
	v_pk_mul_f32 v[6:7], v[4:5], s[0:1] op_sel:[1,0] op_sel_hi:[0,0]
	v_pk_fma_f32 v[8:9], v[4:5], s[20:21], v[6:7] neg_lo:[0,0,1] neg_hi:[0,0,1]
	v_pk_fma_f32 v[4:5], v[4:5], s[20:21], v[6:7] op_sel_hi:[1,0,1]
	s_nop 0
	v_mov_b32_e32 v9, v5
	v_pk_add_f32 v[0:1], v[0:1], v[8:9]
	s_nop 0
	v_mov_b32_e32 v7, v1
.LBB527_31:
	v_mov_b32_e32 v1, v7
	flat_store_dwordx2 v[2:3], v[0:1]
.LBB527_32:
	s_endpgm
	.section	.rodata,"a",@progbits
	.p2align	6, 0x0
	.amdhsa_kernel _ZL29rocblas_internal_gemmt_kernelIlLi16ELi32ELi8ELc84ELc67ELc85ELb0ELb1E19rocblas_complex_numIfES1_PKPKS1_PKPS1_EviT_T9_T10_S9_lSB_S9_lSA_T11_S9_li
		.amdhsa_group_segment_fixed_size 4096
		.amdhsa_private_segment_fixed_size 0
		.amdhsa_kernarg_size 108
		.amdhsa_user_sgpr_count 2
		.amdhsa_user_sgpr_dispatch_ptr 0
		.amdhsa_user_sgpr_queue_ptr 0
		.amdhsa_user_sgpr_kernarg_segment_ptr 1
		.amdhsa_user_sgpr_dispatch_id 0
		.amdhsa_user_sgpr_kernarg_preload_length 0
		.amdhsa_user_sgpr_kernarg_preload_offset 0
		.amdhsa_user_sgpr_private_segment_size 0
		.amdhsa_uses_dynamic_stack 0
		.amdhsa_enable_private_segment 0
		.amdhsa_system_sgpr_workgroup_id_x 1
		.amdhsa_system_sgpr_workgroup_id_y 1
		.amdhsa_system_sgpr_workgroup_id_z 1
		.amdhsa_system_sgpr_workgroup_info 0
		.amdhsa_system_vgpr_workitem_id 1
		.amdhsa_next_free_vgpr 51
		.amdhsa_next_free_sgpr 36
		.amdhsa_accum_offset 52
		.amdhsa_reserve_vcc 1
		.amdhsa_float_round_mode_32 0
		.amdhsa_float_round_mode_16_64 0
		.amdhsa_float_denorm_mode_32 3
		.amdhsa_float_denorm_mode_16_64 3
		.amdhsa_dx10_clamp 1
		.amdhsa_ieee_mode 1
		.amdhsa_fp16_overflow 0
		.amdhsa_tg_split 0
		.amdhsa_exception_fp_ieee_invalid_op 0
		.amdhsa_exception_fp_denorm_src 0
		.amdhsa_exception_fp_ieee_div_zero 0
		.amdhsa_exception_fp_ieee_overflow 0
		.amdhsa_exception_fp_ieee_underflow 0
		.amdhsa_exception_fp_ieee_inexact 0
		.amdhsa_exception_int_div_zero 0
	.end_amdhsa_kernel
	.section	.text._ZL29rocblas_internal_gemmt_kernelIlLi16ELi32ELi8ELc84ELc67ELc85ELb0ELb1E19rocblas_complex_numIfES1_PKPKS1_PKPS1_EviT_T9_T10_S9_lSB_S9_lSA_T11_S9_li,"axG",@progbits,_ZL29rocblas_internal_gemmt_kernelIlLi16ELi32ELi8ELc84ELc67ELc85ELb0ELb1E19rocblas_complex_numIfES1_PKPKS1_PKPS1_EviT_T9_T10_S9_lSB_S9_lSA_T11_S9_li,comdat
.Lfunc_end527:
	.size	_ZL29rocblas_internal_gemmt_kernelIlLi16ELi32ELi8ELc84ELc67ELc85ELb0ELb1E19rocblas_complex_numIfES1_PKPKS1_PKPS1_EviT_T9_T10_S9_lSB_S9_lSA_T11_S9_li, .Lfunc_end527-_ZL29rocblas_internal_gemmt_kernelIlLi16ELi32ELi8ELc84ELc67ELc85ELb0ELb1E19rocblas_complex_numIfES1_PKPKS1_PKPS1_EviT_T9_T10_S9_lSB_S9_lSA_T11_S9_li
                                        ; -- End function
	.set _ZL29rocblas_internal_gemmt_kernelIlLi16ELi32ELi8ELc84ELc67ELc85ELb0ELb1E19rocblas_complex_numIfES1_PKPKS1_PKPS1_EviT_T9_T10_S9_lSB_S9_lSA_T11_S9_li.num_vgpr, 51
	.set _ZL29rocblas_internal_gemmt_kernelIlLi16ELi32ELi8ELc84ELc67ELc85ELb0ELb1E19rocblas_complex_numIfES1_PKPKS1_PKPS1_EviT_T9_T10_S9_lSB_S9_lSA_T11_S9_li.num_agpr, 0
	.set _ZL29rocblas_internal_gemmt_kernelIlLi16ELi32ELi8ELc84ELc67ELc85ELb0ELb1E19rocblas_complex_numIfES1_PKPKS1_PKPS1_EviT_T9_T10_S9_lSB_S9_lSA_T11_S9_li.numbered_sgpr, 36
	.set _ZL29rocblas_internal_gemmt_kernelIlLi16ELi32ELi8ELc84ELc67ELc85ELb0ELb1E19rocblas_complex_numIfES1_PKPKS1_PKPS1_EviT_T9_T10_S9_lSB_S9_lSA_T11_S9_li.num_named_barrier, 0
	.set _ZL29rocblas_internal_gemmt_kernelIlLi16ELi32ELi8ELc84ELc67ELc85ELb0ELb1E19rocblas_complex_numIfES1_PKPKS1_PKPS1_EviT_T9_T10_S9_lSB_S9_lSA_T11_S9_li.private_seg_size, 0
	.set _ZL29rocblas_internal_gemmt_kernelIlLi16ELi32ELi8ELc84ELc67ELc85ELb0ELb1E19rocblas_complex_numIfES1_PKPKS1_PKPS1_EviT_T9_T10_S9_lSB_S9_lSA_T11_S9_li.uses_vcc, 1
	.set _ZL29rocblas_internal_gemmt_kernelIlLi16ELi32ELi8ELc84ELc67ELc85ELb0ELb1E19rocblas_complex_numIfES1_PKPKS1_PKPS1_EviT_T9_T10_S9_lSB_S9_lSA_T11_S9_li.uses_flat_scratch, 0
	.set _ZL29rocblas_internal_gemmt_kernelIlLi16ELi32ELi8ELc84ELc67ELc85ELb0ELb1E19rocblas_complex_numIfES1_PKPKS1_PKPS1_EviT_T9_T10_S9_lSB_S9_lSA_T11_S9_li.has_dyn_sized_stack, 0
	.set _ZL29rocblas_internal_gemmt_kernelIlLi16ELi32ELi8ELc84ELc67ELc85ELb0ELb1E19rocblas_complex_numIfES1_PKPKS1_PKPS1_EviT_T9_T10_S9_lSB_S9_lSA_T11_S9_li.has_recursion, 0
	.set _ZL29rocblas_internal_gemmt_kernelIlLi16ELi32ELi8ELc84ELc67ELc85ELb0ELb1E19rocblas_complex_numIfES1_PKPKS1_PKPS1_EviT_T9_T10_S9_lSB_S9_lSA_T11_S9_li.has_indirect_call, 0
	.section	.AMDGPU.csdata,"",@progbits
; Kernel info:
; codeLenInByte = 2588
; TotalNumSgprs: 42
; NumVgprs: 51
; NumAgprs: 0
; TotalNumVgprs: 51
; ScratchSize: 0
; MemoryBound: 0
; FloatMode: 240
; IeeeMode: 1
; LDSByteSize: 4096 bytes/workgroup (compile time only)
; SGPRBlocks: 5
; VGPRBlocks: 6
; NumSGPRsForWavesPerEU: 42
; NumVGPRsForWavesPerEU: 51
; AccumOffset: 52
; Occupancy: 8
; WaveLimiterHint : 1
; COMPUTE_PGM_RSRC2:SCRATCH_EN: 0
; COMPUTE_PGM_RSRC2:USER_SGPR: 2
; COMPUTE_PGM_RSRC2:TRAP_HANDLER: 0
; COMPUTE_PGM_RSRC2:TGID_X_EN: 1
; COMPUTE_PGM_RSRC2:TGID_Y_EN: 1
; COMPUTE_PGM_RSRC2:TGID_Z_EN: 1
; COMPUTE_PGM_RSRC2:TIDIG_COMP_CNT: 1
; COMPUTE_PGM_RSRC3_GFX90A:ACCUM_OFFSET: 12
; COMPUTE_PGM_RSRC3_GFX90A:TG_SPLIT: 0
	.section	.text._ZL29rocblas_internal_gemmt_kernelIlLi16ELi32ELi8ELc67ELc78ELc85ELb1ELb0E19rocblas_complex_numIfES1_PKPKS1_PKPS1_EviT_T9_T10_S9_lSB_S9_lSA_T11_S9_li,"axG",@progbits,_ZL29rocblas_internal_gemmt_kernelIlLi16ELi32ELi8ELc67ELc78ELc85ELb1ELb0E19rocblas_complex_numIfES1_PKPKS1_PKPS1_EviT_T9_T10_S9_lSB_S9_lSA_T11_S9_li,comdat
	.globl	_ZL29rocblas_internal_gemmt_kernelIlLi16ELi32ELi8ELc67ELc78ELc85ELb1ELb0E19rocblas_complex_numIfES1_PKPKS1_PKPS1_EviT_T9_T10_S9_lSB_S9_lSA_T11_S9_li ; -- Begin function _ZL29rocblas_internal_gemmt_kernelIlLi16ELi32ELi8ELc67ELc78ELc85ELb1ELb0E19rocblas_complex_numIfES1_PKPKS1_PKPS1_EviT_T9_T10_S9_lSB_S9_lSA_T11_S9_li
	.p2align	8
	.type	_ZL29rocblas_internal_gemmt_kernelIlLi16ELi32ELi8ELc67ELc78ELc85ELb1ELb0E19rocblas_complex_numIfES1_PKPKS1_PKPS1_EviT_T9_T10_S9_lSB_S9_lSA_T11_S9_li,@function
_ZL29rocblas_internal_gemmt_kernelIlLi16ELi32ELi8ELc67ELc78ELc85ELb1ELb0E19rocblas_complex_numIfES1_PKPKS1_PKPS1_EviT_T9_T10_S9_lSB_S9_lSA_T11_S9_li: ; @_ZL29rocblas_internal_gemmt_kernelIlLi16ELi32ELi8ELc67ELc78ELc85ELb1ELb0E19rocblas_complex_numIfES1_PKPKS1_PKPS1_EviT_T9_T10_S9_lSB_S9_lSA_T11_S9_li
; %bb.0:
	s_load_dwordx2 s[20:21], s[0:1], 0x48
	s_load_dwordx2 s[22:23], s[0:1], 0x10
	s_waitcnt lgkmcnt(0)
	s_and_b32 s5, s21, 0x7fffffff
	s_cmp_eq_u32 s5, 0
	v_cmp_eq_f32_e64 s[6:7], s20, 1.0
	s_cselect_b64 s[24:25], -1, 0
	s_and_b64 s[6:7], s[6:7], s[24:25]
	s_and_b64 vcc, exec, s[6:7]
	s_cbranch_vccnz .LBB528_2
; %bb.1:
	s_mov_b64 s[6:7], -1
	s_load_dwordx2 s[26:27], s[0:1], 0x8
	s_cbranch_execz .LBB528_3
	s_branch .LBB528_4
.LBB528_2:
	s_mov_b64 s[6:7], 0
	s_load_dwordx2 s[26:27], s[0:1], 0x8
.LBB528_3:
	s_waitcnt lgkmcnt(0)
	s_cmp_lg_u64 s[26:27], 0
	v_cmp_neq_f32_e64 s[8:9], s22, 0
	v_cmp_neq_f32_e64 s[10:11], s23, 0
	s_cselect_b64 s[6:7], -1, 0
	s_or_b64 s[8:9], s[8:9], s[10:11]
	s_and_b64 s[6:7], s[6:7], s[8:9]
.LBB528_4:
	s_andn2_b64 vcc, exec, s[6:7]
	s_cbranch_vccnz .LBB528_32
; %bb.5:
	s_load_dwordx2 s[28:29], s[0:1], 0x60
	s_load_dword s33, s[0:1], 0x0
	s_load_dwordx4 s[12:15], s[0:1], 0x50
	s_mov_b32 s5, 0
	s_lshl_b64 s[30:31], s[4:5], 3
	v_and_b32_e32 v9, 0x3ff, v0
	v_bfe_u32 v11, v0, 10, 10
	s_waitcnt lgkmcnt(0)
	s_add_u32 s4, s12, s30
	s_addc_u32 s5, s13, s31
	s_load_dwordx2 s[12:13], s[4:5], 0x0
	s_lshl_b32 s34, s2, 5
	s_lshl_b32 s35, s3, 5
	v_cmp_eq_f32_e64 s[2:3], s22, 0
	v_cmp_eq_f32_e64 s[4:5], s23, 0
	s_and_b64 s[2:3], s[2:3], s[4:5]
	v_cmp_lt_i64_e64 s[4:5], s[26:27], 1
	s_or_b64 s[2:3], s[2:3], s[4:5]
	v_mov_b32_e32 v32, 0
	s_and_b64 vcc, exec, s[2:3]
	v_mov_b32_e32 v34, 0
	v_mov_b32_e32 v28, 0
	;; [unrolled: 1-line block ×7, first 2 shown]
	s_cbranch_vccnz .LBB528_16
; %bb.6:
	s_load_dwordx8 s[4:11], s[0:1], 0x18
	s_load_dwordx4 s[16:19], s[0:1], 0x38
	v_lshl_add_u32 v0, v11, 4, v9
	v_lshrrev_b32_e32 v10, 5, v0
	v_lshrrev_b32_e32 v2, 3, v0
	s_waitcnt lgkmcnt(0)
	s_add_u32 s0, s10, s30
	s_addc_u32 s1, s11, s31
	s_load_dwordx2 s[0:1], s[0:1], 0x0
	s_lshl_b64 s[2:3], s[18:19], 3
	v_and_b32_e32 v0, 31, v0
	v_or_b32_e32 v1, s34, v0
	v_lshlrev_b32_e32 v0, 3, v0
	s_waitcnt lgkmcnt(0)
	s_add_u32 s10, s0, s2
	s_addc_u32 s11, s1, s3
	s_add_u32 s0, s4, s30
	s_addc_u32 s1, s5, s31
	s_load_dwordx2 s[2:3], s[0:1], 0x0
	s_lshl_b64 s[8:9], s[8:9], 3
	v_cmp_gt_i32_e64 s[0:1], s33, v1
	v_cmp_le_i32_e64 s[4:5], s33, v1
	v_lshl_or_b32 v21, v10, 8, v0
	s_waitcnt lgkmcnt(0)
	s_add_u32 s2, s2, s8
	s_addc_u32 s3, s3, s9
	s_ashr_i32 s18, s34, 31
	v_mul_lo_u32 v4, s7, v1
	v_mad_u64_u32 v[0:1], s[8:9], s6, v1, 0
	s_mul_i32 s6, s6, s18
	v_and_b32_e32 v8, 7, v9
	v_add3_u32 v1, v1, s6, v4
	v_lshl_add_u64 v[12:13], v[0:1], 3, s[2:3]
	v_lshlrev_b32_e32 v0, 3, v8
	v_add_u32_e32 v3, s35, v2
	v_lshl_or_b32 v0, v2, 6, v0
	v_add_u32_e32 v23, 0x800, v0
	v_ashrrev_i32_e32 v0, 31, v3
	v_mul_lo_u32 v2, s16, v0
	v_mul_lo_u32 v4, s17, v3
	v_mad_u64_u32 v[0:1], s[6:7], s16, v3, 0
	v_add3_u32 v1, v1, v2, v4
	v_lshl_add_u64 v[14:15], v[0:1], 3, s[10:11]
	v_mov_b32_e32 v0, 0x800
	v_cmp_gt_i32_e64 s[2:3], s33, v3
	v_lshlrev_b32_e32 v25, 3, v9
	v_lshl_add_u32 v27, v11, 6, v0
	v_mov_b32_e32 v17, 0
	s_mov_b64 s[6:7], 0
	v_mov_b32_e32 v22, 0
	v_mov_b32_e32 v20, 0
	v_mov_b32_e32 v26, 0
	v_mov_b32_e32 v24, 0
	v_mov_b32_e32 v30, 0
	v_mov_b32_e32 v28, 0
	v_mov_b32_e32 v34, 0
	v_mov_b32_e32 v32, 0
                                        ; implicit-def: $vgpr18_vgpr19
	s_branch .LBB528_8
.LBB528_7:                              ;   in Loop: Header=BB528_8 Depth=1
	s_or_b64 exec, exec, s[8:9]
	s_waitcnt vmcnt(0) lgkmcnt(0)
	ds_write_b64 v23, v[2:3]
	s_waitcnt lgkmcnt(0)
	s_barrier
	ds_read2_b64 v[36:39], v25 offset1:16
	ds_read_b128 v[40:43], v27
	ds_read_b128 v[44:47], v27 offset:16
	ds_read_b128 v[4:7], v27 offset:32
	ds_read_b128 v[0:3], v27 offset:48
	s_add_u32 s6, s6, 8
	s_waitcnt lgkmcnt(3)
	v_mul_f32_e32 v16, v41, v37
	v_mul_f32_e32 v29, v40, v37
	v_fma_f32 v16, v40, v36, -v16
	v_fmac_f32_e32 v29, v41, v36
	v_add_f32_e32 v16, v32, v16
	v_add_f32_e32 v52, v34, v29
	ds_read_b128 v[32:35], v27 offset:1024
	v_mul_f32_e32 v29, v41, v39
	v_mul_f32_e32 v31, v40, v39
	v_fma_f32 v29, v40, v38, -v29
	v_fmac_f32_e32 v31, v41, v38
	v_add_f32_e32 v40, v28, v29
	v_add_f32_e32 v41, v30, v31
	ds_read_b128 v[28:31], v27 offset:1040
	s_waitcnt lgkmcnt(1)
	v_mul_f32_e32 v48, v33, v37
	v_fma_f32 v48, v32, v36, -v48
	v_add_f32_e32 v24, v24, v48
	ds_read2_b64 v[48:51], v25 offset0:32 offset1:48
	v_mul_f32_e32 v37, v32, v37
	v_fmac_f32_e32 v37, v33, v36
	v_mul_f32_e32 v36, v33, v39
	v_fma_f32 v36, v32, v38, -v36
	v_mul_f32_e32 v32, v32, v39
	v_fmac_f32_e32 v32, v33, v38
	v_add_f32_e32 v22, v22, v32
	s_waitcnt lgkmcnt(0)
	v_mul_f32_e32 v32, v43, v49
	v_mul_f32_e32 v33, v42, v49
	v_fma_f32 v32, v42, v48, -v32
	v_fmac_f32_e32 v33, v43, v48
	v_add_f32_e32 v20, v20, v36
	v_add_f32_e32 v16, v16, v32
	;; [unrolled: 1-line block ×3, first 2 shown]
	v_mul_f32_e32 v33, v43, v51
	v_mul_f32_e32 v36, v42, v51
	v_fma_f32 v33, v42, v50, -v33
	v_fmac_f32_e32 v36, v43, v50
	v_add_f32_e32 v33, v40, v33
	v_add_f32_e32 v40, v41, v36
	v_mul_f32_e32 v36, v35, v49
	v_add_f32_e32 v26, v26, v37
	v_fma_f32 v36, v34, v48, -v36
	v_mul_f32_e32 v37, v34, v49
	v_fmac_f32_e32 v37, v35, v48
	v_add_f32_e32 v24, v24, v36
	v_mul_f32_e32 v36, v35, v51
	v_add_f32_e32 v26, v26, v37
	v_fma_f32 v41, v34, v50, -v36
	ds_read2_b64 v[36:39], v25 offset0:64 offset1:80
	v_mul_f32_e32 v34, v34, v51
	v_fmac_f32_e32 v34, v35, v50
	v_add_f32_e32 v20, v20, v41
	v_add_f32_e32 v22, v22, v34
	s_waitcnt lgkmcnt(0)
	v_mul_f32_e32 v35, v44, v37
	v_fmac_f32_e32 v35, v45, v36
	v_add_f32_e32 v41, v32, v35
	v_mul_f32_e32 v32, v45, v39
	v_mul_f32_e32 v34, v45, v37
	v_fma_f32 v32, v44, v38, -v32
	v_fma_f32 v34, v44, v36, -v34
	v_add_f32_e32 v42, v33, v32
	v_mul_f32_e32 v32, v29, v37
	v_add_f32_e32 v16, v16, v34
	v_mul_f32_e32 v34, v44, v39
	v_fma_f32 v32, v28, v36, -v32
	v_mul_f32_e32 v33, v28, v37
	v_fmac_f32_e32 v34, v45, v38
	v_fmac_f32_e32 v33, v29, v36
	v_add_f32_e32 v24, v24, v32
	v_mul_f32_e32 v32, v29, v39
	v_add_f32_e32 v40, v40, v34
	v_add_f32_e32 v26, v26, v33
	v_fma_f32 v36, v28, v38, -v32
	ds_read2_b64 v[32:35], v25 offset0:96 offset1:112
	v_mul_f32_e32 v28, v28, v39
	v_fmac_f32_e32 v28, v29, v38
	v_add_f32_e32 v22, v22, v28
	v_add_f32_e32 v20, v20, v36
	s_waitcnt lgkmcnt(0)
	v_mul_f32_e32 v28, v47, v33
	v_mul_f32_e32 v29, v46, v33
	v_fma_f32 v28, v46, v32, -v28
	v_fmac_f32_e32 v29, v47, v32
	v_add_f32_e32 v16, v16, v28
	v_add_f32_e32 v28, v41, v29
	v_mul_f32_e32 v29, v47, v35
	v_mul_f32_e32 v36, v46, v35
	v_fma_f32 v29, v46, v34, -v29
	v_fmac_f32_e32 v36, v47, v34
	v_add_f32_e32 v41, v42, v29
	v_add_f32_e32 v40, v40, v36
	v_mul_f32_e32 v29, v31, v33
	ds_read2_b64 v[36:39], v25 offset0:128 offset1:144
	v_fma_f32 v29, v30, v32, -v29
	v_add_f32_e32 v24, v24, v29
	v_mul_f32_e32 v29, v31, v35
	v_mul_f32_e32 v33, v30, v33
	v_fma_f32 v29, v30, v34, -v29
	v_mul_f32_e32 v30, v30, v35
	v_fmac_f32_e32 v30, v31, v34
	v_add_f32_e32 v22, v22, v30
	s_waitcnt lgkmcnt(0)
	v_mul_f32_e32 v30, v4, v37
	v_add_f32_e32 v20, v20, v29
	v_mul_f32_e32 v29, v5, v37
	v_fmac_f32_e32 v30, v5, v36
	v_fma_f32 v29, v4, v36, -v29
	v_add_f32_e32 v44, v28, v30
	v_mul_f32_e32 v28, v5, v39
	v_fmac_f32_e32 v33, v31, v32
	v_add_f32_e32 v16, v16, v29
	v_fma_f32 v32, v4, v38, -v28
	ds_read_b128 v[28:31], v27 offset:1056
	v_mul_f32_e32 v4, v4, v39
	v_fmac_f32_e32 v4, v5, v38
	v_add_f32_e32 v5, v41, v32
	v_add_f32_e32 v4, v40, v4
	ds_read_b128 v[40:43], v27 offset:1072
	s_waitcnt lgkmcnt(1)
	v_mul_f32_e32 v32, v29, v37
	v_add_f32_e32 v26, v26, v33
	v_fma_f32 v32, v28, v36, -v32
	v_mul_f32_e32 v33, v28, v37
	v_fmac_f32_e32 v33, v29, v36
	v_add_f32_e32 v24, v24, v32
	v_mul_f32_e32 v32, v29, v39
	v_add_f32_e32 v26, v26, v33
	v_fma_f32 v36, v28, v38, -v32
	ds_read2_b64 v[32:35], v25 offset0:160 offset1:176
	v_mul_f32_e32 v28, v28, v39
	v_fmac_f32_e32 v28, v29, v38
	v_add_f32_e32 v22, v22, v28
	v_add_f32_e32 v20, v20, v36
	s_waitcnt lgkmcnt(0)
	v_mul_f32_e32 v28, v7, v33
	v_mul_f32_e32 v29, v6, v33
	v_fma_f32 v28, v6, v32, -v28
	v_fmac_f32_e32 v29, v7, v32
	v_add_f32_e32 v16, v16, v28
	v_add_f32_e32 v28, v44, v29
	v_mul_f32_e32 v29, v7, v35
	v_fma_f32 v29, v6, v34, -v29
	v_mul_f32_e32 v6, v6, v35
	v_fmac_f32_e32 v6, v7, v34
	v_add_f32_e32 v36, v4, v6
	v_mul_f32_e32 v4, v31, v33
	v_add_f32_e32 v29, v5, v29
	v_fma_f32 v4, v30, v32, -v4
	v_mul_f32_e32 v5, v30, v33
	v_fmac_f32_e32 v5, v31, v32
	v_add_f32_e32 v24, v24, v4
	v_mul_f32_e32 v4, v31, v35
	v_add_f32_e32 v26, v26, v5
	v_fma_f32 v32, v30, v34, -v4
	ds_read2_b64 v[4:7], v25 offset0:192 offset1:208
	v_mul_f32_e32 v30, v30, v35
	v_fmac_f32_e32 v30, v31, v34
	v_add_f32_e32 v22, v22, v30
	v_add_f32_e32 v20, v20, v32
	s_waitcnt lgkmcnt(0)
	v_mul_f32_e32 v30, v1, v5
	v_fma_f32 v30, v0, v4, -v30
	v_add_f32_e32 v16, v16, v30
	v_mul_f32_e32 v30, v1, v7
	v_mul_f32_e32 v31, v0, v5
	v_fma_f32 v30, v0, v6, -v30
	v_mul_f32_e32 v0, v0, v7
	v_fmac_f32_e32 v0, v1, v6
	v_add_f32_e32 v0, v36, v0
	ds_read2_b64 v[36:39], v25 offset0:224 offset1:240
	v_fmac_f32_e32 v31, v1, v4
	v_add_f32_e32 v1, v29, v30
	v_mul_f32_e32 v29, v41, v5
	v_fma_f32 v29, v40, v4, -v29
	v_mul_f32_e32 v5, v40, v5
	v_fmac_f32_e32 v5, v41, v4
	v_add_f32_e32 v4, v24, v29
	v_mul_f32_e32 v24, v41, v7
	v_fma_f32 v24, v40, v6, -v24
	v_mul_f32_e32 v7, v40, v7
	v_fmac_f32_e32 v7, v41, v6
	v_add_f32_e32 v6, v20, v24
	s_waitcnt lgkmcnt(0)
	v_mul_f32_e32 v20, v3, v37
	v_fma_f32 v20, v2, v36, -v20
	v_add_f32_e32 v32, v16, v20
	v_mul_f32_e32 v16, v3, v39
	v_add_f32_e32 v7, v22, v7
	v_mul_f32_e32 v22, v2, v37
	v_fma_f32 v16, v2, v38, -v16
	v_mul_f32_e32 v2, v2, v39
	v_add_f32_e32 v28, v28, v31
	v_fmac_f32_e32 v22, v3, v36
	v_fmac_f32_e32 v2, v3, v38
	v_add_f32_e32 v34, v28, v22
	v_add_f32_e32 v28, v1, v16
	;; [unrolled: 1-line block ×3, first 2 shown]
	v_mul_f32_e32 v0, v43, v37
	v_mul_f32_e32 v1, v42, v37
	v_add_f32_e32 v5, v26, v5
	v_fma_f32 v0, v42, v36, -v0
	v_fmac_f32_e32 v1, v43, v36
	v_add_f32_e32 v24, v4, v0
	v_add_f32_e32 v26, v5, v1
	v_mul_f32_e32 v0, v43, v39
	v_mul_f32_e32 v1, v42, v39
	v_fma_f32 v0, v42, v38, -v0
	v_fmac_f32_e32 v1, v43, v38
	s_addc_u32 s7, s7, 0
	v_add_f32_e32 v20, v6, v0
	v_add_f32_e32 v22, v7, v1
	v_mov_b64_e32 v[0:1], s[6:7]
	v_cmp_gt_i64_e32 vcc, s[26:27], v[0:1]
	s_barrier
	s_cbranch_vccz .LBB528_16
.LBB528_8:                              ; =>This Inner Loop Header: Depth=1
	s_mov_b64 s[16:17], s[4:5]
	s_mov_b64 s[8:9], 0
	s_and_saveexec_b64 s[10:11], s[0:1]
; %bb.9:                                ;   in Loop: Header=BB528_8 Depth=1
	v_add_u32_e32 v16, s6, v10
	v_cmp_le_u64_e32 vcc, s[26:27], v[16:17]
	s_andn2_b64 s[16:17], s[4:5], exec
	s_and_b64 s[18:19], vcc, exec
	s_mov_b64 s[8:9], exec
	s_or_b64 s[16:17], s[16:17], s[18:19]
	v_mov_b64_e32 v[18:19], v[16:17]
; %bb.10:                               ;   in Loop: Header=BB528_8 Depth=1
	s_or_b64 exec, exec, s[10:11]
	s_and_saveexec_b64 s[10:11], s[16:17]
	s_xor_b64 s[10:11], exec, s[10:11]
; %bb.11:                               ;   in Loop: Header=BB528_8 Depth=1
	ds_write_b32 v21, v17
	s_andn2_b64 s[8:9], s[8:9], exec
; %bb.12:                               ;   in Loop: Header=BB528_8 Depth=1
	s_or_b64 exec, exec, s[10:11]
	v_mov_b32_e32 v2, 0
	v_mov_b32_e32 v0, 0
	s_and_saveexec_b64 s[10:11], s[8:9]
	s_cbranch_execz .LBB528_14
; %bb.13:                               ;   in Loop: Header=BB528_8 Depth=1
	v_lshl_add_u64 v[0:1], v[18:19], 3, v[12:13]
	flat_load_dwordx2 v[4:5], v[0:1]
	s_waitcnt vmcnt(0) lgkmcnt(0)
	v_xor_b32_e32 v0, 0x80000000, v5
	ds_write_b32 v21, v4
.LBB528_14:                             ;   in Loop: Header=BB528_8 Depth=1
	s_or_b64 exec, exec, s[10:11]
	v_add_u32_e32 v16, s6, v8
	v_cmp_gt_u64_e32 vcc, s[26:27], v[16:17]
	s_and_b64 s[10:11], vcc, s[2:3]
	v_mov_b32_e32 v3, 0
	ds_write_b32 v21, v0 offset:4
	s_and_saveexec_b64 s[8:9], s[10:11]
	s_cbranch_execz .LBB528_7
; %bb.15:                               ;   in Loop: Header=BB528_8 Depth=1
	v_lshl_add_u64 v[0:1], v[16:17], 3, v[14:15]
	flat_load_dwordx2 v[2:3], v[0:1]
	s_branch .LBB528_7
.LBB528_16:
	s_lshl_b64 s[0:1], s[28:29], 3
	v_add_u32_e32 v10, s35, v11
	s_waitcnt lgkmcnt(0)
	s_add_u32 s4, s12, s0
	v_ashrrev_i32_e32 v1, 31, v10
	s_addc_u32 s5, s13, s1
	v_cmp_neq_f32_e64 s[0:1], s20, 0
	s_xor_b64 s[6:7], s[24:25], -1
	v_mul_lo_u32 v1, s14, v1
	v_mul_lo_u32 v4, s15, v10
	v_mad_u64_u32 v[2:3], s[8:9], s14, v10, 0
	v_add_u32_e32 v0, s34, v9
	v_add3_u32 v3, v3, v1, v4
	s_or_b64 s[0:1], s[0:1], s[6:7]
	v_cmp_gt_i32_e64 s[2:3], s33, v10
	v_lshl_add_u64 v[4:5], v[2:3], 3, s[4:5]
	v_cmp_le_i32_e32 vcc, v0, v10
	v_cndmask_b32_e64 v2, 0, 1, s[0:1]
	s_and_b64 s[8:9], s[2:3], vcc
	v_ashrrev_i32_e32 v1, 31, v0
	v_cmp_ne_u32_e64 s[0:1], 1, v2
	s_and_saveexec_b64 s[6:7], s[8:9]
	s_cbranch_execz .LBB528_20
; %bb.17:
	v_pk_mul_f32 v[6:7], v[34:35], s[22:23] op_sel:[0,1] op_sel_hi:[0,0]
	v_pk_fma_f32 v[2:3], v[32:33], s[22:23], v[6:7] op_sel_hi:[0,1,1] neg_lo:[0,0,1] neg_hi:[0,0,1]
	v_pk_fma_f32 v[8:9], v[32:33], s[22:23], v[6:7] op_sel_hi:[0,1,1]
	s_and_b64 vcc, exec, s[0:1]
	v_lshl_add_u64 v[6:7], v[0:1], 3, v[4:5]
	s_cbranch_vccnz .LBB528_19
; %bb.18:
	flat_load_dwordx2 v[12:13], v[6:7]
	s_mov_b32 s8, s21
	v_mov_b32_e32 v3, v9
	s_waitcnt vmcnt(0) lgkmcnt(0)
	v_pk_mul_f32 v[8:9], v[12:13], s[8:9] op_sel:[1,0] op_sel_hi:[0,0]
	v_pk_fma_f32 v[14:15], v[12:13], s[20:21], v[8:9] neg_lo:[0,0,1] neg_hi:[0,0,1]
	v_pk_fma_f32 v[8:9], v[12:13], s[20:21], v[8:9] op_sel_hi:[1,0,1]
	s_nop 0
	v_mov_b32_e32 v15, v9
	v_pk_add_f32 v[2:3], v[2:3], v[14:15]
	s_nop 0
	v_mov_b32_e32 v9, v3
.LBB528_19:
	v_mov_b32_e32 v3, v9
	flat_store_dwordx2 v[6:7], v[2:3]
.LBB528_20:
	s_or_b64 exec, exec, s[6:7]
	v_add_u32_e32 v2, 16, v0
	v_cmp_le_i32_e32 vcc, v2, v10
	s_and_b64 s[6:7], s[2:3], vcc
	v_ashrrev_i32_e32 v3, 31, v2
	s_and_saveexec_b64 s[2:3], s[6:7]
	s_cbranch_execz .LBB528_24
; %bb.21:
	v_pk_mul_f32 v[8:9], v[30:31], s[22:23] op_sel:[0,1] op_sel_hi:[0,0]
	v_pk_fma_f32 v[6:7], v[28:29], s[22:23], v[8:9] op_sel_hi:[0,1,1] neg_lo:[0,0,1] neg_hi:[0,0,1]
	v_pk_fma_f32 v[8:9], v[28:29], s[22:23], v[8:9] op_sel_hi:[0,1,1]
	s_and_b64 vcc, exec, s[0:1]
	v_lshl_add_u64 v[4:5], v[2:3], 3, v[4:5]
	s_cbranch_vccnz .LBB528_23
; %bb.22:
	flat_load_dwordx2 v[12:13], v[4:5]
	s_mov_b32 s6, s21
	v_mov_b32_e32 v7, v9
	s_waitcnt vmcnt(0) lgkmcnt(0)
	v_pk_mul_f32 v[8:9], v[12:13], s[6:7] op_sel:[1,0] op_sel_hi:[0,0]
	v_pk_fma_f32 v[14:15], v[12:13], s[20:21], v[8:9] neg_lo:[0,0,1] neg_hi:[0,0,1]
	v_pk_fma_f32 v[8:9], v[12:13], s[20:21], v[8:9] op_sel_hi:[1,0,1]
	s_nop 0
	v_mov_b32_e32 v15, v9
	v_pk_add_f32 v[6:7], v[6:7], v[14:15]
	s_nop 0
	v_mov_b32_e32 v9, v7
.LBB528_23:
	v_mov_b32_e32 v7, v9
	flat_store_dwordx2 v[4:5], v[6:7]
.LBB528_24:
	s_or_b64 exec, exec, s[2:3]
	v_add_u32_e32 v10, 16, v10
	v_ashrrev_i32_e32 v4, 31, v10
	v_mul_lo_u32 v6, s14, v4
	v_mul_lo_u32 v7, s15, v10
	v_mad_u64_u32 v[4:5], s[6:7], s14, v10, 0
	v_cmp_gt_i32_e64 s[2:3], s33, v10
	v_add3_u32 v5, v5, v6, v7
	v_cmp_le_i32_e32 vcc, v0, v10
	v_lshl_add_u64 v[4:5], v[4:5], 3, s[4:5]
	s_and_b64 s[6:7], s[2:3], vcc
	s_and_saveexec_b64 s[4:5], s[6:7]
	s_cbranch_execz .LBB528_28
; %bb.25:
	v_pk_mul_f32 v[8:9], v[26:27], s[22:23] op_sel:[0,1] op_sel_hi:[0,0]
	v_pk_fma_f32 v[6:7], v[24:25], s[22:23], v[8:9] op_sel_hi:[0,1,1] neg_lo:[0,0,1] neg_hi:[0,0,1]
	v_pk_fma_f32 v[8:9], v[24:25], s[22:23], v[8:9] op_sel_hi:[0,1,1]
	s_and_b64 vcc, exec, s[0:1]
	v_lshl_add_u64 v[0:1], v[0:1], 3, v[4:5]
	s_cbranch_vccnz .LBB528_27
; %bb.26:
	flat_load_dwordx2 v[12:13], v[0:1]
	s_mov_b32 s6, s21
	v_mov_b32_e32 v7, v9
	s_waitcnt vmcnt(0) lgkmcnt(0)
	v_pk_mul_f32 v[8:9], v[12:13], s[6:7] op_sel:[1,0] op_sel_hi:[0,0]
	v_pk_fma_f32 v[14:15], v[12:13], s[20:21], v[8:9] neg_lo:[0,0,1] neg_hi:[0,0,1]
	v_pk_fma_f32 v[8:9], v[12:13], s[20:21], v[8:9] op_sel_hi:[1,0,1]
	s_nop 0
	v_mov_b32_e32 v15, v9
	v_pk_add_f32 v[6:7], v[6:7], v[14:15]
	s_nop 0
	v_mov_b32_e32 v9, v7
.LBB528_27:
	v_mov_b32_e32 v7, v9
	flat_store_dwordx2 v[0:1], v[6:7]
.LBB528_28:
	s_or_b64 exec, exec, s[4:5]
	v_cmp_le_i32_e32 vcc, v2, v10
	s_and_b64 s[2:3], s[2:3], vcc
	s_and_saveexec_b64 s[4:5], s[2:3]
	s_cbranch_execz .LBB528_32
; %bb.29:
	v_pk_mul_f32 v[6:7], v[22:23], s[22:23] op_sel:[0,1] op_sel_hi:[0,0]
	v_pk_fma_f32 v[0:1], v[20:21], s[22:23], v[6:7] op_sel_hi:[0,1,1] neg_lo:[0,0,1] neg_hi:[0,0,1]
	v_pk_fma_f32 v[6:7], v[20:21], s[22:23], v[6:7] op_sel_hi:[0,1,1]
	s_and_b64 vcc, exec, s[0:1]
	v_lshl_add_u64 v[2:3], v[2:3], 3, v[4:5]
	s_cbranch_vccnz .LBB528_31
; %bb.30:
	flat_load_dwordx2 v[4:5], v[2:3]
	s_mov_b32 s0, s21
	v_mov_b32_e32 v1, v7
	s_waitcnt vmcnt(0) lgkmcnt(0)
	v_pk_mul_f32 v[6:7], v[4:5], s[0:1] op_sel:[1,0] op_sel_hi:[0,0]
	v_pk_fma_f32 v[8:9], v[4:5], s[20:21], v[6:7] neg_lo:[0,0,1] neg_hi:[0,0,1]
	v_pk_fma_f32 v[4:5], v[4:5], s[20:21], v[6:7] op_sel_hi:[1,0,1]
	s_nop 0
	v_mov_b32_e32 v9, v5
	v_pk_add_f32 v[0:1], v[0:1], v[8:9]
	s_nop 0
	v_mov_b32_e32 v7, v1
.LBB528_31:
	v_mov_b32_e32 v1, v7
	flat_store_dwordx2 v[2:3], v[0:1]
.LBB528_32:
	s_endpgm
	.section	.rodata,"a",@progbits
	.p2align	6, 0x0
	.amdhsa_kernel _ZL29rocblas_internal_gemmt_kernelIlLi16ELi32ELi8ELc67ELc78ELc85ELb1ELb0E19rocblas_complex_numIfES1_PKPKS1_PKPS1_EviT_T9_T10_S9_lSB_S9_lSA_T11_S9_li
		.amdhsa_group_segment_fixed_size 4096
		.amdhsa_private_segment_fixed_size 0
		.amdhsa_kernarg_size 108
		.amdhsa_user_sgpr_count 2
		.amdhsa_user_sgpr_dispatch_ptr 0
		.amdhsa_user_sgpr_queue_ptr 0
		.amdhsa_user_sgpr_kernarg_segment_ptr 1
		.amdhsa_user_sgpr_dispatch_id 0
		.amdhsa_user_sgpr_kernarg_preload_length 0
		.amdhsa_user_sgpr_kernarg_preload_offset 0
		.amdhsa_user_sgpr_private_segment_size 0
		.amdhsa_uses_dynamic_stack 0
		.amdhsa_enable_private_segment 0
		.amdhsa_system_sgpr_workgroup_id_x 1
		.amdhsa_system_sgpr_workgroup_id_y 1
		.amdhsa_system_sgpr_workgroup_id_z 1
		.amdhsa_system_sgpr_workgroup_info 0
		.amdhsa_system_vgpr_workitem_id 1
		.amdhsa_next_free_vgpr 53
		.amdhsa_next_free_sgpr 36
		.amdhsa_accum_offset 56
		.amdhsa_reserve_vcc 1
		.amdhsa_float_round_mode_32 0
		.amdhsa_float_round_mode_16_64 0
		.amdhsa_float_denorm_mode_32 3
		.amdhsa_float_denorm_mode_16_64 3
		.amdhsa_dx10_clamp 1
		.amdhsa_ieee_mode 1
		.amdhsa_fp16_overflow 0
		.amdhsa_tg_split 0
		.amdhsa_exception_fp_ieee_invalid_op 0
		.amdhsa_exception_fp_denorm_src 0
		.amdhsa_exception_fp_ieee_div_zero 0
		.amdhsa_exception_fp_ieee_overflow 0
		.amdhsa_exception_fp_ieee_underflow 0
		.amdhsa_exception_fp_ieee_inexact 0
		.amdhsa_exception_int_div_zero 0
	.end_amdhsa_kernel
	.section	.text._ZL29rocblas_internal_gemmt_kernelIlLi16ELi32ELi8ELc67ELc78ELc85ELb1ELb0E19rocblas_complex_numIfES1_PKPKS1_PKPS1_EviT_T9_T10_S9_lSB_S9_lSA_T11_S9_li,"axG",@progbits,_ZL29rocblas_internal_gemmt_kernelIlLi16ELi32ELi8ELc67ELc78ELc85ELb1ELb0E19rocblas_complex_numIfES1_PKPKS1_PKPS1_EviT_T9_T10_S9_lSB_S9_lSA_T11_S9_li,comdat
.Lfunc_end528:
	.size	_ZL29rocblas_internal_gemmt_kernelIlLi16ELi32ELi8ELc67ELc78ELc85ELb1ELb0E19rocblas_complex_numIfES1_PKPKS1_PKPS1_EviT_T9_T10_S9_lSB_S9_lSA_T11_S9_li, .Lfunc_end528-_ZL29rocblas_internal_gemmt_kernelIlLi16ELi32ELi8ELc67ELc78ELc85ELb1ELb0E19rocblas_complex_numIfES1_PKPKS1_PKPS1_EviT_T9_T10_S9_lSB_S9_lSA_T11_S9_li
                                        ; -- End function
	.set _ZL29rocblas_internal_gemmt_kernelIlLi16ELi32ELi8ELc67ELc78ELc85ELb1ELb0E19rocblas_complex_numIfES1_PKPKS1_PKPS1_EviT_T9_T10_S9_lSB_S9_lSA_T11_S9_li.num_vgpr, 53
	.set _ZL29rocblas_internal_gemmt_kernelIlLi16ELi32ELi8ELc67ELc78ELc85ELb1ELb0E19rocblas_complex_numIfES1_PKPKS1_PKPS1_EviT_T9_T10_S9_lSB_S9_lSA_T11_S9_li.num_agpr, 0
	.set _ZL29rocblas_internal_gemmt_kernelIlLi16ELi32ELi8ELc67ELc78ELc85ELb1ELb0E19rocblas_complex_numIfES1_PKPKS1_PKPS1_EviT_T9_T10_S9_lSB_S9_lSA_T11_S9_li.numbered_sgpr, 36
	.set _ZL29rocblas_internal_gemmt_kernelIlLi16ELi32ELi8ELc67ELc78ELc85ELb1ELb0E19rocblas_complex_numIfES1_PKPKS1_PKPS1_EviT_T9_T10_S9_lSB_S9_lSA_T11_S9_li.num_named_barrier, 0
	.set _ZL29rocblas_internal_gemmt_kernelIlLi16ELi32ELi8ELc67ELc78ELc85ELb1ELb0E19rocblas_complex_numIfES1_PKPKS1_PKPS1_EviT_T9_T10_S9_lSB_S9_lSA_T11_S9_li.private_seg_size, 0
	.set _ZL29rocblas_internal_gemmt_kernelIlLi16ELi32ELi8ELc67ELc78ELc85ELb1ELb0E19rocblas_complex_numIfES1_PKPKS1_PKPS1_EviT_T9_T10_S9_lSB_S9_lSA_T11_S9_li.uses_vcc, 1
	.set _ZL29rocblas_internal_gemmt_kernelIlLi16ELi32ELi8ELc67ELc78ELc85ELb1ELb0E19rocblas_complex_numIfES1_PKPKS1_PKPS1_EviT_T9_T10_S9_lSB_S9_lSA_T11_S9_li.uses_flat_scratch, 0
	.set _ZL29rocblas_internal_gemmt_kernelIlLi16ELi32ELi8ELc67ELc78ELc85ELb1ELb0E19rocblas_complex_numIfES1_PKPKS1_PKPS1_EviT_T9_T10_S9_lSB_S9_lSA_T11_S9_li.has_dyn_sized_stack, 0
	.set _ZL29rocblas_internal_gemmt_kernelIlLi16ELi32ELi8ELc67ELc78ELc85ELb1ELb0E19rocblas_complex_numIfES1_PKPKS1_PKPS1_EviT_T9_T10_S9_lSB_S9_lSA_T11_S9_li.has_recursion, 0
	.set _ZL29rocblas_internal_gemmt_kernelIlLi16ELi32ELi8ELc67ELc78ELc85ELb1ELb0E19rocblas_complex_numIfES1_PKPKS1_PKPS1_EviT_T9_T10_S9_lSB_S9_lSA_T11_S9_li.has_indirect_call, 0
	.section	.AMDGPU.csdata,"",@progbits
; Kernel info:
; codeLenInByte = 2624
; TotalNumSgprs: 42
; NumVgprs: 53
; NumAgprs: 0
; TotalNumVgprs: 53
; ScratchSize: 0
; MemoryBound: 0
; FloatMode: 240
; IeeeMode: 1
; LDSByteSize: 4096 bytes/workgroup (compile time only)
; SGPRBlocks: 5
; VGPRBlocks: 6
; NumSGPRsForWavesPerEU: 42
; NumVGPRsForWavesPerEU: 53
; AccumOffset: 56
; Occupancy: 8
; WaveLimiterHint : 1
; COMPUTE_PGM_RSRC2:SCRATCH_EN: 0
; COMPUTE_PGM_RSRC2:USER_SGPR: 2
; COMPUTE_PGM_RSRC2:TRAP_HANDLER: 0
; COMPUTE_PGM_RSRC2:TGID_X_EN: 1
; COMPUTE_PGM_RSRC2:TGID_Y_EN: 1
; COMPUTE_PGM_RSRC2:TGID_Z_EN: 1
; COMPUTE_PGM_RSRC2:TIDIG_COMP_CNT: 1
; COMPUTE_PGM_RSRC3_GFX90A:ACCUM_OFFSET: 13
; COMPUTE_PGM_RSRC3_GFX90A:TG_SPLIT: 0
	.section	.text._ZL29rocblas_internal_gemmt_kernelIlLi16ELi32ELi8ELc67ELc84ELc85ELb1ELb0E19rocblas_complex_numIfES1_PKPKS1_PKPS1_EviT_T9_T10_S9_lSB_S9_lSA_T11_S9_li,"axG",@progbits,_ZL29rocblas_internal_gemmt_kernelIlLi16ELi32ELi8ELc67ELc84ELc85ELb1ELb0E19rocblas_complex_numIfES1_PKPKS1_PKPS1_EviT_T9_T10_S9_lSB_S9_lSA_T11_S9_li,comdat
	.globl	_ZL29rocblas_internal_gemmt_kernelIlLi16ELi32ELi8ELc67ELc84ELc85ELb1ELb0E19rocblas_complex_numIfES1_PKPKS1_PKPS1_EviT_T9_T10_S9_lSB_S9_lSA_T11_S9_li ; -- Begin function _ZL29rocblas_internal_gemmt_kernelIlLi16ELi32ELi8ELc67ELc84ELc85ELb1ELb0E19rocblas_complex_numIfES1_PKPKS1_PKPS1_EviT_T9_T10_S9_lSB_S9_lSA_T11_S9_li
	.p2align	8
	.type	_ZL29rocblas_internal_gemmt_kernelIlLi16ELi32ELi8ELc67ELc84ELc85ELb1ELb0E19rocblas_complex_numIfES1_PKPKS1_PKPS1_EviT_T9_T10_S9_lSB_S9_lSA_T11_S9_li,@function
_ZL29rocblas_internal_gemmt_kernelIlLi16ELi32ELi8ELc67ELc84ELc85ELb1ELb0E19rocblas_complex_numIfES1_PKPKS1_PKPS1_EviT_T9_T10_S9_lSB_S9_lSA_T11_S9_li: ; @_ZL29rocblas_internal_gemmt_kernelIlLi16ELi32ELi8ELc67ELc84ELc85ELb1ELb0E19rocblas_complex_numIfES1_PKPKS1_PKPS1_EviT_T9_T10_S9_lSB_S9_lSA_T11_S9_li
; %bb.0:
	s_load_dwordx2 s[20:21], s[0:1], 0x48
	s_load_dwordx2 s[22:23], s[0:1], 0x10
	s_waitcnt lgkmcnt(0)
	s_and_b32 s5, s21, 0x7fffffff
	s_cmp_eq_u32 s5, 0
	v_cmp_eq_f32_e64 s[6:7], s20, 1.0
	s_cselect_b64 s[24:25], -1, 0
	s_and_b64 s[6:7], s[6:7], s[24:25]
	s_and_b64 vcc, exec, s[6:7]
	s_cbranch_vccnz .LBB529_2
; %bb.1:
	s_mov_b64 s[6:7], -1
	s_load_dwordx2 s[26:27], s[0:1], 0x8
	s_cbranch_execz .LBB529_3
	s_branch .LBB529_4
.LBB529_2:
	s_mov_b64 s[6:7], 0
	s_load_dwordx2 s[26:27], s[0:1], 0x8
.LBB529_3:
	s_waitcnt lgkmcnt(0)
	s_cmp_lg_u64 s[26:27], 0
	v_cmp_neq_f32_e64 s[8:9], s22, 0
	v_cmp_neq_f32_e64 s[10:11], s23, 0
	s_cselect_b64 s[6:7], -1, 0
	s_or_b64 s[8:9], s[8:9], s[10:11]
	s_and_b64 s[6:7], s[6:7], s[8:9]
.LBB529_4:
	s_andn2_b64 vcc, exec, s[6:7]
	s_cbranch_vccnz .LBB529_32
; %bb.5:
	s_load_dwordx2 s[28:29], s[0:1], 0x60
	s_load_dword s33, s[0:1], 0x0
	s_load_dwordx4 s[12:15], s[0:1], 0x50
	s_mov_b32 s5, 0
	s_lshl_b64 s[30:31], s[4:5], 3
	v_and_b32_e32 v9, 0x3ff, v0
	v_bfe_u32 v11, v0, 10, 10
	s_waitcnt lgkmcnt(0)
	s_add_u32 s4, s12, s30
	s_addc_u32 s5, s13, s31
	s_load_dwordx2 s[12:13], s[4:5], 0x0
	s_lshl_b32 s34, s2, 5
	s_lshl_b32 s35, s3, 5
	v_cmp_eq_f32_e64 s[2:3], s22, 0
	v_cmp_eq_f32_e64 s[4:5], s23, 0
	s_and_b64 s[2:3], s[2:3], s[4:5]
	v_cmp_lt_i64_e64 s[4:5], s[26:27], 1
	s_or_b64 s[2:3], s[2:3], s[4:5]
	v_mov_b32_e32 v32, 0
	s_and_b64 vcc, exec, s[2:3]
	v_mov_b32_e32 v34, 0
	v_mov_b32_e32 v28, 0
	;; [unrolled: 1-line block ×7, first 2 shown]
	s_cbranch_vccnz .LBB529_16
; %bb.6:
	s_load_dwordx8 s[4:11], s[0:1], 0x18
	s_load_dwordx4 s[16:19], s[0:1], 0x38
	v_lshl_add_u32 v0, v11, 4, v9
	v_and_b32_e32 v2, 31, v0
	v_lshrrev_b32_e32 v10, 5, v0
	s_waitcnt lgkmcnt(0)
	s_add_u32 s0, s10, s30
	s_addc_u32 s1, s11, s31
	s_load_dwordx2 s[0:1], s[0:1], 0x0
	s_lshl_b64 s[2:3], s[18:19], 3
	v_or_b32_e32 v3, s34, v2
	v_lshlrev_b32_e32 v2, 3, v2
	v_lshl_or_b32 v21, v10, 8, v2
	s_waitcnt lgkmcnt(0)
	s_add_u32 s10, s0, s2
	s_addc_u32 s11, s1, s3
	s_add_u32 s0, s4, s30
	s_addc_u32 s1, s5, s31
	s_load_dwordx2 s[2:3], s[0:1], 0x0
	s_lshl_b64 s[8:9], s[8:9], 3
	v_cmp_gt_i32_e64 s[0:1], s33, v3
	v_cmp_le_i32_e64 s[4:5], s33, v3
	v_mul_lo_u32 v4, s7, v3
	s_waitcnt lgkmcnt(0)
	s_add_u32 s2, s2, s8
	s_addc_u32 s3, s3, s9
	s_ashr_i32 s18, s34, 31
	v_mad_u64_u32 v[2:3], s[8:9], s6, v3, 0
	s_mul_i32 s6, s6, s18
	v_and_b32_e32 v8, 7, v9
	v_add3_u32 v3, v3, s6, v4
	v_lshrrev_b32_e32 v1, 3, v0
	v_lshl_add_u64 v[12:13], v[2:3], 3, s[2:3]
	v_lshlrev_b32_e32 v2, 3, v8
	v_add_u32_e32 v0, s35, v1
	v_lshl_or_b32 v1, v1, 6, v2
	v_add_u32_e32 v23, 0x800, v1
	v_ashrrev_i32_e32 v1, 31, v0
	v_cmp_gt_i32_e64 s[2:3], s33, v0
	v_lshl_add_u64 v[14:15], v[0:1], 3, s[10:11]
	v_mov_b32_e32 v0, 0x800
	v_lshlrev_b32_e32 v25, 3, v9
	v_lshl_add_u32 v27, v11, 6, v0
	v_mov_b32_e32 v17, 0
	s_mov_b64 s[6:7], 0
	v_mov_b32_e32 v22, 0
	v_mov_b32_e32 v20, 0
	;; [unrolled: 1-line block ×8, first 2 shown]
                                        ; implicit-def: $vgpr18_vgpr19
	s_branch .LBB529_8
.LBB529_7:                              ;   in Loop: Header=BB529_8 Depth=1
	s_or_b64 exec, exec, s[8:9]
	s_waitcnt vmcnt(0) lgkmcnt(0)
	ds_write_b64 v23, v[2:3]
	s_waitcnt lgkmcnt(0)
	s_barrier
	ds_read2_b64 v[36:39], v25 offset1:16
	ds_read_b128 v[40:43], v27
	ds_read_b128 v[44:47], v27 offset:16
	ds_read_b128 v[4:7], v27 offset:32
	;; [unrolled: 1-line block ×3, first 2 shown]
	s_add_u32 s6, s6, 8
	s_waitcnt lgkmcnt(3)
	v_mul_f32_e32 v16, v41, v37
	v_mul_f32_e32 v29, v40, v37
	v_fma_f32 v16, v40, v36, -v16
	v_fmac_f32_e32 v29, v41, v36
	v_add_f32_e32 v16, v32, v16
	v_add_f32_e32 v52, v34, v29
	ds_read_b128 v[32:35], v27 offset:1024
	v_mul_f32_e32 v29, v41, v39
	v_mul_f32_e32 v31, v40, v39
	v_fma_f32 v29, v40, v38, -v29
	v_fmac_f32_e32 v31, v41, v38
	v_add_f32_e32 v40, v28, v29
	v_add_f32_e32 v41, v30, v31
	ds_read_b128 v[28:31], v27 offset:1040
	s_waitcnt lgkmcnt(1)
	v_mul_f32_e32 v48, v33, v37
	v_fma_f32 v48, v32, v36, -v48
	v_add_f32_e32 v24, v24, v48
	ds_read2_b64 v[48:51], v25 offset0:32 offset1:48
	v_mul_f32_e32 v37, v32, v37
	v_fmac_f32_e32 v37, v33, v36
	v_mul_f32_e32 v36, v33, v39
	v_fma_f32 v36, v32, v38, -v36
	v_mul_f32_e32 v32, v32, v39
	v_fmac_f32_e32 v32, v33, v38
	v_add_f32_e32 v22, v22, v32
	s_waitcnt lgkmcnt(0)
	v_mul_f32_e32 v32, v43, v49
	v_mul_f32_e32 v33, v42, v49
	v_fma_f32 v32, v42, v48, -v32
	v_fmac_f32_e32 v33, v43, v48
	v_add_f32_e32 v20, v20, v36
	v_add_f32_e32 v16, v16, v32
	;; [unrolled: 1-line block ×3, first 2 shown]
	v_mul_f32_e32 v33, v43, v51
	v_mul_f32_e32 v36, v42, v51
	v_fma_f32 v33, v42, v50, -v33
	v_fmac_f32_e32 v36, v43, v50
	v_add_f32_e32 v33, v40, v33
	v_add_f32_e32 v40, v41, v36
	v_mul_f32_e32 v36, v35, v49
	v_add_f32_e32 v26, v26, v37
	v_fma_f32 v36, v34, v48, -v36
	v_mul_f32_e32 v37, v34, v49
	v_fmac_f32_e32 v37, v35, v48
	v_add_f32_e32 v24, v24, v36
	v_mul_f32_e32 v36, v35, v51
	v_add_f32_e32 v26, v26, v37
	v_fma_f32 v41, v34, v50, -v36
	ds_read2_b64 v[36:39], v25 offset0:64 offset1:80
	v_mul_f32_e32 v34, v34, v51
	v_fmac_f32_e32 v34, v35, v50
	v_add_f32_e32 v20, v20, v41
	v_add_f32_e32 v22, v22, v34
	s_waitcnt lgkmcnt(0)
	v_mul_f32_e32 v35, v44, v37
	v_fmac_f32_e32 v35, v45, v36
	v_add_f32_e32 v41, v32, v35
	v_mul_f32_e32 v32, v45, v39
	v_mul_f32_e32 v34, v45, v37
	v_fma_f32 v32, v44, v38, -v32
	v_fma_f32 v34, v44, v36, -v34
	v_add_f32_e32 v42, v33, v32
	v_mul_f32_e32 v32, v29, v37
	v_add_f32_e32 v16, v16, v34
	v_mul_f32_e32 v34, v44, v39
	v_fma_f32 v32, v28, v36, -v32
	v_mul_f32_e32 v33, v28, v37
	v_fmac_f32_e32 v34, v45, v38
	v_fmac_f32_e32 v33, v29, v36
	v_add_f32_e32 v24, v24, v32
	v_mul_f32_e32 v32, v29, v39
	v_add_f32_e32 v40, v40, v34
	v_add_f32_e32 v26, v26, v33
	v_fma_f32 v36, v28, v38, -v32
	ds_read2_b64 v[32:35], v25 offset0:96 offset1:112
	v_mul_f32_e32 v28, v28, v39
	v_fmac_f32_e32 v28, v29, v38
	v_add_f32_e32 v22, v22, v28
	v_add_f32_e32 v20, v20, v36
	s_waitcnt lgkmcnt(0)
	v_mul_f32_e32 v28, v47, v33
	v_mul_f32_e32 v29, v46, v33
	v_fma_f32 v28, v46, v32, -v28
	v_fmac_f32_e32 v29, v47, v32
	v_add_f32_e32 v16, v16, v28
	v_add_f32_e32 v28, v41, v29
	v_mul_f32_e32 v29, v47, v35
	v_mul_f32_e32 v36, v46, v35
	v_fma_f32 v29, v46, v34, -v29
	v_fmac_f32_e32 v36, v47, v34
	v_add_f32_e32 v41, v42, v29
	v_add_f32_e32 v40, v40, v36
	v_mul_f32_e32 v29, v31, v33
	ds_read2_b64 v[36:39], v25 offset0:128 offset1:144
	v_fma_f32 v29, v30, v32, -v29
	v_add_f32_e32 v24, v24, v29
	v_mul_f32_e32 v29, v31, v35
	v_mul_f32_e32 v33, v30, v33
	v_fma_f32 v29, v30, v34, -v29
	v_mul_f32_e32 v30, v30, v35
	v_fmac_f32_e32 v30, v31, v34
	v_add_f32_e32 v22, v22, v30
	s_waitcnt lgkmcnt(0)
	v_mul_f32_e32 v30, v4, v37
	v_add_f32_e32 v20, v20, v29
	v_mul_f32_e32 v29, v5, v37
	v_fmac_f32_e32 v30, v5, v36
	v_fma_f32 v29, v4, v36, -v29
	v_add_f32_e32 v44, v28, v30
	v_mul_f32_e32 v28, v5, v39
	v_fmac_f32_e32 v33, v31, v32
	v_add_f32_e32 v16, v16, v29
	v_fma_f32 v32, v4, v38, -v28
	ds_read_b128 v[28:31], v27 offset:1056
	v_mul_f32_e32 v4, v4, v39
	v_fmac_f32_e32 v4, v5, v38
	v_add_f32_e32 v5, v41, v32
	v_add_f32_e32 v4, v40, v4
	ds_read_b128 v[40:43], v27 offset:1072
	s_waitcnt lgkmcnt(1)
	v_mul_f32_e32 v32, v29, v37
	v_add_f32_e32 v26, v26, v33
	v_fma_f32 v32, v28, v36, -v32
	v_mul_f32_e32 v33, v28, v37
	v_fmac_f32_e32 v33, v29, v36
	v_add_f32_e32 v24, v24, v32
	v_mul_f32_e32 v32, v29, v39
	v_add_f32_e32 v26, v26, v33
	v_fma_f32 v36, v28, v38, -v32
	ds_read2_b64 v[32:35], v25 offset0:160 offset1:176
	v_mul_f32_e32 v28, v28, v39
	v_fmac_f32_e32 v28, v29, v38
	v_add_f32_e32 v22, v22, v28
	v_add_f32_e32 v20, v20, v36
	s_waitcnt lgkmcnt(0)
	v_mul_f32_e32 v28, v7, v33
	v_mul_f32_e32 v29, v6, v33
	v_fma_f32 v28, v6, v32, -v28
	v_fmac_f32_e32 v29, v7, v32
	v_add_f32_e32 v16, v16, v28
	v_add_f32_e32 v28, v44, v29
	v_mul_f32_e32 v29, v7, v35
	v_fma_f32 v29, v6, v34, -v29
	v_mul_f32_e32 v6, v6, v35
	v_fmac_f32_e32 v6, v7, v34
	v_add_f32_e32 v36, v4, v6
	v_mul_f32_e32 v4, v31, v33
	v_add_f32_e32 v29, v5, v29
	v_fma_f32 v4, v30, v32, -v4
	v_mul_f32_e32 v5, v30, v33
	v_fmac_f32_e32 v5, v31, v32
	v_add_f32_e32 v24, v24, v4
	v_mul_f32_e32 v4, v31, v35
	v_add_f32_e32 v26, v26, v5
	v_fma_f32 v32, v30, v34, -v4
	ds_read2_b64 v[4:7], v25 offset0:192 offset1:208
	v_mul_f32_e32 v30, v30, v35
	v_fmac_f32_e32 v30, v31, v34
	v_add_f32_e32 v22, v22, v30
	v_add_f32_e32 v20, v20, v32
	s_waitcnt lgkmcnt(0)
	v_mul_f32_e32 v30, v1, v5
	v_fma_f32 v30, v0, v4, -v30
	v_add_f32_e32 v16, v16, v30
	v_mul_f32_e32 v30, v1, v7
	v_mul_f32_e32 v31, v0, v5
	v_fma_f32 v30, v0, v6, -v30
	v_mul_f32_e32 v0, v0, v7
	v_fmac_f32_e32 v0, v1, v6
	v_add_f32_e32 v0, v36, v0
	ds_read2_b64 v[36:39], v25 offset0:224 offset1:240
	v_fmac_f32_e32 v31, v1, v4
	v_add_f32_e32 v1, v29, v30
	v_mul_f32_e32 v29, v41, v5
	v_fma_f32 v29, v40, v4, -v29
	v_mul_f32_e32 v5, v40, v5
	v_fmac_f32_e32 v5, v41, v4
	v_add_f32_e32 v4, v24, v29
	v_mul_f32_e32 v24, v41, v7
	v_fma_f32 v24, v40, v6, -v24
	v_mul_f32_e32 v7, v40, v7
	v_fmac_f32_e32 v7, v41, v6
	v_add_f32_e32 v6, v20, v24
	s_waitcnt lgkmcnt(0)
	v_mul_f32_e32 v20, v3, v37
	v_fma_f32 v20, v2, v36, -v20
	v_add_f32_e32 v32, v16, v20
	v_mul_f32_e32 v16, v3, v39
	v_add_f32_e32 v7, v22, v7
	v_mul_f32_e32 v22, v2, v37
	v_fma_f32 v16, v2, v38, -v16
	v_mul_f32_e32 v2, v2, v39
	v_add_f32_e32 v28, v28, v31
	v_fmac_f32_e32 v22, v3, v36
	v_fmac_f32_e32 v2, v3, v38
	v_add_f32_e32 v34, v28, v22
	v_add_f32_e32 v28, v1, v16
	;; [unrolled: 1-line block ×3, first 2 shown]
	v_mul_f32_e32 v0, v43, v37
	v_mul_f32_e32 v1, v42, v37
	v_add_f32_e32 v5, v26, v5
	v_fma_f32 v0, v42, v36, -v0
	v_fmac_f32_e32 v1, v43, v36
	v_add_f32_e32 v24, v4, v0
	v_add_f32_e32 v26, v5, v1
	v_mul_f32_e32 v0, v43, v39
	v_mul_f32_e32 v1, v42, v39
	v_fma_f32 v0, v42, v38, -v0
	v_fmac_f32_e32 v1, v43, v38
	s_addc_u32 s7, s7, 0
	v_add_f32_e32 v20, v6, v0
	v_add_f32_e32 v22, v7, v1
	v_mov_b64_e32 v[0:1], s[6:7]
	v_cmp_gt_i64_e32 vcc, s[26:27], v[0:1]
	s_barrier
	s_cbranch_vccz .LBB529_16
.LBB529_8:                              ; =>This Inner Loop Header: Depth=1
	s_mov_b64 s[18:19], s[4:5]
	s_mov_b64 s[8:9], 0
	s_and_saveexec_b64 s[10:11], s[0:1]
; %bb.9:                                ;   in Loop: Header=BB529_8 Depth=1
	v_add_u32_e32 v16, s6, v10
	v_cmp_le_u64_e32 vcc, s[26:27], v[16:17]
	s_andn2_b64 s[18:19], s[4:5], exec
	s_and_b64 s[30:31], vcc, exec
	s_mov_b64 s[8:9], exec
	s_or_b64 s[18:19], s[18:19], s[30:31]
	v_mov_b64_e32 v[18:19], v[16:17]
; %bb.10:                               ;   in Loop: Header=BB529_8 Depth=1
	s_or_b64 exec, exec, s[10:11]
	s_and_saveexec_b64 s[10:11], s[18:19]
	s_xor_b64 s[10:11], exec, s[10:11]
; %bb.11:                               ;   in Loop: Header=BB529_8 Depth=1
	ds_write_b32 v21, v17
	s_andn2_b64 s[8:9], s[8:9], exec
; %bb.12:                               ;   in Loop: Header=BB529_8 Depth=1
	s_or_b64 exec, exec, s[10:11]
	v_mov_b32_e32 v2, 0
	v_mov_b32_e32 v0, 0
	s_and_saveexec_b64 s[10:11], s[8:9]
	s_cbranch_execz .LBB529_14
; %bb.13:                               ;   in Loop: Header=BB529_8 Depth=1
	v_lshl_add_u64 v[0:1], v[18:19], 3, v[12:13]
	flat_load_dwordx2 v[4:5], v[0:1]
	s_waitcnt vmcnt(0) lgkmcnt(0)
	v_xor_b32_e32 v0, 0x80000000, v5
	ds_write_b32 v21, v4
.LBB529_14:                             ;   in Loop: Header=BB529_8 Depth=1
	s_or_b64 exec, exec, s[10:11]
	v_add_u32_e32 v16, s6, v8
	v_cmp_gt_u64_e32 vcc, s[26:27], v[16:17]
	s_and_b64 s[10:11], vcc, s[2:3]
	v_mov_b32_e32 v3, 0
	ds_write_b32 v21, v0 offset:4
	s_and_saveexec_b64 s[8:9], s[10:11]
	s_cbranch_execz .LBB529_7
; %bb.15:                               ;   in Loop: Header=BB529_8 Depth=1
	v_mad_u64_u32 v[0:1], s[10:11], s16, v16, 0
	v_mov_b32_e32 v2, v1
	v_mad_u64_u32 v[2:3], s[10:11], s17, v16, v[2:3]
	v_mov_b32_e32 v1, v2
	v_lshl_add_u64 v[0:1], v[0:1], 3, v[14:15]
	flat_load_dwordx2 v[2:3], v[0:1]
	s_branch .LBB529_7
.LBB529_16:
	s_lshl_b64 s[0:1], s[28:29], 3
	v_add_u32_e32 v10, s35, v11
	s_waitcnt lgkmcnt(0)
	s_add_u32 s4, s12, s0
	v_ashrrev_i32_e32 v1, 31, v10
	s_addc_u32 s5, s13, s1
	v_cmp_neq_f32_e64 s[0:1], s20, 0
	s_xor_b64 s[6:7], s[24:25], -1
	v_mul_lo_u32 v1, s14, v1
	v_mul_lo_u32 v4, s15, v10
	v_mad_u64_u32 v[2:3], s[8:9], s14, v10, 0
	v_add_u32_e32 v0, s34, v9
	v_add3_u32 v3, v3, v1, v4
	s_or_b64 s[0:1], s[0:1], s[6:7]
	v_cmp_gt_i32_e64 s[2:3], s33, v10
	v_lshl_add_u64 v[4:5], v[2:3], 3, s[4:5]
	v_cmp_le_i32_e32 vcc, v0, v10
	v_cndmask_b32_e64 v2, 0, 1, s[0:1]
	s_and_b64 s[8:9], s[2:3], vcc
	v_ashrrev_i32_e32 v1, 31, v0
	v_cmp_ne_u32_e64 s[0:1], 1, v2
	s_and_saveexec_b64 s[6:7], s[8:9]
	s_cbranch_execz .LBB529_20
; %bb.17:
	v_pk_mul_f32 v[6:7], v[34:35], s[22:23] op_sel:[0,1] op_sel_hi:[0,0]
	v_pk_fma_f32 v[2:3], v[32:33], s[22:23], v[6:7] op_sel_hi:[0,1,1] neg_lo:[0,0,1] neg_hi:[0,0,1]
	v_pk_fma_f32 v[8:9], v[32:33], s[22:23], v[6:7] op_sel_hi:[0,1,1]
	s_and_b64 vcc, exec, s[0:1]
	v_lshl_add_u64 v[6:7], v[0:1], 3, v[4:5]
	s_cbranch_vccnz .LBB529_19
; %bb.18:
	flat_load_dwordx2 v[12:13], v[6:7]
	s_mov_b32 s8, s21
	v_mov_b32_e32 v3, v9
	s_waitcnt vmcnt(0) lgkmcnt(0)
	v_pk_mul_f32 v[8:9], v[12:13], s[8:9] op_sel:[1,0] op_sel_hi:[0,0]
	v_pk_fma_f32 v[14:15], v[12:13], s[20:21], v[8:9] neg_lo:[0,0,1] neg_hi:[0,0,1]
	v_pk_fma_f32 v[8:9], v[12:13], s[20:21], v[8:9] op_sel_hi:[1,0,1]
	s_nop 0
	v_mov_b32_e32 v15, v9
	v_pk_add_f32 v[2:3], v[2:3], v[14:15]
	s_nop 0
	v_mov_b32_e32 v9, v3
.LBB529_19:
	v_mov_b32_e32 v3, v9
	flat_store_dwordx2 v[6:7], v[2:3]
.LBB529_20:
	s_or_b64 exec, exec, s[6:7]
	v_add_u32_e32 v2, 16, v0
	v_cmp_le_i32_e32 vcc, v2, v10
	s_and_b64 s[6:7], s[2:3], vcc
	v_ashrrev_i32_e32 v3, 31, v2
	s_and_saveexec_b64 s[2:3], s[6:7]
	s_cbranch_execz .LBB529_24
; %bb.21:
	v_pk_mul_f32 v[8:9], v[30:31], s[22:23] op_sel:[0,1] op_sel_hi:[0,0]
	v_pk_fma_f32 v[6:7], v[28:29], s[22:23], v[8:9] op_sel_hi:[0,1,1] neg_lo:[0,0,1] neg_hi:[0,0,1]
	v_pk_fma_f32 v[8:9], v[28:29], s[22:23], v[8:9] op_sel_hi:[0,1,1]
	s_and_b64 vcc, exec, s[0:1]
	v_lshl_add_u64 v[4:5], v[2:3], 3, v[4:5]
	s_cbranch_vccnz .LBB529_23
; %bb.22:
	flat_load_dwordx2 v[12:13], v[4:5]
	s_mov_b32 s6, s21
	v_mov_b32_e32 v7, v9
	s_waitcnt vmcnt(0) lgkmcnt(0)
	v_pk_mul_f32 v[8:9], v[12:13], s[6:7] op_sel:[1,0] op_sel_hi:[0,0]
	v_pk_fma_f32 v[14:15], v[12:13], s[20:21], v[8:9] neg_lo:[0,0,1] neg_hi:[0,0,1]
	v_pk_fma_f32 v[8:9], v[12:13], s[20:21], v[8:9] op_sel_hi:[1,0,1]
	s_nop 0
	v_mov_b32_e32 v15, v9
	v_pk_add_f32 v[6:7], v[6:7], v[14:15]
	s_nop 0
	v_mov_b32_e32 v9, v7
.LBB529_23:
	v_mov_b32_e32 v7, v9
	flat_store_dwordx2 v[4:5], v[6:7]
.LBB529_24:
	s_or_b64 exec, exec, s[2:3]
	v_add_u32_e32 v10, 16, v10
	v_ashrrev_i32_e32 v4, 31, v10
	v_mul_lo_u32 v6, s14, v4
	v_mul_lo_u32 v7, s15, v10
	v_mad_u64_u32 v[4:5], s[6:7], s14, v10, 0
	v_cmp_gt_i32_e64 s[2:3], s33, v10
	v_add3_u32 v5, v5, v6, v7
	v_cmp_le_i32_e32 vcc, v0, v10
	v_lshl_add_u64 v[4:5], v[4:5], 3, s[4:5]
	s_and_b64 s[6:7], s[2:3], vcc
	s_and_saveexec_b64 s[4:5], s[6:7]
	s_cbranch_execz .LBB529_28
; %bb.25:
	v_pk_mul_f32 v[8:9], v[26:27], s[22:23] op_sel:[0,1] op_sel_hi:[0,0]
	v_pk_fma_f32 v[6:7], v[24:25], s[22:23], v[8:9] op_sel_hi:[0,1,1] neg_lo:[0,0,1] neg_hi:[0,0,1]
	v_pk_fma_f32 v[8:9], v[24:25], s[22:23], v[8:9] op_sel_hi:[0,1,1]
	s_and_b64 vcc, exec, s[0:1]
	v_lshl_add_u64 v[0:1], v[0:1], 3, v[4:5]
	s_cbranch_vccnz .LBB529_27
; %bb.26:
	flat_load_dwordx2 v[12:13], v[0:1]
	s_mov_b32 s6, s21
	v_mov_b32_e32 v7, v9
	s_waitcnt vmcnt(0) lgkmcnt(0)
	v_pk_mul_f32 v[8:9], v[12:13], s[6:7] op_sel:[1,0] op_sel_hi:[0,0]
	v_pk_fma_f32 v[14:15], v[12:13], s[20:21], v[8:9] neg_lo:[0,0,1] neg_hi:[0,0,1]
	v_pk_fma_f32 v[8:9], v[12:13], s[20:21], v[8:9] op_sel_hi:[1,0,1]
	s_nop 0
	v_mov_b32_e32 v15, v9
	v_pk_add_f32 v[6:7], v[6:7], v[14:15]
	s_nop 0
	v_mov_b32_e32 v9, v7
.LBB529_27:
	v_mov_b32_e32 v7, v9
	flat_store_dwordx2 v[0:1], v[6:7]
.LBB529_28:
	s_or_b64 exec, exec, s[4:5]
	v_cmp_le_i32_e32 vcc, v2, v10
	s_and_b64 s[2:3], s[2:3], vcc
	s_and_saveexec_b64 s[4:5], s[2:3]
	s_cbranch_execz .LBB529_32
; %bb.29:
	v_pk_mul_f32 v[6:7], v[22:23], s[22:23] op_sel:[0,1] op_sel_hi:[0,0]
	v_pk_fma_f32 v[0:1], v[20:21], s[22:23], v[6:7] op_sel_hi:[0,1,1] neg_lo:[0,0,1] neg_hi:[0,0,1]
	v_pk_fma_f32 v[6:7], v[20:21], s[22:23], v[6:7] op_sel_hi:[0,1,1]
	s_and_b64 vcc, exec, s[0:1]
	v_lshl_add_u64 v[2:3], v[2:3], 3, v[4:5]
	s_cbranch_vccnz .LBB529_31
; %bb.30:
	flat_load_dwordx2 v[4:5], v[2:3]
	s_mov_b32 s0, s21
	v_mov_b32_e32 v1, v7
	s_waitcnt vmcnt(0) lgkmcnt(0)
	v_pk_mul_f32 v[6:7], v[4:5], s[0:1] op_sel:[1,0] op_sel_hi:[0,0]
	v_pk_fma_f32 v[8:9], v[4:5], s[20:21], v[6:7] neg_lo:[0,0,1] neg_hi:[0,0,1]
	v_pk_fma_f32 v[4:5], v[4:5], s[20:21], v[6:7] op_sel_hi:[1,0,1]
	s_nop 0
	v_mov_b32_e32 v9, v5
	v_pk_add_f32 v[0:1], v[0:1], v[8:9]
	s_nop 0
	v_mov_b32_e32 v7, v1
.LBB529_31:
	v_mov_b32_e32 v1, v7
	flat_store_dwordx2 v[2:3], v[0:1]
.LBB529_32:
	s_endpgm
	.section	.rodata,"a",@progbits
	.p2align	6, 0x0
	.amdhsa_kernel _ZL29rocblas_internal_gemmt_kernelIlLi16ELi32ELi8ELc67ELc84ELc85ELb1ELb0E19rocblas_complex_numIfES1_PKPKS1_PKPS1_EviT_T9_T10_S9_lSB_S9_lSA_T11_S9_li
		.amdhsa_group_segment_fixed_size 4096
		.amdhsa_private_segment_fixed_size 0
		.amdhsa_kernarg_size 108
		.amdhsa_user_sgpr_count 2
		.amdhsa_user_sgpr_dispatch_ptr 0
		.amdhsa_user_sgpr_queue_ptr 0
		.amdhsa_user_sgpr_kernarg_segment_ptr 1
		.amdhsa_user_sgpr_dispatch_id 0
		.amdhsa_user_sgpr_kernarg_preload_length 0
		.amdhsa_user_sgpr_kernarg_preload_offset 0
		.amdhsa_user_sgpr_private_segment_size 0
		.amdhsa_uses_dynamic_stack 0
		.amdhsa_enable_private_segment 0
		.amdhsa_system_sgpr_workgroup_id_x 1
		.amdhsa_system_sgpr_workgroup_id_y 1
		.amdhsa_system_sgpr_workgroup_id_z 1
		.amdhsa_system_sgpr_workgroup_info 0
		.amdhsa_system_vgpr_workitem_id 1
		.amdhsa_next_free_vgpr 53
		.amdhsa_next_free_sgpr 36
		.amdhsa_accum_offset 56
		.amdhsa_reserve_vcc 1
		.amdhsa_float_round_mode_32 0
		.amdhsa_float_round_mode_16_64 0
		.amdhsa_float_denorm_mode_32 3
		.amdhsa_float_denorm_mode_16_64 3
		.amdhsa_dx10_clamp 1
		.amdhsa_ieee_mode 1
		.amdhsa_fp16_overflow 0
		.amdhsa_tg_split 0
		.amdhsa_exception_fp_ieee_invalid_op 0
		.amdhsa_exception_fp_denorm_src 0
		.amdhsa_exception_fp_ieee_div_zero 0
		.amdhsa_exception_fp_ieee_overflow 0
		.amdhsa_exception_fp_ieee_underflow 0
		.amdhsa_exception_fp_ieee_inexact 0
		.amdhsa_exception_int_div_zero 0
	.end_amdhsa_kernel
	.section	.text._ZL29rocblas_internal_gemmt_kernelIlLi16ELi32ELi8ELc67ELc84ELc85ELb1ELb0E19rocblas_complex_numIfES1_PKPKS1_PKPS1_EviT_T9_T10_S9_lSB_S9_lSA_T11_S9_li,"axG",@progbits,_ZL29rocblas_internal_gemmt_kernelIlLi16ELi32ELi8ELc67ELc84ELc85ELb1ELb0E19rocblas_complex_numIfES1_PKPKS1_PKPS1_EviT_T9_T10_S9_lSB_S9_lSA_T11_S9_li,comdat
.Lfunc_end529:
	.size	_ZL29rocblas_internal_gemmt_kernelIlLi16ELi32ELi8ELc67ELc84ELc85ELb1ELb0E19rocblas_complex_numIfES1_PKPKS1_PKPS1_EviT_T9_T10_S9_lSB_S9_lSA_T11_S9_li, .Lfunc_end529-_ZL29rocblas_internal_gemmt_kernelIlLi16ELi32ELi8ELc67ELc84ELc85ELb1ELb0E19rocblas_complex_numIfES1_PKPKS1_PKPS1_EviT_T9_T10_S9_lSB_S9_lSA_T11_S9_li
                                        ; -- End function
	.set _ZL29rocblas_internal_gemmt_kernelIlLi16ELi32ELi8ELc67ELc84ELc85ELb1ELb0E19rocblas_complex_numIfES1_PKPKS1_PKPS1_EviT_T9_T10_S9_lSB_S9_lSA_T11_S9_li.num_vgpr, 53
	.set _ZL29rocblas_internal_gemmt_kernelIlLi16ELi32ELi8ELc67ELc84ELc85ELb1ELb0E19rocblas_complex_numIfES1_PKPKS1_PKPS1_EviT_T9_T10_S9_lSB_S9_lSA_T11_S9_li.num_agpr, 0
	.set _ZL29rocblas_internal_gemmt_kernelIlLi16ELi32ELi8ELc67ELc84ELc85ELb1ELb0E19rocblas_complex_numIfES1_PKPKS1_PKPS1_EviT_T9_T10_S9_lSB_S9_lSA_T11_S9_li.numbered_sgpr, 36
	.set _ZL29rocblas_internal_gemmt_kernelIlLi16ELi32ELi8ELc67ELc84ELc85ELb1ELb0E19rocblas_complex_numIfES1_PKPKS1_PKPS1_EviT_T9_T10_S9_lSB_S9_lSA_T11_S9_li.num_named_barrier, 0
	.set _ZL29rocblas_internal_gemmt_kernelIlLi16ELi32ELi8ELc67ELc84ELc85ELb1ELb0E19rocblas_complex_numIfES1_PKPKS1_PKPS1_EviT_T9_T10_S9_lSB_S9_lSA_T11_S9_li.private_seg_size, 0
	.set _ZL29rocblas_internal_gemmt_kernelIlLi16ELi32ELi8ELc67ELc84ELc85ELb1ELb0E19rocblas_complex_numIfES1_PKPKS1_PKPS1_EviT_T9_T10_S9_lSB_S9_lSA_T11_S9_li.uses_vcc, 1
	.set _ZL29rocblas_internal_gemmt_kernelIlLi16ELi32ELi8ELc67ELc84ELc85ELb1ELb0E19rocblas_complex_numIfES1_PKPKS1_PKPS1_EviT_T9_T10_S9_lSB_S9_lSA_T11_S9_li.uses_flat_scratch, 0
	.set _ZL29rocblas_internal_gemmt_kernelIlLi16ELi32ELi8ELc67ELc84ELc85ELb1ELb0E19rocblas_complex_numIfES1_PKPKS1_PKPS1_EviT_T9_T10_S9_lSB_S9_lSA_T11_S9_li.has_dyn_sized_stack, 0
	.set _ZL29rocblas_internal_gemmt_kernelIlLi16ELi32ELi8ELc67ELc84ELc85ELb1ELb0E19rocblas_complex_numIfES1_PKPKS1_PKPS1_EviT_T9_T10_S9_lSB_S9_lSA_T11_S9_li.has_recursion, 0
	.set _ZL29rocblas_internal_gemmt_kernelIlLi16ELi32ELi8ELc67ELc84ELc85ELb1ELb0E19rocblas_complex_numIfES1_PKPKS1_PKPS1_EviT_T9_T10_S9_lSB_S9_lSA_T11_S9_li.has_indirect_call, 0
	.section	.AMDGPU.csdata,"",@progbits
; Kernel info:
; codeLenInByte = 2616
; TotalNumSgprs: 42
; NumVgprs: 53
; NumAgprs: 0
; TotalNumVgprs: 53
; ScratchSize: 0
; MemoryBound: 0
; FloatMode: 240
; IeeeMode: 1
; LDSByteSize: 4096 bytes/workgroup (compile time only)
; SGPRBlocks: 5
; VGPRBlocks: 6
; NumSGPRsForWavesPerEU: 42
; NumVGPRsForWavesPerEU: 53
; AccumOffset: 56
; Occupancy: 8
; WaveLimiterHint : 1
; COMPUTE_PGM_RSRC2:SCRATCH_EN: 0
; COMPUTE_PGM_RSRC2:USER_SGPR: 2
; COMPUTE_PGM_RSRC2:TRAP_HANDLER: 0
; COMPUTE_PGM_RSRC2:TGID_X_EN: 1
; COMPUTE_PGM_RSRC2:TGID_Y_EN: 1
; COMPUTE_PGM_RSRC2:TGID_Z_EN: 1
; COMPUTE_PGM_RSRC2:TIDIG_COMP_CNT: 1
; COMPUTE_PGM_RSRC3_GFX90A:ACCUM_OFFSET: 13
; COMPUTE_PGM_RSRC3_GFX90A:TG_SPLIT: 0
	.section	.text._ZL29rocblas_internal_gemmt_kernelIlLi16ELi32ELi8ELc67ELc67ELc85ELb1ELb1E19rocblas_complex_numIfES1_PKPKS1_PKPS1_EviT_T9_T10_S9_lSB_S9_lSA_T11_S9_li,"axG",@progbits,_ZL29rocblas_internal_gemmt_kernelIlLi16ELi32ELi8ELc67ELc67ELc85ELb1ELb1E19rocblas_complex_numIfES1_PKPKS1_PKPS1_EviT_T9_T10_S9_lSB_S9_lSA_T11_S9_li,comdat
	.globl	_ZL29rocblas_internal_gemmt_kernelIlLi16ELi32ELi8ELc67ELc67ELc85ELb1ELb1E19rocblas_complex_numIfES1_PKPKS1_PKPS1_EviT_T9_T10_S9_lSB_S9_lSA_T11_S9_li ; -- Begin function _ZL29rocblas_internal_gemmt_kernelIlLi16ELi32ELi8ELc67ELc67ELc85ELb1ELb1E19rocblas_complex_numIfES1_PKPKS1_PKPS1_EviT_T9_T10_S9_lSB_S9_lSA_T11_S9_li
	.p2align	8
	.type	_ZL29rocblas_internal_gemmt_kernelIlLi16ELi32ELi8ELc67ELc67ELc85ELb1ELb1E19rocblas_complex_numIfES1_PKPKS1_PKPS1_EviT_T9_T10_S9_lSB_S9_lSA_T11_S9_li,@function
_ZL29rocblas_internal_gemmt_kernelIlLi16ELi32ELi8ELc67ELc67ELc85ELb1ELb1E19rocblas_complex_numIfES1_PKPKS1_PKPS1_EviT_T9_T10_S9_lSB_S9_lSA_T11_S9_li: ; @_ZL29rocblas_internal_gemmt_kernelIlLi16ELi32ELi8ELc67ELc67ELc85ELb1ELb1E19rocblas_complex_numIfES1_PKPKS1_PKPS1_EviT_T9_T10_S9_lSB_S9_lSA_T11_S9_li
; %bb.0:
	s_load_dwordx2 s[20:21], s[0:1], 0x48
	s_load_dwordx2 s[22:23], s[0:1], 0x10
	s_waitcnt lgkmcnt(0)
	s_and_b32 s5, s21, 0x7fffffff
	s_cmp_eq_u32 s5, 0
	v_cmp_eq_f32_e64 s[6:7], s20, 1.0
	s_cselect_b64 s[24:25], -1, 0
	s_and_b64 s[6:7], s[6:7], s[24:25]
	s_and_b64 vcc, exec, s[6:7]
	s_cbranch_vccnz .LBB530_2
; %bb.1:
	s_mov_b64 s[6:7], -1
	s_load_dwordx2 s[26:27], s[0:1], 0x8
	s_cbranch_execz .LBB530_3
	s_branch .LBB530_4
.LBB530_2:
	s_mov_b64 s[6:7], 0
	s_load_dwordx2 s[26:27], s[0:1], 0x8
.LBB530_3:
	s_waitcnt lgkmcnt(0)
	s_cmp_lg_u64 s[26:27], 0
	v_cmp_neq_f32_e64 s[8:9], s22, 0
	v_cmp_neq_f32_e64 s[10:11], s23, 0
	s_cselect_b64 s[6:7], -1, 0
	s_or_b64 s[8:9], s[8:9], s[10:11]
	s_and_b64 s[6:7], s[6:7], s[8:9]
.LBB530_4:
	s_andn2_b64 vcc, exec, s[6:7]
	s_cbranch_vccnz .LBB530_34
; %bb.5:
	s_load_dwordx2 s[28:29], s[0:1], 0x60
	s_load_dword s33, s[0:1], 0x0
	s_load_dwordx4 s[12:15], s[0:1], 0x50
	s_mov_b32 s5, 0
	s_lshl_b64 s[30:31], s[4:5], 3
	v_and_b32_e32 v9, 0x3ff, v0
	v_bfe_u32 v11, v0, 10, 10
	s_waitcnt lgkmcnt(0)
	s_add_u32 s4, s12, s30
	s_addc_u32 s5, s13, s31
	s_load_dwordx2 s[12:13], s[4:5], 0x0
	s_lshl_b32 s34, s2, 5
	s_lshl_b32 s35, s3, 5
	v_cmp_eq_f32_e64 s[2:3], s22, 0
	v_cmp_eq_f32_e64 s[4:5], s23, 0
	s_and_b64 s[2:3], s[2:3], s[4:5]
	v_cmp_lt_i64_e64 s[4:5], s[26:27], 1
	s_or_b64 s[2:3], s[2:3], s[4:5]
	v_mov_b32_e32 v32, 0
	s_and_b64 vcc, exec, s[2:3]
	v_mov_b32_e32 v34, 0
	v_mov_b32_e32 v28, 0
	;; [unrolled: 1-line block ×7, first 2 shown]
	s_cbranch_vccnz .LBB530_18
; %bb.6:
	s_load_dwordx8 s[4:11], s[0:1], 0x18
	s_load_dwordx4 s[16:19], s[0:1], 0x38
	v_lshl_add_u32 v0, v11, 4, v9
	v_and_b32_e32 v2, 31, v0
	v_lshrrev_b32_e32 v10, 5, v0
	s_waitcnt lgkmcnt(0)
	s_add_u32 s0, s10, s30
	s_addc_u32 s1, s11, s31
	s_load_dwordx2 s[0:1], s[0:1], 0x0
	s_lshl_b64 s[2:3], s[18:19], 3
	v_or_b32_e32 v3, s34, v2
	v_lshlrev_b32_e32 v2, 3, v2
	v_lshl_or_b32 v21, v10, 8, v2
	s_waitcnt lgkmcnt(0)
	s_add_u32 s10, s0, s2
	s_addc_u32 s11, s1, s3
	s_add_u32 s0, s4, s30
	s_addc_u32 s1, s5, s31
	s_load_dwordx2 s[4:5], s[0:1], 0x0
	s_lshl_b64 s[8:9], s[8:9], 3
	v_cmp_gt_i32_e64 s[0:1], s33, v3
	v_cmp_le_i32_e64 s[2:3], s33, v3
	v_mul_lo_u32 v4, s7, v3
	s_waitcnt lgkmcnt(0)
	s_add_u32 s4, s4, s8
	s_addc_u32 s5, s5, s9
	s_ashr_i32 s18, s34, 31
	v_mad_u64_u32 v[2:3], s[8:9], s6, v3, 0
	s_mul_i32 s6, s6, s18
	v_and_b32_e32 v8, 7, v9
	v_add3_u32 v3, v3, s6, v4
	v_lshrrev_b32_e32 v1, 3, v0
	v_lshl_add_u64 v[12:13], v[2:3], 3, s[4:5]
	v_lshlrev_b32_e32 v2, 3, v8
	v_add_u32_e32 v0, s35, v1
	v_lshl_or_b32 v1, v1, 6, v2
	v_add_u32_e32 v23, 0x800, v1
	v_ashrrev_i32_e32 v1, 31, v0
	v_cmp_gt_i32_e32 vcc, s33, v0
	v_lshl_add_u64 v[14:15], v[0:1], 3, s[10:11]
	v_mov_b32_e32 v0, 0x800
	v_lshlrev_b32_e32 v25, 3, v9
	v_lshl_add_u32 v27, v11, 6, v0
	v_mov_b32_e32 v17, 0
	s_mov_b64 s[4:5], 0
	s_xor_b64 s[6:7], vcc, -1
	v_mov_b32_e32 v22, 0
	v_mov_b32_e32 v20, 0
	;; [unrolled: 1-line block ×8, first 2 shown]
                                        ; implicit-def: $vgpr18_vgpr19
	s_branch .LBB530_8
.LBB530_7:                              ;   in Loop: Header=BB530_8 Depth=1
	s_or_b64 exec, exec, s[8:9]
	ds_write_b32 v23, v0 offset:4
	s_waitcnt lgkmcnt(0)
	s_barrier
	ds_read2_b64 v[36:39], v25 offset1:16
	ds_read_b128 v[40:43], v27
	ds_read_b128 v[44:47], v27 offset:16
	ds_read_b128 v[4:7], v27 offset:32
	;; [unrolled: 1-line block ×3, first 2 shown]
	s_add_u32 s4, s4, 8
	s_waitcnt lgkmcnt(3)
	v_mul_f32_e32 v16, v41, v37
	v_mul_f32_e32 v29, v40, v37
	v_fma_f32 v16, v40, v36, -v16
	v_fmac_f32_e32 v29, v41, v36
	v_add_f32_e32 v16, v32, v16
	v_add_f32_e32 v52, v34, v29
	ds_read_b128 v[32:35], v27 offset:1024
	v_mul_f32_e32 v29, v41, v39
	v_mul_f32_e32 v31, v40, v39
	v_fma_f32 v29, v40, v38, -v29
	v_fmac_f32_e32 v31, v41, v38
	v_add_f32_e32 v40, v28, v29
	v_add_f32_e32 v41, v30, v31
	ds_read_b128 v[28:31], v27 offset:1040
	s_waitcnt lgkmcnt(1)
	v_mul_f32_e32 v48, v33, v37
	v_fma_f32 v48, v32, v36, -v48
	v_add_f32_e32 v24, v24, v48
	ds_read2_b64 v[48:51], v25 offset0:32 offset1:48
	v_mul_f32_e32 v37, v32, v37
	v_fmac_f32_e32 v37, v33, v36
	v_mul_f32_e32 v36, v33, v39
	v_fma_f32 v36, v32, v38, -v36
	v_mul_f32_e32 v32, v32, v39
	v_fmac_f32_e32 v32, v33, v38
	v_add_f32_e32 v22, v22, v32
	s_waitcnt lgkmcnt(0)
	v_mul_f32_e32 v32, v43, v49
	v_mul_f32_e32 v33, v42, v49
	v_fma_f32 v32, v42, v48, -v32
	v_fmac_f32_e32 v33, v43, v48
	v_add_f32_e32 v20, v20, v36
	v_add_f32_e32 v16, v16, v32
	;; [unrolled: 1-line block ×3, first 2 shown]
	v_mul_f32_e32 v33, v43, v51
	v_mul_f32_e32 v36, v42, v51
	v_fma_f32 v33, v42, v50, -v33
	v_fmac_f32_e32 v36, v43, v50
	v_add_f32_e32 v33, v40, v33
	v_add_f32_e32 v40, v41, v36
	v_mul_f32_e32 v36, v35, v49
	v_add_f32_e32 v26, v26, v37
	v_fma_f32 v36, v34, v48, -v36
	v_mul_f32_e32 v37, v34, v49
	v_fmac_f32_e32 v37, v35, v48
	v_add_f32_e32 v24, v24, v36
	v_mul_f32_e32 v36, v35, v51
	v_add_f32_e32 v26, v26, v37
	v_fma_f32 v41, v34, v50, -v36
	ds_read2_b64 v[36:39], v25 offset0:64 offset1:80
	v_mul_f32_e32 v34, v34, v51
	v_fmac_f32_e32 v34, v35, v50
	v_add_f32_e32 v20, v20, v41
	v_add_f32_e32 v22, v22, v34
	s_waitcnt lgkmcnt(0)
	v_mul_f32_e32 v35, v44, v37
	v_fmac_f32_e32 v35, v45, v36
	v_add_f32_e32 v41, v32, v35
	v_mul_f32_e32 v32, v45, v39
	v_mul_f32_e32 v34, v45, v37
	v_fma_f32 v32, v44, v38, -v32
	v_fma_f32 v34, v44, v36, -v34
	v_add_f32_e32 v42, v33, v32
	v_mul_f32_e32 v32, v29, v37
	v_add_f32_e32 v16, v16, v34
	v_mul_f32_e32 v34, v44, v39
	v_fma_f32 v32, v28, v36, -v32
	v_mul_f32_e32 v33, v28, v37
	v_fmac_f32_e32 v34, v45, v38
	v_fmac_f32_e32 v33, v29, v36
	v_add_f32_e32 v24, v24, v32
	v_mul_f32_e32 v32, v29, v39
	v_add_f32_e32 v40, v40, v34
	v_add_f32_e32 v26, v26, v33
	v_fma_f32 v36, v28, v38, -v32
	ds_read2_b64 v[32:35], v25 offset0:96 offset1:112
	v_mul_f32_e32 v28, v28, v39
	v_fmac_f32_e32 v28, v29, v38
	v_add_f32_e32 v22, v22, v28
	v_add_f32_e32 v20, v20, v36
	s_waitcnt lgkmcnt(0)
	v_mul_f32_e32 v28, v47, v33
	v_mul_f32_e32 v29, v46, v33
	v_fma_f32 v28, v46, v32, -v28
	v_fmac_f32_e32 v29, v47, v32
	v_add_f32_e32 v16, v16, v28
	v_add_f32_e32 v28, v41, v29
	v_mul_f32_e32 v29, v47, v35
	v_mul_f32_e32 v36, v46, v35
	v_fma_f32 v29, v46, v34, -v29
	v_fmac_f32_e32 v36, v47, v34
	v_add_f32_e32 v41, v42, v29
	v_add_f32_e32 v40, v40, v36
	v_mul_f32_e32 v29, v31, v33
	ds_read2_b64 v[36:39], v25 offset0:128 offset1:144
	v_fma_f32 v29, v30, v32, -v29
	v_add_f32_e32 v24, v24, v29
	v_mul_f32_e32 v29, v31, v35
	v_mul_f32_e32 v33, v30, v33
	v_fma_f32 v29, v30, v34, -v29
	v_mul_f32_e32 v30, v30, v35
	v_fmac_f32_e32 v30, v31, v34
	v_add_f32_e32 v22, v22, v30
	s_waitcnt lgkmcnt(0)
	v_mul_f32_e32 v30, v4, v37
	v_add_f32_e32 v20, v20, v29
	v_mul_f32_e32 v29, v5, v37
	v_fmac_f32_e32 v30, v5, v36
	v_fma_f32 v29, v4, v36, -v29
	v_add_f32_e32 v44, v28, v30
	v_mul_f32_e32 v28, v5, v39
	v_fmac_f32_e32 v33, v31, v32
	v_add_f32_e32 v16, v16, v29
	v_fma_f32 v32, v4, v38, -v28
	ds_read_b128 v[28:31], v27 offset:1056
	v_mul_f32_e32 v4, v4, v39
	v_fmac_f32_e32 v4, v5, v38
	v_add_f32_e32 v5, v41, v32
	v_add_f32_e32 v4, v40, v4
	ds_read_b128 v[40:43], v27 offset:1072
	s_waitcnt lgkmcnt(1)
	v_mul_f32_e32 v32, v29, v37
	v_add_f32_e32 v26, v26, v33
	v_fma_f32 v32, v28, v36, -v32
	v_mul_f32_e32 v33, v28, v37
	v_fmac_f32_e32 v33, v29, v36
	v_add_f32_e32 v24, v24, v32
	v_mul_f32_e32 v32, v29, v39
	v_add_f32_e32 v26, v26, v33
	v_fma_f32 v36, v28, v38, -v32
	ds_read2_b64 v[32:35], v25 offset0:160 offset1:176
	v_mul_f32_e32 v28, v28, v39
	v_fmac_f32_e32 v28, v29, v38
	v_add_f32_e32 v22, v22, v28
	v_add_f32_e32 v20, v20, v36
	s_waitcnt lgkmcnt(0)
	v_mul_f32_e32 v28, v7, v33
	v_mul_f32_e32 v29, v6, v33
	v_fma_f32 v28, v6, v32, -v28
	v_fmac_f32_e32 v29, v7, v32
	v_add_f32_e32 v16, v16, v28
	v_add_f32_e32 v28, v44, v29
	v_mul_f32_e32 v29, v7, v35
	v_fma_f32 v29, v6, v34, -v29
	v_mul_f32_e32 v6, v6, v35
	v_fmac_f32_e32 v6, v7, v34
	v_add_f32_e32 v36, v4, v6
	v_mul_f32_e32 v4, v31, v33
	v_add_f32_e32 v29, v5, v29
	v_fma_f32 v4, v30, v32, -v4
	v_mul_f32_e32 v5, v30, v33
	v_fmac_f32_e32 v5, v31, v32
	v_add_f32_e32 v24, v24, v4
	v_mul_f32_e32 v4, v31, v35
	v_add_f32_e32 v26, v26, v5
	v_fma_f32 v32, v30, v34, -v4
	ds_read2_b64 v[4:7], v25 offset0:192 offset1:208
	v_mul_f32_e32 v30, v30, v35
	v_fmac_f32_e32 v30, v31, v34
	v_add_f32_e32 v22, v22, v30
	v_add_f32_e32 v20, v20, v32
	s_waitcnt lgkmcnt(0)
	v_mul_f32_e32 v30, v1, v5
	v_fma_f32 v30, v0, v4, -v30
	v_add_f32_e32 v16, v16, v30
	v_mul_f32_e32 v30, v1, v7
	v_mul_f32_e32 v31, v0, v5
	v_fma_f32 v30, v0, v6, -v30
	v_mul_f32_e32 v0, v0, v7
	v_fmac_f32_e32 v0, v1, v6
	v_add_f32_e32 v0, v36, v0
	ds_read2_b64 v[36:39], v25 offset0:224 offset1:240
	v_fmac_f32_e32 v31, v1, v4
	v_add_f32_e32 v1, v29, v30
	v_mul_f32_e32 v29, v41, v5
	v_fma_f32 v29, v40, v4, -v29
	v_mul_f32_e32 v5, v40, v5
	v_fmac_f32_e32 v5, v41, v4
	v_add_f32_e32 v4, v24, v29
	v_mul_f32_e32 v24, v41, v7
	v_fma_f32 v24, v40, v6, -v24
	v_mul_f32_e32 v7, v40, v7
	v_fmac_f32_e32 v7, v41, v6
	v_add_f32_e32 v6, v20, v24
	s_waitcnt lgkmcnt(0)
	v_mul_f32_e32 v20, v3, v37
	v_fma_f32 v20, v2, v36, -v20
	v_add_f32_e32 v32, v16, v20
	v_mul_f32_e32 v16, v3, v39
	v_add_f32_e32 v7, v22, v7
	v_mul_f32_e32 v22, v2, v37
	v_fma_f32 v16, v2, v38, -v16
	v_mul_f32_e32 v2, v2, v39
	v_add_f32_e32 v28, v28, v31
	v_fmac_f32_e32 v22, v3, v36
	v_fmac_f32_e32 v2, v3, v38
	v_add_f32_e32 v34, v28, v22
	v_add_f32_e32 v28, v1, v16
	;; [unrolled: 1-line block ×3, first 2 shown]
	v_mul_f32_e32 v0, v43, v37
	v_mul_f32_e32 v1, v42, v37
	v_add_f32_e32 v5, v26, v5
	v_fma_f32 v0, v42, v36, -v0
	v_fmac_f32_e32 v1, v43, v36
	v_add_f32_e32 v24, v4, v0
	v_add_f32_e32 v26, v5, v1
	v_mul_f32_e32 v0, v43, v39
	v_mul_f32_e32 v1, v42, v39
	v_fma_f32 v0, v42, v38, -v0
	v_fmac_f32_e32 v1, v43, v38
	s_addc_u32 s5, s5, 0
	v_add_f32_e32 v20, v6, v0
	v_add_f32_e32 v22, v7, v1
	v_mov_b64_e32 v[0:1], s[4:5]
	v_cmp_gt_i64_e32 vcc, s[26:27], v[0:1]
	s_barrier
	s_cbranch_vccz .LBB530_18
.LBB530_8:                              ; =>This Inner Loop Header: Depth=1
	s_mov_b64 s[18:19], s[2:3]
	s_mov_b64 s[8:9], 0
	s_and_saveexec_b64 s[10:11], s[0:1]
	s_cbranch_execnz .LBB530_16
; %bb.9:                                ;   in Loop: Header=BB530_8 Depth=1
	s_or_b64 exec, exec, s[10:11]
	s_and_saveexec_b64 s[10:11], s[18:19]
	s_xor_b64 s[10:11], exec, s[10:11]
	s_cbranch_execnz .LBB530_17
.LBB530_10:                             ;   in Loop: Header=BB530_8 Depth=1
	s_or_b64 exec, exec, s[10:11]
	v_mov_b32_e32 v0, 0
	s_and_saveexec_b64 s[10:11], s[8:9]
	s_cbranch_execz .LBB530_12
.LBB530_11:                             ;   in Loop: Header=BB530_8 Depth=1
	v_lshl_add_u64 v[0:1], v[18:19], 3, v[12:13]
	flat_load_dwordx2 v[2:3], v[0:1]
	s_waitcnt vmcnt(0) lgkmcnt(0)
	v_xor_b32_e32 v0, 0x80000000, v3
	ds_write_b32 v21, v2
.LBB530_12:                             ;   in Loop: Header=BB530_8 Depth=1
	s_or_b64 exec, exec, s[10:11]
	v_add_u32_e32 v16, s4, v8
	v_cmp_le_u64_e32 vcc, s[26:27], v[16:17]
	s_or_b64 s[8:9], vcc, s[6:7]
	ds_write_b32 v21, v0 offset:4
	s_and_saveexec_b64 s[10:11], s[8:9]
	s_xor_b64 s[8:9], exec, s[10:11]
; %bb.13:                               ;   in Loop: Header=BB530_8 Depth=1
	ds_write_b32 v23, v17
; %bb.14:                               ;   in Loop: Header=BB530_8 Depth=1
	s_or_saveexec_b64 s[8:9], s[8:9]
	v_mov_b32_e32 v0, 0
	s_xor_b64 exec, exec, s[8:9]
	s_cbranch_execz .LBB530_7
; %bb.15:                               ;   in Loop: Header=BB530_8 Depth=1
	v_mad_u64_u32 v[0:1], s[10:11], s16, v16, 0
	v_mov_b32_e32 v2, v1
	v_mad_u64_u32 v[2:3], s[10:11], s17, v16, v[2:3]
	v_mov_b32_e32 v1, v2
	v_lshl_add_u64 v[0:1], v[0:1], 3, v[14:15]
	flat_load_dwordx2 v[2:3], v[0:1]
	s_waitcnt vmcnt(0) lgkmcnt(0)
	v_xor_b32_e32 v0, 0x80000000, v3
	ds_write_b32 v23, v2
	s_branch .LBB530_7
.LBB530_16:                             ;   in Loop: Header=BB530_8 Depth=1
	v_add_u32_e32 v16, s4, v10
	v_cmp_le_u64_e32 vcc, s[26:27], v[16:17]
	s_andn2_b64 s[18:19], s[2:3], exec
	s_and_b64 s[30:31], vcc, exec
	s_mov_b64 s[8:9], exec
	s_or_b64 s[18:19], s[18:19], s[30:31]
	v_mov_b64_e32 v[18:19], v[16:17]
	s_or_b64 exec, exec, s[10:11]
	s_and_saveexec_b64 s[10:11], s[18:19]
	s_xor_b64 s[10:11], exec, s[10:11]
	s_cbranch_execz .LBB530_10
.LBB530_17:                             ;   in Loop: Header=BB530_8 Depth=1
	ds_write_b32 v21, v17
	s_andn2_b64 s[8:9], s[8:9], exec
	s_or_b64 exec, exec, s[10:11]
	v_mov_b32_e32 v0, 0
	s_and_saveexec_b64 s[10:11], s[8:9]
	s_cbranch_execnz .LBB530_11
	s_branch .LBB530_12
.LBB530_18:
	s_lshl_b64 s[0:1], s[28:29], 3
	v_add_u32_e32 v10, s35, v11
	s_waitcnt lgkmcnt(0)
	s_add_u32 s4, s12, s0
	v_ashrrev_i32_e32 v1, 31, v10
	s_addc_u32 s5, s13, s1
	v_cmp_neq_f32_e64 s[0:1], s20, 0
	s_xor_b64 s[6:7], s[24:25], -1
	v_mul_lo_u32 v1, s14, v1
	v_mul_lo_u32 v4, s15, v10
	v_mad_u64_u32 v[2:3], s[8:9], s14, v10, 0
	v_add_u32_e32 v0, s34, v9
	v_add3_u32 v3, v3, v1, v4
	s_or_b64 s[0:1], s[0:1], s[6:7]
	v_cmp_gt_i32_e64 s[2:3], s33, v10
	v_lshl_add_u64 v[4:5], v[2:3], 3, s[4:5]
	v_cmp_le_i32_e32 vcc, v0, v10
	v_cndmask_b32_e64 v2, 0, 1, s[0:1]
	s_and_b64 s[8:9], s[2:3], vcc
	v_ashrrev_i32_e32 v1, 31, v0
	v_cmp_ne_u32_e64 s[0:1], 1, v2
	s_and_saveexec_b64 s[6:7], s[8:9]
	s_cbranch_execz .LBB530_22
; %bb.19:
	v_pk_mul_f32 v[6:7], v[34:35], s[22:23] op_sel:[0,1] op_sel_hi:[0,0]
	v_pk_fma_f32 v[2:3], v[32:33], s[22:23], v[6:7] op_sel_hi:[0,1,1] neg_lo:[0,0,1] neg_hi:[0,0,1]
	v_pk_fma_f32 v[8:9], v[32:33], s[22:23], v[6:7] op_sel_hi:[0,1,1]
	s_and_b64 vcc, exec, s[0:1]
	v_lshl_add_u64 v[6:7], v[0:1], 3, v[4:5]
	s_cbranch_vccnz .LBB530_21
; %bb.20:
	flat_load_dwordx2 v[12:13], v[6:7]
	s_mov_b32 s8, s21
	v_mov_b32_e32 v3, v9
	s_waitcnt vmcnt(0) lgkmcnt(0)
	v_pk_mul_f32 v[8:9], v[12:13], s[8:9] op_sel:[1,0] op_sel_hi:[0,0]
	v_pk_fma_f32 v[14:15], v[12:13], s[20:21], v[8:9] neg_lo:[0,0,1] neg_hi:[0,0,1]
	v_pk_fma_f32 v[8:9], v[12:13], s[20:21], v[8:9] op_sel_hi:[1,0,1]
	s_nop 0
	v_mov_b32_e32 v15, v9
	v_pk_add_f32 v[2:3], v[2:3], v[14:15]
	s_nop 0
	v_mov_b32_e32 v9, v3
.LBB530_21:
	v_mov_b32_e32 v3, v9
	flat_store_dwordx2 v[6:7], v[2:3]
.LBB530_22:
	s_or_b64 exec, exec, s[6:7]
	v_add_u32_e32 v2, 16, v0
	v_cmp_le_i32_e32 vcc, v2, v10
	s_and_b64 s[6:7], s[2:3], vcc
	v_ashrrev_i32_e32 v3, 31, v2
	s_and_saveexec_b64 s[2:3], s[6:7]
	s_cbranch_execz .LBB530_26
; %bb.23:
	v_pk_mul_f32 v[8:9], v[30:31], s[22:23] op_sel:[0,1] op_sel_hi:[0,0]
	v_pk_fma_f32 v[6:7], v[28:29], s[22:23], v[8:9] op_sel_hi:[0,1,1] neg_lo:[0,0,1] neg_hi:[0,0,1]
	v_pk_fma_f32 v[8:9], v[28:29], s[22:23], v[8:9] op_sel_hi:[0,1,1]
	s_and_b64 vcc, exec, s[0:1]
	v_lshl_add_u64 v[4:5], v[2:3], 3, v[4:5]
	s_cbranch_vccnz .LBB530_25
; %bb.24:
	flat_load_dwordx2 v[12:13], v[4:5]
	s_mov_b32 s6, s21
	v_mov_b32_e32 v7, v9
	s_waitcnt vmcnt(0) lgkmcnt(0)
	v_pk_mul_f32 v[8:9], v[12:13], s[6:7] op_sel:[1,0] op_sel_hi:[0,0]
	v_pk_fma_f32 v[14:15], v[12:13], s[20:21], v[8:9] neg_lo:[0,0,1] neg_hi:[0,0,1]
	v_pk_fma_f32 v[8:9], v[12:13], s[20:21], v[8:9] op_sel_hi:[1,0,1]
	s_nop 0
	v_mov_b32_e32 v15, v9
	v_pk_add_f32 v[6:7], v[6:7], v[14:15]
	s_nop 0
	v_mov_b32_e32 v9, v7
.LBB530_25:
	v_mov_b32_e32 v7, v9
	flat_store_dwordx2 v[4:5], v[6:7]
.LBB530_26:
	s_or_b64 exec, exec, s[2:3]
	v_add_u32_e32 v10, 16, v10
	v_ashrrev_i32_e32 v4, 31, v10
	v_mul_lo_u32 v6, s14, v4
	v_mul_lo_u32 v7, s15, v10
	v_mad_u64_u32 v[4:5], s[6:7], s14, v10, 0
	v_cmp_gt_i32_e64 s[2:3], s33, v10
	v_add3_u32 v5, v5, v6, v7
	v_cmp_le_i32_e32 vcc, v0, v10
	v_lshl_add_u64 v[4:5], v[4:5], 3, s[4:5]
	s_and_b64 s[6:7], s[2:3], vcc
	s_and_saveexec_b64 s[4:5], s[6:7]
	s_cbranch_execz .LBB530_30
; %bb.27:
	v_pk_mul_f32 v[8:9], v[26:27], s[22:23] op_sel:[0,1] op_sel_hi:[0,0]
	v_pk_fma_f32 v[6:7], v[24:25], s[22:23], v[8:9] op_sel_hi:[0,1,1] neg_lo:[0,0,1] neg_hi:[0,0,1]
	v_pk_fma_f32 v[8:9], v[24:25], s[22:23], v[8:9] op_sel_hi:[0,1,1]
	s_and_b64 vcc, exec, s[0:1]
	v_lshl_add_u64 v[0:1], v[0:1], 3, v[4:5]
	s_cbranch_vccnz .LBB530_29
; %bb.28:
	flat_load_dwordx2 v[12:13], v[0:1]
	s_mov_b32 s6, s21
	v_mov_b32_e32 v7, v9
	s_waitcnt vmcnt(0) lgkmcnt(0)
	v_pk_mul_f32 v[8:9], v[12:13], s[6:7] op_sel:[1,0] op_sel_hi:[0,0]
	v_pk_fma_f32 v[14:15], v[12:13], s[20:21], v[8:9] neg_lo:[0,0,1] neg_hi:[0,0,1]
	v_pk_fma_f32 v[8:9], v[12:13], s[20:21], v[8:9] op_sel_hi:[1,0,1]
	s_nop 0
	v_mov_b32_e32 v15, v9
	v_pk_add_f32 v[6:7], v[6:7], v[14:15]
	s_nop 0
	v_mov_b32_e32 v9, v7
.LBB530_29:
	v_mov_b32_e32 v7, v9
	flat_store_dwordx2 v[0:1], v[6:7]
.LBB530_30:
	s_or_b64 exec, exec, s[4:5]
	v_cmp_le_i32_e32 vcc, v2, v10
	s_and_b64 s[2:3], s[2:3], vcc
	s_and_saveexec_b64 s[4:5], s[2:3]
	s_cbranch_execz .LBB530_34
; %bb.31:
	v_pk_mul_f32 v[6:7], v[22:23], s[22:23] op_sel:[0,1] op_sel_hi:[0,0]
	v_pk_fma_f32 v[0:1], v[20:21], s[22:23], v[6:7] op_sel_hi:[0,1,1] neg_lo:[0,0,1] neg_hi:[0,0,1]
	v_pk_fma_f32 v[6:7], v[20:21], s[22:23], v[6:7] op_sel_hi:[0,1,1]
	s_and_b64 vcc, exec, s[0:1]
	v_lshl_add_u64 v[2:3], v[2:3], 3, v[4:5]
	s_cbranch_vccnz .LBB530_33
; %bb.32:
	flat_load_dwordx2 v[4:5], v[2:3]
	s_mov_b32 s0, s21
	v_mov_b32_e32 v1, v7
	s_waitcnt vmcnt(0) lgkmcnt(0)
	v_pk_mul_f32 v[6:7], v[4:5], s[0:1] op_sel:[1,0] op_sel_hi:[0,0]
	v_pk_fma_f32 v[8:9], v[4:5], s[20:21], v[6:7] neg_lo:[0,0,1] neg_hi:[0,0,1]
	v_pk_fma_f32 v[4:5], v[4:5], s[20:21], v[6:7] op_sel_hi:[1,0,1]
	s_nop 0
	v_mov_b32_e32 v9, v5
	v_pk_add_f32 v[0:1], v[0:1], v[8:9]
	s_nop 0
	v_mov_b32_e32 v7, v1
.LBB530_33:
	v_mov_b32_e32 v1, v7
	flat_store_dwordx2 v[2:3], v[0:1]
.LBB530_34:
	s_endpgm
	.section	.rodata,"a",@progbits
	.p2align	6, 0x0
	.amdhsa_kernel _ZL29rocblas_internal_gemmt_kernelIlLi16ELi32ELi8ELc67ELc67ELc85ELb1ELb1E19rocblas_complex_numIfES1_PKPKS1_PKPS1_EviT_T9_T10_S9_lSB_S9_lSA_T11_S9_li
		.amdhsa_group_segment_fixed_size 4096
		.amdhsa_private_segment_fixed_size 0
		.amdhsa_kernarg_size 108
		.amdhsa_user_sgpr_count 2
		.amdhsa_user_sgpr_dispatch_ptr 0
		.amdhsa_user_sgpr_queue_ptr 0
		.amdhsa_user_sgpr_kernarg_segment_ptr 1
		.amdhsa_user_sgpr_dispatch_id 0
		.amdhsa_user_sgpr_kernarg_preload_length 0
		.amdhsa_user_sgpr_kernarg_preload_offset 0
		.amdhsa_user_sgpr_private_segment_size 0
		.amdhsa_uses_dynamic_stack 0
		.amdhsa_enable_private_segment 0
		.amdhsa_system_sgpr_workgroup_id_x 1
		.amdhsa_system_sgpr_workgroup_id_y 1
		.amdhsa_system_sgpr_workgroup_id_z 1
		.amdhsa_system_sgpr_workgroup_info 0
		.amdhsa_system_vgpr_workitem_id 1
		.amdhsa_next_free_vgpr 53
		.amdhsa_next_free_sgpr 36
		.amdhsa_accum_offset 56
		.amdhsa_reserve_vcc 1
		.amdhsa_float_round_mode_32 0
		.amdhsa_float_round_mode_16_64 0
		.amdhsa_float_denorm_mode_32 3
		.amdhsa_float_denorm_mode_16_64 3
		.amdhsa_dx10_clamp 1
		.amdhsa_ieee_mode 1
		.amdhsa_fp16_overflow 0
		.amdhsa_tg_split 0
		.amdhsa_exception_fp_ieee_invalid_op 0
		.amdhsa_exception_fp_denorm_src 0
		.amdhsa_exception_fp_ieee_div_zero 0
		.amdhsa_exception_fp_ieee_overflow 0
		.amdhsa_exception_fp_ieee_underflow 0
		.amdhsa_exception_fp_ieee_inexact 0
		.amdhsa_exception_int_div_zero 0
	.end_amdhsa_kernel
	.section	.text._ZL29rocblas_internal_gemmt_kernelIlLi16ELi32ELi8ELc67ELc67ELc85ELb1ELb1E19rocblas_complex_numIfES1_PKPKS1_PKPS1_EviT_T9_T10_S9_lSB_S9_lSA_T11_S9_li,"axG",@progbits,_ZL29rocblas_internal_gemmt_kernelIlLi16ELi32ELi8ELc67ELc67ELc85ELb1ELb1E19rocblas_complex_numIfES1_PKPKS1_PKPS1_EviT_T9_T10_S9_lSB_S9_lSA_T11_S9_li,comdat
.Lfunc_end530:
	.size	_ZL29rocblas_internal_gemmt_kernelIlLi16ELi32ELi8ELc67ELc67ELc85ELb1ELb1E19rocblas_complex_numIfES1_PKPKS1_PKPS1_EviT_T9_T10_S9_lSB_S9_lSA_T11_S9_li, .Lfunc_end530-_ZL29rocblas_internal_gemmt_kernelIlLi16ELi32ELi8ELc67ELc67ELc85ELb1ELb1E19rocblas_complex_numIfES1_PKPKS1_PKPS1_EviT_T9_T10_S9_lSB_S9_lSA_T11_S9_li
                                        ; -- End function
	.set _ZL29rocblas_internal_gemmt_kernelIlLi16ELi32ELi8ELc67ELc67ELc85ELb1ELb1E19rocblas_complex_numIfES1_PKPKS1_PKPS1_EviT_T9_T10_S9_lSB_S9_lSA_T11_S9_li.num_vgpr, 53
	.set _ZL29rocblas_internal_gemmt_kernelIlLi16ELi32ELi8ELc67ELc67ELc85ELb1ELb1E19rocblas_complex_numIfES1_PKPKS1_PKPS1_EviT_T9_T10_S9_lSB_S9_lSA_T11_S9_li.num_agpr, 0
	.set _ZL29rocblas_internal_gemmt_kernelIlLi16ELi32ELi8ELc67ELc67ELc85ELb1ELb1E19rocblas_complex_numIfES1_PKPKS1_PKPS1_EviT_T9_T10_S9_lSB_S9_lSA_T11_S9_li.numbered_sgpr, 36
	.set _ZL29rocblas_internal_gemmt_kernelIlLi16ELi32ELi8ELc67ELc67ELc85ELb1ELb1E19rocblas_complex_numIfES1_PKPKS1_PKPS1_EviT_T9_T10_S9_lSB_S9_lSA_T11_S9_li.num_named_barrier, 0
	.set _ZL29rocblas_internal_gemmt_kernelIlLi16ELi32ELi8ELc67ELc67ELc85ELb1ELb1E19rocblas_complex_numIfES1_PKPKS1_PKPS1_EviT_T9_T10_S9_lSB_S9_lSA_T11_S9_li.private_seg_size, 0
	.set _ZL29rocblas_internal_gemmt_kernelIlLi16ELi32ELi8ELc67ELc67ELc85ELb1ELb1E19rocblas_complex_numIfES1_PKPKS1_PKPS1_EviT_T9_T10_S9_lSB_S9_lSA_T11_S9_li.uses_vcc, 1
	.set _ZL29rocblas_internal_gemmt_kernelIlLi16ELi32ELi8ELc67ELc67ELc85ELb1ELb1E19rocblas_complex_numIfES1_PKPKS1_PKPS1_EviT_T9_T10_S9_lSB_S9_lSA_T11_S9_li.uses_flat_scratch, 0
	.set _ZL29rocblas_internal_gemmt_kernelIlLi16ELi32ELi8ELc67ELc67ELc85ELb1ELb1E19rocblas_complex_numIfES1_PKPKS1_PKPS1_EviT_T9_T10_S9_lSB_S9_lSA_T11_S9_li.has_dyn_sized_stack, 0
	.set _ZL29rocblas_internal_gemmt_kernelIlLi16ELi32ELi8ELc67ELc67ELc85ELb1ELb1E19rocblas_complex_numIfES1_PKPKS1_PKPS1_EviT_T9_T10_S9_lSB_S9_lSA_T11_S9_li.has_recursion, 0
	.set _ZL29rocblas_internal_gemmt_kernelIlLi16ELi32ELi8ELc67ELc67ELc85ELb1ELb1E19rocblas_complex_numIfES1_PKPKS1_PKPS1_EviT_T9_T10_S9_lSB_S9_lSA_T11_S9_li.has_indirect_call, 0
	.section	.AMDGPU.csdata,"",@progbits
; Kernel info:
; codeLenInByte = 2692
; TotalNumSgprs: 42
; NumVgprs: 53
; NumAgprs: 0
; TotalNumVgprs: 53
; ScratchSize: 0
; MemoryBound: 0
; FloatMode: 240
; IeeeMode: 1
; LDSByteSize: 4096 bytes/workgroup (compile time only)
; SGPRBlocks: 5
; VGPRBlocks: 6
; NumSGPRsForWavesPerEU: 42
; NumVGPRsForWavesPerEU: 53
; AccumOffset: 56
; Occupancy: 8
; WaveLimiterHint : 1
; COMPUTE_PGM_RSRC2:SCRATCH_EN: 0
; COMPUTE_PGM_RSRC2:USER_SGPR: 2
; COMPUTE_PGM_RSRC2:TRAP_HANDLER: 0
; COMPUTE_PGM_RSRC2:TGID_X_EN: 1
; COMPUTE_PGM_RSRC2:TGID_Y_EN: 1
; COMPUTE_PGM_RSRC2:TGID_Z_EN: 1
; COMPUTE_PGM_RSRC2:TIDIG_COMP_CNT: 1
; COMPUTE_PGM_RSRC3_GFX90A:ACCUM_OFFSET: 13
; COMPUTE_PGM_RSRC3_GFX90A:TG_SPLIT: 0
	.section	.text._ZL29rocblas_internal_gemmt_kernelIlLi16ELi32ELi8ELc78ELc78ELc76ELb0ELb0E19rocblas_complex_numIfES1_PKPKS1_PKPS1_EviT_T9_T10_S9_lSB_S9_lSA_T11_S9_li,"axG",@progbits,_ZL29rocblas_internal_gemmt_kernelIlLi16ELi32ELi8ELc78ELc78ELc76ELb0ELb0E19rocblas_complex_numIfES1_PKPKS1_PKPS1_EviT_T9_T10_S9_lSB_S9_lSA_T11_S9_li,comdat
	.globl	_ZL29rocblas_internal_gemmt_kernelIlLi16ELi32ELi8ELc78ELc78ELc76ELb0ELb0E19rocblas_complex_numIfES1_PKPKS1_PKPS1_EviT_T9_T10_S9_lSB_S9_lSA_T11_S9_li ; -- Begin function _ZL29rocblas_internal_gemmt_kernelIlLi16ELi32ELi8ELc78ELc78ELc76ELb0ELb0E19rocblas_complex_numIfES1_PKPKS1_PKPS1_EviT_T9_T10_S9_lSB_S9_lSA_T11_S9_li
	.p2align	8
	.type	_ZL29rocblas_internal_gemmt_kernelIlLi16ELi32ELi8ELc78ELc78ELc76ELb0ELb0E19rocblas_complex_numIfES1_PKPKS1_PKPS1_EviT_T9_T10_S9_lSB_S9_lSA_T11_S9_li,@function
_ZL29rocblas_internal_gemmt_kernelIlLi16ELi32ELi8ELc78ELc78ELc76ELb0ELb0E19rocblas_complex_numIfES1_PKPKS1_PKPS1_EviT_T9_T10_S9_lSB_S9_lSA_T11_S9_li: ; @_ZL29rocblas_internal_gemmt_kernelIlLi16ELi32ELi8ELc78ELc78ELc76ELb0ELb0E19rocblas_complex_numIfES1_PKPKS1_PKPS1_EviT_T9_T10_S9_lSB_S9_lSA_T11_S9_li
; %bb.0:
	s_load_dwordx2 s[20:21], s[0:1], 0x48
	s_load_dwordx2 s[22:23], s[0:1], 0x10
	s_waitcnt lgkmcnt(0)
	s_and_b32 s5, s21, 0x7fffffff
	s_cmp_eq_u32 s5, 0
	v_cmp_eq_f32_e64 s[6:7], s20, 1.0
	s_cselect_b64 s[24:25], -1, 0
	s_and_b64 s[6:7], s[6:7], s[24:25]
	s_and_b64 vcc, exec, s[6:7]
	s_cbranch_vccnz .LBB531_2
; %bb.1:
	s_mov_b64 s[6:7], -1
	s_load_dwordx2 s[26:27], s[0:1], 0x8
	s_cbranch_execz .LBB531_3
	s_branch .LBB531_4
.LBB531_2:
	s_mov_b64 s[6:7], 0
	s_load_dwordx2 s[26:27], s[0:1], 0x8
.LBB531_3:
	s_waitcnt lgkmcnt(0)
	s_cmp_lg_u64 s[26:27], 0
	v_cmp_neq_f32_e64 s[8:9], s22, 0
	v_cmp_neq_f32_e64 s[10:11], s23, 0
	s_cselect_b64 s[6:7], -1, 0
	s_or_b64 s[8:9], s[8:9], s[10:11]
	s_and_b64 s[6:7], s[6:7], s[8:9]
.LBB531_4:
	s_andn2_b64 vcc, exec, s[6:7]
	s_cbranch_vccnz .LBB531_30
; %bb.5:
	s_load_dwordx2 s[28:29], s[0:1], 0x60
	s_load_dword s33, s[0:1], 0x0
	s_load_dwordx4 s[12:15], s[0:1], 0x50
	s_mov_b32 s5, 0
	s_lshl_b64 s[30:31], s[4:5], 3
	v_and_b32_e32 v9, 0x3ff, v0
	v_bfe_u32 v11, v0, 10, 10
	s_waitcnt lgkmcnt(0)
	s_add_u32 s4, s12, s30
	s_addc_u32 s5, s13, s31
	s_load_dwordx2 s[12:13], s[4:5], 0x0
	s_lshl_b32 s34, s2, 5
	s_lshl_b32 s35, s3, 5
	v_cmp_eq_f32_e64 s[2:3], s22, 0
	v_cmp_eq_f32_e64 s[4:5], s23, 0
	s_and_b64 s[2:3], s[2:3], s[4:5]
	v_cmp_lt_i64_e64 s[4:5], s[26:27], 1
	s_or_b64 s[2:3], s[2:3], s[4:5]
	v_mov_b32_e32 v30, 0
	s_and_b64 vcc, exec, s[2:3]
	v_mov_b32_e32 v32, 0
	v_mov_b32_e32 v26, 0
	;; [unrolled: 1-line block ×7, first 2 shown]
	s_cbranch_vccnz .LBB531_14
; %bb.6:
	s_load_dwordx8 s[4:11], s[0:1], 0x18
	s_load_dwordx4 s[16:19], s[0:1], 0x38
	v_lshl_add_u32 v0, v11, 4, v9
	v_and_b32_e32 v1, 31, v0
	v_lshrrev_b32_e32 v10, 5, v0
	s_waitcnt lgkmcnt(0)
	s_add_u32 s0, s10, s30
	s_addc_u32 s1, s11, s31
	s_load_dwordx2 s[0:1], s[0:1], 0x0
	s_lshl_b64 s[2:3], s[18:19], 3
	v_lshrrev_b32_e32 v2, 3, v0
	v_or_b32_e32 v0, s34, v1
	v_lshlrev_b32_e32 v1, 3, v1
	s_waitcnt lgkmcnt(0)
	s_add_u32 s10, s0, s2
	s_addc_u32 s11, s1, s3
	s_add_u32 s0, s4, s30
	s_addc_u32 s1, s5, s31
	s_load_dwordx2 s[2:3], s[0:1], 0x0
	s_lshl_b64 s[4:5], s[8:9], 3
	v_and_b32_e32 v8, 7, v9
	v_lshl_or_b32 v19, v10, 8, v1
	v_ashrrev_i32_e32 v1, 31, v0
	s_waitcnt lgkmcnt(0)
	s_add_u32 s2, s2, s4
	s_addc_u32 s3, s3, s5
	v_cmp_gt_i32_e64 s[0:1], s33, v0
	v_lshl_add_u64 v[12:13], v[0:1], 3, s[2:3]
	v_lshlrev_b32_e32 v0, 3, v8
	v_add_u32_e32 v3, s35, v2
	v_lshl_or_b32 v0, v2, 6, v0
	v_add_u32_e32 v21, 0x800, v0
	v_ashrrev_i32_e32 v0, 31, v3
	v_mul_lo_u32 v2, s16, v0
	v_mul_lo_u32 v4, s17, v3
	v_mad_u64_u32 v[0:1], s[4:5], s16, v3, 0
	v_add3_u32 v1, v1, v2, v4
	v_lshl_add_u64 v[14:15], v[0:1], 3, s[10:11]
	v_mov_b32_e32 v0, 0x800
	v_cmp_gt_i32_e64 s[2:3], s33, v3
	v_lshlrev_b32_e32 v23, 3, v9
	v_lshl_add_u32 v25, v11, 6, v0
	v_mov_b32_e32 v17, 0
	s_mov_b64 s[4:5], 0
	v_mov_b32_e32 v20, 0
	v_mov_b32_e32 v18, 0
	;; [unrolled: 1-line block ×8, first 2 shown]
	s_branch .LBB531_8
.LBB531_7:                              ;   in Loop: Header=BB531_8 Depth=1
	s_or_b64 exec, exec, s[8:9]
	s_waitcnt vmcnt(0) lgkmcnt(0)
	ds_write_b64 v21, v[0:1]
	s_waitcnt lgkmcnt(0)
	s_barrier
	ds_read2_b64 v[34:37], v23 offset1:16
	ds_read_b128 v[38:41], v25
	ds_read_b128 v[42:45], v25 offset:16
	ds_read_b128 v[4:7], v25 offset:32
	;; [unrolled: 1-line block ×3, first 2 shown]
	s_add_u32 s4, s4, 8
	s_waitcnt lgkmcnt(3)
	v_mul_f32_e32 v16, v39, v35
	v_mul_f32_e32 v27, v38, v35
	v_fma_f32 v16, v38, v34, -v16
	v_fmac_f32_e32 v27, v39, v34
	v_add_f32_e32 v16, v30, v16
	v_add_f32_e32 v50, v32, v27
	ds_read_b128 v[30:33], v25 offset:1024
	v_mul_f32_e32 v27, v39, v37
	v_mul_f32_e32 v29, v38, v37
	v_fma_f32 v27, v38, v36, -v27
	v_fmac_f32_e32 v29, v39, v36
	v_add_f32_e32 v38, v26, v27
	v_add_f32_e32 v39, v28, v29
	ds_read_b128 v[26:29], v25 offset:1040
	s_waitcnt lgkmcnt(1)
	v_mul_f32_e32 v46, v31, v35
	v_fma_f32 v46, v30, v34, -v46
	v_add_f32_e32 v22, v22, v46
	ds_read2_b64 v[46:49], v23 offset0:32 offset1:48
	v_mul_f32_e32 v35, v30, v35
	v_fmac_f32_e32 v35, v31, v34
	v_mul_f32_e32 v34, v31, v37
	v_fma_f32 v34, v30, v36, -v34
	v_mul_f32_e32 v30, v30, v37
	v_fmac_f32_e32 v30, v31, v36
	v_add_f32_e32 v20, v20, v30
	s_waitcnt lgkmcnt(0)
	v_mul_f32_e32 v30, v41, v47
	v_mul_f32_e32 v31, v40, v47
	v_fma_f32 v30, v40, v46, -v30
	v_fmac_f32_e32 v31, v41, v46
	v_add_f32_e32 v18, v18, v34
	v_add_f32_e32 v16, v16, v30
	;; [unrolled: 1-line block ×3, first 2 shown]
	v_mul_f32_e32 v31, v41, v49
	v_mul_f32_e32 v34, v40, v49
	v_fma_f32 v31, v40, v48, -v31
	v_fmac_f32_e32 v34, v41, v48
	v_add_f32_e32 v31, v38, v31
	v_add_f32_e32 v38, v39, v34
	v_mul_f32_e32 v34, v33, v47
	v_add_f32_e32 v24, v24, v35
	v_fma_f32 v34, v32, v46, -v34
	v_mul_f32_e32 v35, v32, v47
	v_fmac_f32_e32 v35, v33, v46
	v_add_f32_e32 v22, v22, v34
	v_mul_f32_e32 v34, v33, v49
	v_add_f32_e32 v24, v24, v35
	v_fma_f32 v39, v32, v48, -v34
	ds_read2_b64 v[34:37], v23 offset0:64 offset1:80
	v_mul_f32_e32 v32, v32, v49
	v_fmac_f32_e32 v32, v33, v48
	v_add_f32_e32 v18, v18, v39
	v_add_f32_e32 v20, v20, v32
	s_waitcnt lgkmcnt(0)
	v_mul_f32_e32 v33, v42, v35
	v_fmac_f32_e32 v33, v43, v34
	v_add_f32_e32 v39, v30, v33
	v_mul_f32_e32 v30, v43, v37
	v_mul_f32_e32 v32, v43, v35
	v_fma_f32 v30, v42, v36, -v30
	v_fma_f32 v32, v42, v34, -v32
	v_add_f32_e32 v40, v31, v30
	v_mul_f32_e32 v30, v27, v35
	v_add_f32_e32 v16, v16, v32
	v_mul_f32_e32 v32, v42, v37
	v_fma_f32 v30, v26, v34, -v30
	v_mul_f32_e32 v31, v26, v35
	v_fmac_f32_e32 v32, v43, v36
	v_fmac_f32_e32 v31, v27, v34
	v_add_f32_e32 v22, v22, v30
	v_mul_f32_e32 v30, v27, v37
	v_add_f32_e32 v38, v38, v32
	v_add_f32_e32 v24, v24, v31
	v_fma_f32 v34, v26, v36, -v30
	ds_read2_b64 v[30:33], v23 offset0:96 offset1:112
	v_mul_f32_e32 v26, v26, v37
	v_fmac_f32_e32 v26, v27, v36
	v_add_f32_e32 v20, v20, v26
	v_add_f32_e32 v18, v18, v34
	s_waitcnt lgkmcnt(0)
	v_mul_f32_e32 v26, v45, v31
	v_mul_f32_e32 v27, v44, v31
	v_fma_f32 v26, v44, v30, -v26
	v_fmac_f32_e32 v27, v45, v30
	v_add_f32_e32 v16, v16, v26
	v_add_f32_e32 v26, v39, v27
	v_mul_f32_e32 v27, v45, v33
	v_mul_f32_e32 v34, v44, v33
	v_fma_f32 v27, v44, v32, -v27
	v_fmac_f32_e32 v34, v45, v32
	v_add_f32_e32 v39, v40, v27
	v_add_f32_e32 v38, v38, v34
	v_mul_f32_e32 v27, v29, v31
	ds_read2_b64 v[34:37], v23 offset0:128 offset1:144
	v_fma_f32 v27, v28, v30, -v27
	v_add_f32_e32 v22, v22, v27
	v_mul_f32_e32 v27, v29, v33
	v_mul_f32_e32 v31, v28, v31
	v_fma_f32 v27, v28, v32, -v27
	v_mul_f32_e32 v28, v28, v33
	v_fmac_f32_e32 v28, v29, v32
	v_add_f32_e32 v20, v20, v28
	s_waitcnt lgkmcnt(0)
	v_mul_f32_e32 v28, v4, v35
	v_add_f32_e32 v18, v18, v27
	v_mul_f32_e32 v27, v5, v35
	v_fmac_f32_e32 v28, v5, v34
	v_fma_f32 v27, v4, v34, -v27
	v_add_f32_e32 v42, v26, v28
	v_mul_f32_e32 v26, v5, v37
	v_fmac_f32_e32 v31, v29, v30
	v_add_f32_e32 v16, v16, v27
	v_fma_f32 v30, v4, v36, -v26
	ds_read_b128 v[26:29], v25 offset:1056
	v_mul_f32_e32 v4, v4, v37
	v_fmac_f32_e32 v4, v5, v36
	v_add_f32_e32 v5, v39, v30
	v_add_f32_e32 v4, v38, v4
	ds_read_b128 v[38:41], v25 offset:1072
	s_waitcnt lgkmcnt(1)
	v_mul_f32_e32 v30, v27, v35
	v_add_f32_e32 v24, v24, v31
	v_fma_f32 v30, v26, v34, -v30
	v_mul_f32_e32 v31, v26, v35
	v_fmac_f32_e32 v31, v27, v34
	v_add_f32_e32 v22, v22, v30
	v_mul_f32_e32 v30, v27, v37
	v_add_f32_e32 v24, v24, v31
	v_fma_f32 v34, v26, v36, -v30
	ds_read2_b64 v[30:33], v23 offset0:160 offset1:176
	v_mul_f32_e32 v26, v26, v37
	v_fmac_f32_e32 v26, v27, v36
	v_add_f32_e32 v20, v20, v26
	v_add_f32_e32 v18, v18, v34
	s_waitcnt lgkmcnt(0)
	v_mul_f32_e32 v26, v7, v31
	v_mul_f32_e32 v27, v6, v31
	v_fma_f32 v26, v6, v30, -v26
	v_fmac_f32_e32 v27, v7, v30
	v_add_f32_e32 v16, v16, v26
	v_add_f32_e32 v26, v42, v27
	v_mul_f32_e32 v27, v7, v33
	v_fma_f32 v27, v6, v32, -v27
	v_mul_f32_e32 v6, v6, v33
	v_fmac_f32_e32 v6, v7, v32
	v_add_f32_e32 v34, v4, v6
	v_mul_f32_e32 v4, v29, v31
	v_add_f32_e32 v27, v5, v27
	v_fma_f32 v4, v28, v30, -v4
	v_mul_f32_e32 v5, v28, v31
	v_fmac_f32_e32 v5, v29, v30
	v_add_f32_e32 v22, v22, v4
	v_mul_f32_e32 v4, v29, v33
	v_add_f32_e32 v24, v24, v5
	v_fma_f32 v30, v28, v32, -v4
	ds_read2_b64 v[4:7], v23 offset0:192 offset1:208
	v_mul_f32_e32 v28, v28, v33
	v_fmac_f32_e32 v28, v29, v32
	v_add_f32_e32 v20, v20, v28
	v_add_f32_e32 v18, v18, v30
	s_waitcnt lgkmcnt(0)
	v_mul_f32_e32 v28, v1, v5
	v_fma_f32 v28, v0, v4, -v28
	v_add_f32_e32 v16, v16, v28
	v_mul_f32_e32 v28, v1, v7
	v_mul_f32_e32 v29, v0, v5
	v_fma_f32 v28, v0, v6, -v28
	v_mul_f32_e32 v0, v0, v7
	v_fmac_f32_e32 v0, v1, v6
	v_add_f32_e32 v0, v34, v0
	ds_read2_b64 v[34:37], v23 offset0:224 offset1:240
	v_fmac_f32_e32 v29, v1, v4
	v_add_f32_e32 v1, v27, v28
	v_mul_f32_e32 v27, v39, v5
	v_fma_f32 v27, v38, v4, -v27
	v_mul_f32_e32 v5, v38, v5
	v_fmac_f32_e32 v5, v39, v4
	v_add_f32_e32 v4, v22, v27
	v_mul_f32_e32 v22, v39, v7
	v_fma_f32 v22, v38, v6, -v22
	v_mul_f32_e32 v7, v38, v7
	v_fmac_f32_e32 v7, v39, v6
	v_add_f32_e32 v6, v18, v22
	s_waitcnt lgkmcnt(0)
	v_mul_f32_e32 v18, v3, v35
	v_fma_f32 v18, v2, v34, -v18
	v_add_f32_e32 v30, v16, v18
	v_mul_f32_e32 v16, v3, v37
	v_add_f32_e32 v7, v20, v7
	v_mul_f32_e32 v20, v2, v35
	v_fma_f32 v16, v2, v36, -v16
	v_mul_f32_e32 v2, v2, v37
	v_add_f32_e32 v26, v26, v29
	v_fmac_f32_e32 v20, v3, v34
	v_fmac_f32_e32 v2, v3, v36
	v_add_f32_e32 v32, v26, v20
	v_add_f32_e32 v26, v1, v16
	;; [unrolled: 1-line block ×3, first 2 shown]
	v_mul_f32_e32 v0, v41, v35
	v_mul_f32_e32 v1, v40, v35
	v_add_f32_e32 v5, v24, v5
	v_fma_f32 v0, v40, v34, -v0
	v_fmac_f32_e32 v1, v41, v34
	v_add_f32_e32 v22, v4, v0
	v_add_f32_e32 v24, v5, v1
	v_mul_f32_e32 v0, v41, v37
	v_mul_f32_e32 v1, v40, v37
	v_fma_f32 v0, v40, v36, -v0
	v_fmac_f32_e32 v1, v41, v36
	s_addc_u32 s5, s5, 0
	v_add_f32_e32 v18, v6, v0
	v_add_f32_e32 v20, v7, v1
	v_mov_b64_e32 v[0:1], s[4:5]
	v_cmp_gt_i64_e32 vcc, s[26:27], v[0:1]
	s_barrier
	s_cbranch_vccz .LBB531_14
.LBB531_8:                              ; =>This Inner Loop Header: Depth=1
	v_mov_b32_e32 v0, 0
	v_mov_b32_e32 v1, 0
	s_and_saveexec_b64 s[8:9], s[0:1]
	s_cbranch_execz .LBB531_12
; %bb.9:                                ;   in Loop: Header=BB531_8 Depth=1
	v_add_u32_e32 v16, s4, v10
	v_cmp_gt_u64_e32 vcc, s[26:27], v[16:17]
	v_mov_b32_e32 v1, 0
	v_mov_b32_e32 v0, 0
	s_and_saveexec_b64 s[10:11], vcc
	s_cbranch_execz .LBB531_11
; %bb.10:                               ;   in Loop: Header=BB531_8 Depth=1
	v_mad_u64_u32 v[0:1], s[16:17], s6, v16, 0
	v_mov_b32_e32 v2, v1
	v_mad_u64_u32 v[2:3], s[16:17], s7, v16, v[2:3]
	v_mov_b32_e32 v1, v2
	v_lshl_add_u64 v[0:1], v[0:1], 3, v[12:13]
	flat_load_dwordx2 v[0:1], v[0:1]
.LBB531_11:                             ;   in Loop: Header=BB531_8 Depth=1
	s_or_b64 exec, exec, s[10:11]
.LBB531_12:                             ;   in Loop: Header=BB531_8 Depth=1
	s_or_b64 exec, exec, s[8:9]
	v_add_u32_e32 v16, s4, v8
	v_cmp_gt_u64_e32 vcc, s[26:27], v[16:17]
	s_waitcnt vmcnt(0) lgkmcnt(0)
	ds_write_b64 v19, v[0:1]
	s_and_b64 s[10:11], vcc, s[2:3]
	v_mov_b32_e32 v0, 0
	v_mov_b32_e32 v1, 0
	s_and_saveexec_b64 s[8:9], s[10:11]
	s_cbranch_execz .LBB531_7
; %bb.13:                               ;   in Loop: Header=BB531_8 Depth=1
	v_lshl_add_u64 v[0:1], v[16:17], 3, v[14:15]
	flat_load_dwordx2 v[0:1], v[0:1]
	s_branch .LBB531_7
.LBB531_14:
	s_lshl_b64 s[0:1], s[28:29], 3
	v_add_u32_e32 v10, s35, v11
	s_waitcnt lgkmcnt(0)
	s_add_u32 s6, s12, s0
	v_ashrrev_i32_e32 v1, 31, v10
	s_addc_u32 s7, s13, s1
	v_cmp_neq_f32_e64 s[0:1], s20, 0
	s_xor_b64 s[4:5], s[24:25], -1
	v_mul_lo_u32 v1, s14, v1
	v_mul_lo_u32 v4, s15, v10
	v_mad_u64_u32 v[2:3], s[2:3], s14, v10, 0
	v_add_u32_e32 v0, s34, v9
	v_add3_u32 v3, v3, v1, v4
	s_or_b64 s[0:1], s[0:1], s[4:5]
	v_lshl_add_u64 v[4:5], v[2:3], 3, s[6:7]
	v_cmp_le_i32_e32 vcc, v10, v0
	v_cmp_gt_i32_e64 s[2:3], s33, v0
	v_cndmask_b32_e64 v2, 0, 1, s[0:1]
	s_and_b64 s[8:9], vcc, s[2:3]
	v_ashrrev_i32_e32 v1, 31, v0
	v_cmp_ne_u32_e64 s[0:1], 1, v2
	s_and_saveexec_b64 s[4:5], s[8:9]
	s_cbranch_execz .LBB531_18
; %bb.15:
	v_pk_mul_f32 v[6:7], v[32:33], s[22:23] op_sel:[0,1] op_sel_hi:[0,0]
	v_pk_fma_f32 v[2:3], v[30:31], s[22:23], v[6:7] op_sel_hi:[0,1,1] neg_lo:[0,0,1] neg_hi:[0,0,1]
	v_pk_fma_f32 v[8:9], v[30:31], s[22:23], v[6:7] op_sel_hi:[0,1,1]
	s_and_b64 vcc, exec, s[0:1]
	v_lshl_add_u64 v[6:7], v[0:1], 3, v[4:5]
	s_cbranch_vccnz .LBB531_17
; %bb.16:
	flat_load_dwordx2 v[12:13], v[6:7]
	s_mov_b32 s8, s21
	v_mov_b32_e32 v3, v9
	s_waitcnt vmcnt(0) lgkmcnt(0)
	v_pk_mul_f32 v[8:9], v[12:13], s[8:9] op_sel:[1,0] op_sel_hi:[0,0]
	v_pk_fma_f32 v[14:15], v[12:13], s[20:21], v[8:9] neg_lo:[0,0,1] neg_hi:[0,0,1]
	v_pk_fma_f32 v[8:9], v[12:13], s[20:21], v[8:9] op_sel_hi:[1,0,1]
	s_nop 0
	v_mov_b32_e32 v15, v9
	v_pk_add_f32 v[2:3], v[2:3], v[14:15]
	s_nop 0
	v_mov_b32_e32 v9, v3
.LBB531_17:
	v_mov_b32_e32 v3, v9
	flat_store_dwordx2 v[6:7], v[2:3]
.LBB531_18:
	s_or_b64 exec, exec, s[4:5]
	v_add_u32_e32 v2, 16, v0
	v_cmp_le_i32_e32 vcc, v10, v2
	v_cmp_gt_i32_e64 s[4:5], s33, v2
	s_and_b64 s[10:11], vcc, s[4:5]
	v_ashrrev_i32_e32 v3, 31, v2
	s_and_saveexec_b64 s[8:9], s[10:11]
	s_cbranch_execz .LBB531_22
; %bb.19:
	v_pk_mul_f32 v[8:9], v[28:29], s[22:23] op_sel:[0,1] op_sel_hi:[0,0]
	v_pk_fma_f32 v[6:7], v[26:27], s[22:23], v[8:9] op_sel_hi:[0,1,1] neg_lo:[0,0,1] neg_hi:[0,0,1]
	v_pk_fma_f32 v[8:9], v[26:27], s[22:23], v[8:9] op_sel_hi:[0,1,1]
	s_and_b64 vcc, exec, s[0:1]
	v_lshl_add_u64 v[4:5], v[2:3], 3, v[4:5]
	s_cbranch_vccnz .LBB531_21
; %bb.20:
	flat_load_dwordx2 v[12:13], v[4:5]
	s_mov_b32 s10, s21
	v_mov_b32_e32 v7, v9
	s_waitcnt vmcnt(0) lgkmcnt(0)
	v_pk_mul_f32 v[8:9], v[12:13], s[10:11] op_sel:[1,0] op_sel_hi:[0,0]
	v_pk_fma_f32 v[14:15], v[12:13], s[20:21], v[8:9] neg_lo:[0,0,1] neg_hi:[0,0,1]
	v_pk_fma_f32 v[8:9], v[12:13], s[20:21], v[8:9] op_sel_hi:[1,0,1]
	s_nop 0
	v_mov_b32_e32 v15, v9
	v_pk_add_f32 v[6:7], v[6:7], v[14:15]
	s_nop 0
	v_mov_b32_e32 v9, v7
.LBB531_21:
	v_mov_b32_e32 v7, v9
	flat_store_dwordx2 v[4:5], v[6:7]
.LBB531_22:
	s_or_b64 exec, exec, s[8:9]
	v_add_u32_e32 v10, 16, v10
	v_ashrrev_i32_e32 v4, 31, v10
	v_mul_lo_u32 v6, s14, v4
	v_mul_lo_u32 v7, s15, v10
	v_mad_u64_u32 v[4:5], s[8:9], s14, v10, 0
	v_add3_u32 v5, v5, v6, v7
	v_cmp_le_i32_e32 vcc, v10, v0
	v_lshl_add_u64 v[4:5], v[4:5], 3, s[6:7]
	s_and_b64 s[6:7], vcc, s[2:3]
	s_and_saveexec_b64 s[2:3], s[6:7]
	s_cbranch_execz .LBB531_26
; %bb.23:
	v_pk_mul_f32 v[8:9], v[24:25], s[22:23] op_sel:[0,1] op_sel_hi:[0,0]
	v_pk_fma_f32 v[6:7], v[22:23], s[22:23], v[8:9] op_sel_hi:[0,1,1] neg_lo:[0,0,1] neg_hi:[0,0,1]
	v_pk_fma_f32 v[8:9], v[22:23], s[22:23], v[8:9] op_sel_hi:[0,1,1]
	s_and_b64 vcc, exec, s[0:1]
	v_lshl_add_u64 v[0:1], v[0:1], 3, v[4:5]
	s_cbranch_vccnz .LBB531_25
; %bb.24:
	flat_load_dwordx2 v[12:13], v[0:1]
	s_mov_b32 s6, s21
	v_mov_b32_e32 v7, v9
	s_waitcnt vmcnt(0) lgkmcnt(0)
	v_pk_mul_f32 v[8:9], v[12:13], s[6:7] op_sel:[1,0] op_sel_hi:[0,0]
	v_pk_fma_f32 v[14:15], v[12:13], s[20:21], v[8:9] neg_lo:[0,0,1] neg_hi:[0,0,1]
	v_pk_fma_f32 v[8:9], v[12:13], s[20:21], v[8:9] op_sel_hi:[1,0,1]
	s_nop 0
	v_mov_b32_e32 v15, v9
	v_pk_add_f32 v[6:7], v[6:7], v[14:15]
	s_nop 0
	v_mov_b32_e32 v9, v7
.LBB531_25:
	v_mov_b32_e32 v7, v9
	flat_store_dwordx2 v[0:1], v[6:7]
.LBB531_26:
	s_or_b64 exec, exec, s[2:3]
	v_cmp_le_i32_e32 vcc, v10, v2
	s_and_b64 s[2:3], vcc, s[4:5]
	s_and_saveexec_b64 s[4:5], s[2:3]
	s_cbranch_execz .LBB531_30
; %bb.27:
	v_pk_mul_f32 v[6:7], v[20:21], s[22:23] op_sel:[0,1] op_sel_hi:[0,0]
	v_pk_fma_f32 v[0:1], v[18:19], s[22:23], v[6:7] op_sel_hi:[0,1,1] neg_lo:[0,0,1] neg_hi:[0,0,1]
	v_pk_fma_f32 v[6:7], v[18:19], s[22:23], v[6:7] op_sel_hi:[0,1,1]
	s_and_b64 vcc, exec, s[0:1]
	v_lshl_add_u64 v[2:3], v[2:3], 3, v[4:5]
	s_cbranch_vccnz .LBB531_29
; %bb.28:
	flat_load_dwordx2 v[4:5], v[2:3]
	s_mov_b32 s0, s21
	v_mov_b32_e32 v1, v7
	s_waitcnt vmcnt(0) lgkmcnt(0)
	v_pk_mul_f32 v[6:7], v[4:5], s[0:1] op_sel:[1,0] op_sel_hi:[0,0]
	v_pk_fma_f32 v[8:9], v[4:5], s[20:21], v[6:7] neg_lo:[0,0,1] neg_hi:[0,0,1]
	v_pk_fma_f32 v[4:5], v[4:5], s[20:21], v[6:7] op_sel_hi:[1,0,1]
	s_nop 0
	v_mov_b32_e32 v9, v5
	v_pk_add_f32 v[0:1], v[0:1], v[8:9]
	s_nop 0
	v_mov_b32_e32 v7, v1
.LBB531_29:
	v_mov_b32_e32 v1, v7
	flat_store_dwordx2 v[2:3], v[0:1]
.LBB531_30:
	s_endpgm
	.section	.rodata,"a",@progbits
	.p2align	6, 0x0
	.amdhsa_kernel _ZL29rocblas_internal_gemmt_kernelIlLi16ELi32ELi8ELc78ELc78ELc76ELb0ELb0E19rocblas_complex_numIfES1_PKPKS1_PKPS1_EviT_T9_T10_S9_lSB_S9_lSA_T11_S9_li
		.amdhsa_group_segment_fixed_size 4096
		.amdhsa_private_segment_fixed_size 0
		.amdhsa_kernarg_size 108
		.amdhsa_user_sgpr_count 2
		.amdhsa_user_sgpr_dispatch_ptr 0
		.amdhsa_user_sgpr_queue_ptr 0
		.amdhsa_user_sgpr_kernarg_segment_ptr 1
		.amdhsa_user_sgpr_dispatch_id 0
		.amdhsa_user_sgpr_kernarg_preload_length 0
		.amdhsa_user_sgpr_kernarg_preload_offset 0
		.amdhsa_user_sgpr_private_segment_size 0
		.amdhsa_uses_dynamic_stack 0
		.amdhsa_enable_private_segment 0
		.amdhsa_system_sgpr_workgroup_id_x 1
		.amdhsa_system_sgpr_workgroup_id_y 1
		.amdhsa_system_sgpr_workgroup_id_z 1
		.amdhsa_system_sgpr_workgroup_info 0
		.amdhsa_system_vgpr_workitem_id 1
		.amdhsa_next_free_vgpr 51
		.amdhsa_next_free_sgpr 36
		.amdhsa_accum_offset 52
		.amdhsa_reserve_vcc 1
		.amdhsa_float_round_mode_32 0
		.amdhsa_float_round_mode_16_64 0
		.amdhsa_float_denorm_mode_32 3
		.amdhsa_float_denorm_mode_16_64 3
		.amdhsa_dx10_clamp 1
		.amdhsa_ieee_mode 1
		.amdhsa_fp16_overflow 0
		.amdhsa_tg_split 0
		.amdhsa_exception_fp_ieee_invalid_op 0
		.amdhsa_exception_fp_denorm_src 0
		.amdhsa_exception_fp_ieee_div_zero 0
		.amdhsa_exception_fp_ieee_overflow 0
		.amdhsa_exception_fp_ieee_underflow 0
		.amdhsa_exception_fp_ieee_inexact 0
		.amdhsa_exception_int_div_zero 0
	.end_amdhsa_kernel
	.section	.text._ZL29rocblas_internal_gemmt_kernelIlLi16ELi32ELi8ELc78ELc78ELc76ELb0ELb0E19rocblas_complex_numIfES1_PKPKS1_PKPS1_EviT_T9_T10_S9_lSB_S9_lSA_T11_S9_li,"axG",@progbits,_ZL29rocblas_internal_gemmt_kernelIlLi16ELi32ELi8ELc78ELc78ELc76ELb0ELb0E19rocblas_complex_numIfES1_PKPKS1_PKPS1_EviT_T9_T10_S9_lSB_S9_lSA_T11_S9_li,comdat
.Lfunc_end531:
	.size	_ZL29rocblas_internal_gemmt_kernelIlLi16ELi32ELi8ELc78ELc78ELc76ELb0ELb0E19rocblas_complex_numIfES1_PKPKS1_PKPS1_EviT_T9_T10_S9_lSB_S9_lSA_T11_S9_li, .Lfunc_end531-_ZL29rocblas_internal_gemmt_kernelIlLi16ELi32ELi8ELc78ELc78ELc76ELb0ELb0E19rocblas_complex_numIfES1_PKPKS1_PKPS1_EviT_T9_T10_S9_lSB_S9_lSA_T11_S9_li
                                        ; -- End function
	.set _ZL29rocblas_internal_gemmt_kernelIlLi16ELi32ELi8ELc78ELc78ELc76ELb0ELb0E19rocblas_complex_numIfES1_PKPKS1_PKPS1_EviT_T9_T10_S9_lSB_S9_lSA_T11_S9_li.num_vgpr, 51
	.set _ZL29rocblas_internal_gemmt_kernelIlLi16ELi32ELi8ELc78ELc78ELc76ELb0ELb0E19rocblas_complex_numIfES1_PKPKS1_PKPS1_EviT_T9_T10_S9_lSB_S9_lSA_T11_S9_li.num_agpr, 0
	.set _ZL29rocblas_internal_gemmt_kernelIlLi16ELi32ELi8ELc78ELc78ELc76ELb0ELb0E19rocblas_complex_numIfES1_PKPKS1_PKPS1_EviT_T9_T10_S9_lSB_S9_lSA_T11_S9_li.numbered_sgpr, 36
	.set _ZL29rocblas_internal_gemmt_kernelIlLi16ELi32ELi8ELc78ELc78ELc76ELb0ELb0E19rocblas_complex_numIfES1_PKPKS1_PKPS1_EviT_T9_T10_S9_lSB_S9_lSA_T11_S9_li.num_named_barrier, 0
	.set _ZL29rocblas_internal_gemmt_kernelIlLi16ELi32ELi8ELc78ELc78ELc76ELb0ELb0E19rocblas_complex_numIfES1_PKPKS1_PKPS1_EviT_T9_T10_S9_lSB_S9_lSA_T11_S9_li.private_seg_size, 0
	.set _ZL29rocblas_internal_gemmt_kernelIlLi16ELi32ELi8ELc78ELc78ELc76ELb0ELb0E19rocblas_complex_numIfES1_PKPKS1_PKPS1_EviT_T9_T10_S9_lSB_S9_lSA_T11_S9_li.uses_vcc, 1
	.set _ZL29rocblas_internal_gemmt_kernelIlLi16ELi32ELi8ELc78ELc78ELc76ELb0ELb0E19rocblas_complex_numIfES1_PKPKS1_PKPS1_EviT_T9_T10_S9_lSB_S9_lSA_T11_S9_li.uses_flat_scratch, 0
	.set _ZL29rocblas_internal_gemmt_kernelIlLi16ELi32ELi8ELc78ELc78ELc76ELb0ELb0E19rocblas_complex_numIfES1_PKPKS1_PKPS1_EviT_T9_T10_S9_lSB_S9_lSA_T11_S9_li.has_dyn_sized_stack, 0
	.set _ZL29rocblas_internal_gemmt_kernelIlLi16ELi32ELi8ELc78ELc78ELc76ELb0ELb0E19rocblas_complex_numIfES1_PKPKS1_PKPS1_EviT_T9_T10_S9_lSB_S9_lSA_T11_S9_li.has_recursion, 0
	.set _ZL29rocblas_internal_gemmt_kernelIlLi16ELi32ELi8ELc78ELc78ELc76ELb0ELb0E19rocblas_complex_numIfES1_PKPKS1_PKPS1_EviT_T9_T10_S9_lSB_S9_lSA_T11_S9_li.has_indirect_call, 0
	.section	.AMDGPU.csdata,"",@progbits
; Kernel info:
; codeLenInByte = 2560
; TotalNumSgprs: 42
; NumVgprs: 51
; NumAgprs: 0
; TotalNumVgprs: 51
; ScratchSize: 0
; MemoryBound: 0
; FloatMode: 240
; IeeeMode: 1
; LDSByteSize: 4096 bytes/workgroup (compile time only)
; SGPRBlocks: 5
; VGPRBlocks: 6
; NumSGPRsForWavesPerEU: 42
; NumVGPRsForWavesPerEU: 51
; AccumOffset: 52
; Occupancy: 8
; WaveLimiterHint : 1
; COMPUTE_PGM_RSRC2:SCRATCH_EN: 0
; COMPUTE_PGM_RSRC2:USER_SGPR: 2
; COMPUTE_PGM_RSRC2:TRAP_HANDLER: 0
; COMPUTE_PGM_RSRC2:TGID_X_EN: 1
; COMPUTE_PGM_RSRC2:TGID_Y_EN: 1
; COMPUTE_PGM_RSRC2:TGID_Z_EN: 1
; COMPUTE_PGM_RSRC2:TIDIG_COMP_CNT: 1
; COMPUTE_PGM_RSRC3_GFX90A:ACCUM_OFFSET: 12
; COMPUTE_PGM_RSRC3_GFX90A:TG_SPLIT: 0
	.section	.text._ZL29rocblas_internal_gemmt_kernelIlLi16ELi32ELi8ELc78ELc84ELc76ELb0ELb0E19rocblas_complex_numIfES1_PKPKS1_PKPS1_EviT_T9_T10_S9_lSB_S9_lSA_T11_S9_li,"axG",@progbits,_ZL29rocblas_internal_gemmt_kernelIlLi16ELi32ELi8ELc78ELc84ELc76ELb0ELb0E19rocblas_complex_numIfES1_PKPKS1_PKPS1_EviT_T9_T10_S9_lSB_S9_lSA_T11_S9_li,comdat
	.globl	_ZL29rocblas_internal_gemmt_kernelIlLi16ELi32ELi8ELc78ELc84ELc76ELb0ELb0E19rocblas_complex_numIfES1_PKPKS1_PKPS1_EviT_T9_T10_S9_lSB_S9_lSA_T11_S9_li ; -- Begin function _ZL29rocblas_internal_gemmt_kernelIlLi16ELi32ELi8ELc78ELc84ELc76ELb0ELb0E19rocblas_complex_numIfES1_PKPKS1_PKPS1_EviT_T9_T10_S9_lSB_S9_lSA_T11_S9_li
	.p2align	8
	.type	_ZL29rocblas_internal_gemmt_kernelIlLi16ELi32ELi8ELc78ELc84ELc76ELb0ELb0E19rocblas_complex_numIfES1_PKPKS1_PKPS1_EviT_T9_T10_S9_lSB_S9_lSA_T11_S9_li,@function
_ZL29rocblas_internal_gemmt_kernelIlLi16ELi32ELi8ELc78ELc84ELc76ELb0ELb0E19rocblas_complex_numIfES1_PKPKS1_PKPS1_EviT_T9_T10_S9_lSB_S9_lSA_T11_S9_li: ; @_ZL29rocblas_internal_gemmt_kernelIlLi16ELi32ELi8ELc78ELc84ELc76ELb0ELb0E19rocblas_complex_numIfES1_PKPKS1_PKPS1_EviT_T9_T10_S9_lSB_S9_lSA_T11_S9_li
; %bb.0:
	s_load_dwordx2 s[20:21], s[0:1], 0x48
	s_load_dwordx2 s[22:23], s[0:1], 0x10
	s_waitcnt lgkmcnt(0)
	s_and_b32 s5, s21, 0x7fffffff
	s_cmp_eq_u32 s5, 0
	v_cmp_eq_f32_e64 s[6:7], s20, 1.0
	s_cselect_b64 s[24:25], -1, 0
	s_and_b64 s[6:7], s[6:7], s[24:25]
	s_and_b64 vcc, exec, s[6:7]
	s_cbranch_vccnz .LBB532_2
; %bb.1:
	s_mov_b64 s[6:7], -1
	s_load_dwordx2 s[26:27], s[0:1], 0x8
	s_cbranch_execz .LBB532_3
	s_branch .LBB532_4
.LBB532_2:
	s_mov_b64 s[6:7], 0
	s_load_dwordx2 s[26:27], s[0:1], 0x8
.LBB532_3:
	s_waitcnt lgkmcnt(0)
	s_cmp_lg_u64 s[26:27], 0
	v_cmp_neq_f32_e64 s[8:9], s22, 0
	v_cmp_neq_f32_e64 s[10:11], s23, 0
	s_cselect_b64 s[6:7], -1, 0
	s_or_b64 s[8:9], s[8:9], s[10:11]
	s_and_b64 s[6:7], s[6:7], s[8:9]
.LBB532_4:
	s_andn2_b64 vcc, exec, s[6:7]
	s_cbranch_vccnz .LBB532_30
; %bb.5:
	s_load_dwordx2 s[28:29], s[0:1], 0x60
	s_load_dword s33, s[0:1], 0x0
	s_load_dwordx4 s[12:15], s[0:1], 0x50
	s_mov_b32 s5, 0
	s_lshl_b64 s[30:31], s[4:5], 3
	v_and_b32_e32 v9, 0x3ff, v0
	v_bfe_u32 v11, v0, 10, 10
	s_waitcnt lgkmcnt(0)
	s_add_u32 s4, s12, s30
	s_addc_u32 s5, s13, s31
	s_load_dwordx2 s[12:13], s[4:5], 0x0
	s_lshl_b32 s34, s2, 5
	s_lshl_b32 s35, s3, 5
	v_cmp_eq_f32_e64 s[2:3], s22, 0
	v_cmp_eq_f32_e64 s[4:5], s23, 0
	s_and_b64 s[2:3], s[2:3], s[4:5]
	v_cmp_lt_i64_e64 s[4:5], s[26:27], 1
	s_or_b64 s[2:3], s[2:3], s[4:5]
	v_mov_b32_e32 v30, 0
	s_and_b64 vcc, exec, s[2:3]
	v_mov_b32_e32 v32, 0
	v_mov_b32_e32 v26, 0
	;; [unrolled: 1-line block ×7, first 2 shown]
	s_cbranch_vccnz .LBB532_14
; %bb.6:
	s_load_dwordx8 s[4:11], s[0:1], 0x18
	s_load_dwordx4 s[16:19], s[0:1], 0x38
	v_lshl_add_u32 v0, v11, 4, v9
	v_and_b32_e32 v3, 31, v0
	v_lshrrev_b32_e32 v10, 5, v0
	s_waitcnt lgkmcnt(0)
	s_add_u32 s0, s10, s30
	s_addc_u32 s1, s11, s31
	s_load_dwordx2 s[0:1], s[0:1], 0x0
	s_lshl_b64 s[2:3], s[18:19], 3
	v_or_b32_e32 v2, s34, v3
	v_lshlrev_b32_e32 v3, 3, v3
	v_and_b32_e32 v8, 7, v9
	s_waitcnt lgkmcnt(0)
	s_add_u32 s10, s0, s2
	s_addc_u32 s11, s1, s3
	s_add_u32 s0, s4, s30
	s_addc_u32 s1, s5, s31
	s_load_dwordx2 s[2:3], s[0:1], 0x0
	s_lshl_b64 s[4:5], s[8:9], 3
	v_lshl_or_b32 v19, v10, 8, v3
	v_ashrrev_i32_e32 v3, 31, v2
	v_lshrrev_b32_e32 v1, 3, v0
	s_waitcnt lgkmcnt(0)
	s_add_u32 s2, s2, s4
	s_addc_u32 s3, s3, s5
	v_cmp_gt_i32_e64 s[0:1], s33, v2
	v_lshl_add_u64 v[12:13], v[2:3], 3, s[2:3]
	v_lshlrev_b32_e32 v2, 3, v8
	v_add_u32_e32 v0, s35, v1
	v_lshl_or_b32 v1, v1, 6, v2
	v_add_u32_e32 v21, 0x800, v1
	v_ashrrev_i32_e32 v1, 31, v0
	v_cmp_gt_i32_e64 s[2:3], s33, v0
	v_lshl_add_u64 v[14:15], v[0:1], 3, s[10:11]
	v_mov_b32_e32 v0, 0x800
	v_lshlrev_b32_e32 v23, 3, v9
	v_lshl_add_u32 v25, v11, 6, v0
	v_mov_b32_e32 v17, 0
	s_mov_b64 s[4:5], 0
	v_mov_b32_e32 v20, 0
	v_mov_b32_e32 v18, 0
	;; [unrolled: 1-line block ×8, first 2 shown]
	s_branch .LBB532_8
.LBB532_7:                              ;   in Loop: Header=BB532_8 Depth=1
	s_or_b64 exec, exec, s[8:9]
	s_waitcnt vmcnt(0) lgkmcnt(0)
	ds_write_b64 v21, v[0:1]
	s_waitcnt lgkmcnt(0)
	s_barrier
	ds_read2_b64 v[34:37], v23 offset1:16
	ds_read_b128 v[38:41], v25
	ds_read_b128 v[42:45], v25 offset:16
	ds_read_b128 v[4:7], v25 offset:32
	;; [unrolled: 1-line block ×3, first 2 shown]
	s_add_u32 s4, s4, 8
	s_waitcnt lgkmcnt(3)
	v_mul_f32_e32 v16, v39, v35
	v_mul_f32_e32 v27, v38, v35
	v_fma_f32 v16, v38, v34, -v16
	v_fmac_f32_e32 v27, v39, v34
	v_add_f32_e32 v16, v30, v16
	v_add_f32_e32 v50, v32, v27
	ds_read_b128 v[30:33], v25 offset:1024
	v_mul_f32_e32 v27, v39, v37
	v_mul_f32_e32 v29, v38, v37
	v_fma_f32 v27, v38, v36, -v27
	v_fmac_f32_e32 v29, v39, v36
	v_add_f32_e32 v38, v26, v27
	v_add_f32_e32 v39, v28, v29
	ds_read_b128 v[26:29], v25 offset:1040
	s_waitcnt lgkmcnt(1)
	v_mul_f32_e32 v46, v31, v35
	v_fma_f32 v46, v30, v34, -v46
	v_add_f32_e32 v22, v22, v46
	ds_read2_b64 v[46:49], v23 offset0:32 offset1:48
	v_mul_f32_e32 v35, v30, v35
	v_fmac_f32_e32 v35, v31, v34
	v_mul_f32_e32 v34, v31, v37
	v_fma_f32 v34, v30, v36, -v34
	v_mul_f32_e32 v30, v30, v37
	v_fmac_f32_e32 v30, v31, v36
	v_add_f32_e32 v20, v20, v30
	s_waitcnt lgkmcnt(0)
	v_mul_f32_e32 v30, v41, v47
	v_mul_f32_e32 v31, v40, v47
	v_fma_f32 v30, v40, v46, -v30
	v_fmac_f32_e32 v31, v41, v46
	v_add_f32_e32 v18, v18, v34
	v_add_f32_e32 v16, v16, v30
	;; [unrolled: 1-line block ×3, first 2 shown]
	v_mul_f32_e32 v31, v41, v49
	v_mul_f32_e32 v34, v40, v49
	v_fma_f32 v31, v40, v48, -v31
	v_fmac_f32_e32 v34, v41, v48
	v_add_f32_e32 v31, v38, v31
	v_add_f32_e32 v38, v39, v34
	v_mul_f32_e32 v34, v33, v47
	v_add_f32_e32 v24, v24, v35
	v_fma_f32 v34, v32, v46, -v34
	v_mul_f32_e32 v35, v32, v47
	v_fmac_f32_e32 v35, v33, v46
	v_add_f32_e32 v22, v22, v34
	v_mul_f32_e32 v34, v33, v49
	v_add_f32_e32 v24, v24, v35
	v_fma_f32 v39, v32, v48, -v34
	ds_read2_b64 v[34:37], v23 offset0:64 offset1:80
	v_mul_f32_e32 v32, v32, v49
	v_fmac_f32_e32 v32, v33, v48
	v_add_f32_e32 v18, v18, v39
	v_add_f32_e32 v20, v20, v32
	s_waitcnt lgkmcnt(0)
	v_mul_f32_e32 v33, v42, v35
	v_fmac_f32_e32 v33, v43, v34
	v_add_f32_e32 v39, v30, v33
	v_mul_f32_e32 v30, v43, v37
	v_mul_f32_e32 v32, v43, v35
	v_fma_f32 v30, v42, v36, -v30
	v_fma_f32 v32, v42, v34, -v32
	v_add_f32_e32 v40, v31, v30
	v_mul_f32_e32 v30, v27, v35
	v_add_f32_e32 v16, v16, v32
	v_mul_f32_e32 v32, v42, v37
	v_fma_f32 v30, v26, v34, -v30
	v_mul_f32_e32 v31, v26, v35
	v_fmac_f32_e32 v32, v43, v36
	v_fmac_f32_e32 v31, v27, v34
	v_add_f32_e32 v22, v22, v30
	v_mul_f32_e32 v30, v27, v37
	v_add_f32_e32 v38, v38, v32
	v_add_f32_e32 v24, v24, v31
	v_fma_f32 v34, v26, v36, -v30
	ds_read2_b64 v[30:33], v23 offset0:96 offset1:112
	v_mul_f32_e32 v26, v26, v37
	v_fmac_f32_e32 v26, v27, v36
	v_add_f32_e32 v20, v20, v26
	v_add_f32_e32 v18, v18, v34
	s_waitcnt lgkmcnt(0)
	v_mul_f32_e32 v26, v45, v31
	v_mul_f32_e32 v27, v44, v31
	v_fma_f32 v26, v44, v30, -v26
	v_fmac_f32_e32 v27, v45, v30
	v_add_f32_e32 v16, v16, v26
	v_add_f32_e32 v26, v39, v27
	v_mul_f32_e32 v27, v45, v33
	v_mul_f32_e32 v34, v44, v33
	v_fma_f32 v27, v44, v32, -v27
	v_fmac_f32_e32 v34, v45, v32
	v_add_f32_e32 v39, v40, v27
	v_add_f32_e32 v38, v38, v34
	v_mul_f32_e32 v27, v29, v31
	ds_read2_b64 v[34:37], v23 offset0:128 offset1:144
	v_fma_f32 v27, v28, v30, -v27
	v_add_f32_e32 v22, v22, v27
	v_mul_f32_e32 v27, v29, v33
	v_mul_f32_e32 v31, v28, v31
	v_fma_f32 v27, v28, v32, -v27
	v_mul_f32_e32 v28, v28, v33
	v_fmac_f32_e32 v28, v29, v32
	v_add_f32_e32 v20, v20, v28
	s_waitcnt lgkmcnt(0)
	v_mul_f32_e32 v28, v4, v35
	v_add_f32_e32 v18, v18, v27
	v_mul_f32_e32 v27, v5, v35
	v_fmac_f32_e32 v28, v5, v34
	v_fma_f32 v27, v4, v34, -v27
	v_add_f32_e32 v42, v26, v28
	v_mul_f32_e32 v26, v5, v37
	v_fmac_f32_e32 v31, v29, v30
	v_add_f32_e32 v16, v16, v27
	v_fma_f32 v30, v4, v36, -v26
	ds_read_b128 v[26:29], v25 offset:1056
	v_mul_f32_e32 v4, v4, v37
	v_fmac_f32_e32 v4, v5, v36
	v_add_f32_e32 v5, v39, v30
	v_add_f32_e32 v4, v38, v4
	ds_read_b128 v[38:41], v25 offset:1072
	s_waitcnt lgkmcnt(1)
	v_mul_f32_e32 v30, v27, v35
	v_add_f32_e32 v24, v24, v31
	v_fma_f32 v30, v26, v34, -v30
	v_mul_f32_e32 v31, v26, v35
	v_fmac_f32_e32 v31, v27, v34
	v_add_f32_e32 v22, v22, v30
	v_mul_f32_e32 v30, v27, v37
	v_add_f32_e32 v24, v24, v31
	v_fma_f32 v34, v26, v36, -v30
	ds_read2_b64 v[30:33], v23 offset0:160 offset1:176
	v_mul_f32_e32 v26, v26, v37
	v_fmac_f32_e32 v26, v27, v36
	v_add_f32_e32 v20, v20, v26
	v_add_f32_e32 v18, v18, v34
	s_waitcnt lgkmcnt(0)
	v_mul_f32_e32 v26, v7, v31
	v_mul_f32_e32 v27, v6, v31
	v_fma_f32 v26, v6, v30, -v26
	v_fmac_f32_e32 v27, v7, v30
	v_add_f32_e32 v16, v16, v26
	v_add_f32_e32 v26, v42, v27
	v_mul_f32_e32 v27, v7, v33
	v_fma_f32 v27, v6, v32, -v27
	v_mul_f32_e32 v6, v6, v33
	v_fmac_f32_e32 v6, v7, v32
	v_add_f32_e32 v34, v4, v6
	v_mul_f32_e32 v4, v29, v31
	v_add_f32_e32 v27, v5, v27
	v_fma_f32 v4, v28, v30, -v4
	v_mul_f32_e32 v5, v28, v31
	v_fmac_f32_e32 v5, v29, v30
	v_add_f32_e32 v22, v22, v4
	v_mul_f32_e32 v4, v29, v33
	v_add_f32_e32 v24, v24, v5
	v_fma_f32 v30, v28, v32, -v4
	ds_read2_b64 v[4:7], v23 offset0:192 offset1:208
	v_mul_f32_e32 v28, v28, v33
	v_fmac_f32_e32 v28, v29, v32
	v_add_f32_e32 v20, v20, v28
	v_add_f32_e32 v18, v18, v30
	s_waitcnt lgkmcnt(0)
	v_mul_f32_e32 v28, v1, v5
	v_fma_f32 v28, v0, v4, -v28
	v_add_f32_e32 v16, v16, v28
	v_mul_f32_e32 v28, v1, v7
	v_mul_f32_e32 v29, v0, v5
	v_fma_f32 v28, v0, v6, -v28
	v_mul_f32_e32 v0, v0, v7
	v_fmac_f32_e32 v0, v1, v6
	v_add_f32_e32 v0, v34, v0
	ds_read2_b64 v[34:37], v23 offset0:224 offset1:240
	v_fmac_f32_e32 v29, v1, v4
	v_add_f32_e32 v1, v27, v28
	v_mul_f32_e32 v27, v39, v5
	v_fma_f32 v27, v38, v4, -v27
	v_mul_f32_e32 v5, v38, v5
	v_fmac_f32_e32 v5, v39, v4
	v_add_f32_e32 v4, v22, v27
	v_mul_f32_e32 v22, v39, v7
	v_fma_f32 v22, v38, v6, -v22
	v_mul_f32_e32 v7, v38, v7
	v_fmac_f32_e32 v7, v39, v6
	v_add_f32_e32 v6, v18, v22
	s_waitcnt lgkmcnt(0)
	v_mul_f32_e32 v18, v3, v35
	v_fma_f32 v18, v2, v34, -v18
	v_add_f32_e32 v30, v16, v18
	v_mul_f32_e32 v16, v3, v37
	v_add_f32_e32 v7, v20, v7
	v_mul_f32_e32 v20, v2, v35
	v_fma_f32 v16, v2, v36, -v16
	v_mul_f32_e32 v2, v2, v37
	v_add_f32_e32 v26, v26, v29
	v_fmac_f32_e32 v20, v3, v34
	v_fmac_f32_e32 v2, v3, v36
	v_add_f32_e32 v32, v26, v20
	v_add_f32_e32 v26, v1, v16
	;; [unrolled: 1-line block ×3, first 2 shown]
	v_mul_f32_e32 v0, v41, v35
	v_mul_f32_e32 v1, v40, v35
	v_add_f32_e32 v5, v24, v5
	v_fma_f32 v0, v40, v34, -v0
	v_fmac_f32_e32 v1, v41, v34
	v_add_f32_e32 v22, v4, v0
	v_add_f32_e32 v24, v5, v1
	v_mul_f32_e32 v0, v41, v37
	v_mul_f32_e32 v1, v40, v37
	v_fma_f32 v0, v40, v36, -v0
	v_fmac_f32_e32 v1, v41, v36
	s_addc_u32 s5, s5, 0
	v_add_f32_e32 v18, v6, v0
	v_add_f32_e32 v20, v7, v1
	v_mov_b64_e32 v[0:1], s[4:5]
	v_cmp_gt_i64_e32 vcc, s[26:27], v[0:1]
	s_barrier
	s_cbranch_vccz .LBB532_14
.LBB532_8:                              ; =>This Inner Loop Header: Depth=1
	v_mov_b32_e32 v0, 0
	v_mov_b32_e32 v1, 0
	s_and_saveexec_b64 s[8:9], s[0:1]
	s_cbranch_execz .LBB532_12
; %bb.9:                                ;   in Loop: Header=BB532_8 Depth=1
	v_add_u32_e32 v16, s4, v10
	v_cmp_gt_u64_e32 vcc, s[26:27], v[16:17]
	v_mov_b32_e32 v1, 0
	v_mov_b32_e32 v0, 0
	s_and_saveexec_b64 s[10:11], vcc
	s_cbranch_execz .LBB532_11
; %bb.10:                               ;   in Loop: Header=BB532_8 Depth=1
	v_mad_u64_u32 v[0:1], s[18:19], s6, v16, 0
	v_mov_b32_e32 v2, v1
	v_mad_u64_u32 v[2:3], s[18:19], s7, v16, v[2:3]
	v_mov_b32_e32 v1, v2
	v_lshl_add_u64 v[0:1], v[0:1], 3, v[12:13]
	flat_load_dwordx2 v[0:1], v[0:1]
.LBB532_11:                             ;   in Loop: Header=BB532_8 Depth=1
	s_or_b64 exec, exec, s[10:11]
.LBB532_12:                             ;   in Loop: Header=BB532_8 Depth=1
	s_or_b64 exec, exec, s[8:9]
	v_add_u32_e32 v16, s4, v8
	v_cmp_gt_u64_e32 vcc, s[26:27], v[16:17]
	s_waitcnt vmcnt(0) lgkmcnt(0)
	ds_write_b64 v19, v[0:1]
	s_and_b64 s[10:11], vcc, s[2:3]
	v_mov_b32_e32 v0, 0
	v_mov_b32_e32 v1, 0
	s_and_saveexec_b64 s[8:9], s[10:11]
	s_cbranch_execz .LBB532_7
; %bb.13:                               ;   in Loop: Header=BB532_8 Depth=1
	v_mad_u64_u32 v[0:1], s[10:11], s16, v16, 0
	v_mov_b32_e32 v2, v1
	v_mad_u64_u32 v[2:3], s[10:11], s17, v16, v[2:3]
	v_mov_b32_e32 v1, v2
	v_lshl_add_u64 v[0:1], v[0:1], 3, v[14:15]
	flat_load_dwordx2 v[0:1], v[0:1]
	s_branch .LBB532_7
.LBB532_14:
	s_lshl_b64 s[0:1], s[28:29], 3
	v_add_u32_e32 v10, s35, v11
	s_waitcnt lgkmcnt(0)
	s_add_u32 s6, s12, s0
	v_ashrrev_i32_e32 v1, 31, v10
	s_addc_u32 s7, s13, s1
	v_cmp_neq_f32_e64 s[0:1], s20, 0
	s_xor_b64 s[4:5], s[24:25], -1
	v_mul_lo_u32 v1, s14, v1
	v_mul_lo_u32 v4, s15, v10
	v_mad_u64_u32 v[2:3], s[2:3], s14, v10, 0
	v_add_u32_e32 v0, s34, v9
	v_add3_u32 v3, v3, v1, v4
	s_or_b64 s[0:1], s[0:1], s[4:5]
	v_lshl_add_u64 v[4:5], v[2:3], 3, s[6:7]
	v_cmp_le_i32_e32 vcc, v10, v0
	v_cmp_gt_i32_e64 s[2:3], s33, v0
	v_cndmask_b32_e64 v2, 0, 1, s[0:1]
	s_and_b64 s[8:9], vcc, s[2:3]
	v_ashrrev_i32_e32 v1, 31, v0
	v_cmp_ne_u32_e64 s[0:1], 1, v2
	s_and_saveexec_b64 s[4:5], s[8:9]
	s_cbranch_execz .LBB532_18
; %bb.15:
	v_pk_mul_f32 v[6:7], v[32:33], s[22:23] op_sel:[0,1] op_sel_hi:[0,0]
	v_pk_fma_f32 v[2:3], v[30:31], s[22:23], v[6:7] op_sel_hi:[0,1,1] neg_lo:[0,0,1] neg_hi:[0,0,1]
	v_pk_fma_f32 v[8:9], v[30:31], s[22:23], v[6:7] op_sel_hi:[0,1,1]
	s_and_b64 vcc, exec, s[0:1]
	v_lshl_add_u64 v[6:7], v[0:1], 3, v[4:5]
	s_cbranch_vccnz .LBB532_17
; %bb.16:
	flat_load_dwordx2 v[12:13], v[6:7]
	s_mov_b32 s8, s21
	v_mov_b32_e32 v3, v9
	s_waitcnt vmcnt(0) lgkmcnt(0)
	v_pk_mul_f32 v[8:9], v[12:13], s[8:9] op_sel:[1,0] op_sel_hi:[0,0]
	v_pk_fma_f32 v[14:15], v[12:13], s[20:21], v[8:9] neg_lo:[0,0,1] neg_hi:[0,0,1]
	v_pk_fma_f32 v[8:9], v[12:13], s[20:21], v[8:9] op_sel_hi:[1,0,1]
	s_nop 0
	v_mov_b32_e32 v15, v9
	v_pk_add_f32 v[2:3], v[2:3], v[14:15]
	s_nop 0
	v_mov_b32_e32 v9, v3
.LBB532_17:
	v_mov_b32_e32 v3, v9
	flat_store_dwordx2 v[6:7], v[2:3]
.LBB532_18:
	s_or_b64 exec, exec, s[4:5]
	v_add_u32_e32 v2, 16, v0
	v_cmp_le_i32_e32 vcc, v10, v2
	v_cmp_gt_i32_e64 s[4:5], s33, v2
	s_and_b64 s[10:11], vcc, s[4:5]
	v_ashrrev_i32_e32 v3, 31, v2
	s_and_saveexec_b64 s[8:9], s[10:11]
	s_cbranch_execz .LBB532_22
; %bb.19:
	v_pk_mul_f32 v[8:9], v[28:29], s[22:23] op_sel:[0,1] op_sel_hi:[0,0]
	v_pk_fma_f32 v[6:7], v[26:27], s[22:23], v[8:9] op_sel_hi:[0,1,1] neg_lo:[0,0,1] neg_hi:[0,0,1]
	v_pk_fma_f32 v[8:9], v[26:27], s[22:23], v[8:9] op_sel_hi:[0,1,1]
	s_and_b64 vcc, exec, s[0:1]
	v_lshl_add_u64 v[4:5], v[2:3], 3, v[4:5]
	s_cbranch_vccnz .LBB532_21
; %bb.20:
	flat_load_dwordx2 v[12:13], v[4:5]
	s_mov_b32 s10, s21
	v_mov_b32_e32 v7, v9
	s_waitcnt vmcnt(0) lgkmcnt(0)
	v_pk_mul_f32 v[8:9], v[12:13], s[10:11] op_sel:[1,0] op_sel_hi:[0,0]
	v_pk_fma_f32 v[14:15], v[12:13], s[20:21], v[8:9] neg_lo:[0,0,1] neg_hi:[0,0,1]
	v_pk_fma_f32 v[8:9], v[12:13], s[20:21], v[8:9] op_sel_hi:[1,0,1]
	s_nop 0
	v_mov_b32_e32 v15, v9
	v_pk_add_f32 v[6:7], v[6:7], v[14:15]
	s_nop 0
	v_mov_b32_e32 v9, v7
.LBB532_21:
	v_mov_b32_e32 v7, v9
	flat_store_dwordx2 v[4:5], v[6:7]
.LBB532_22:
	s_or_b64 exec, exec, s[8:9]
	v_add_u32_e32 v10, 16, v10
	v_ashrrev_i32_e32 v4, 31, v10
	v_mul_lo_u32 v6, s14, v4
	v_mul_lo_u32 v7, s15, v10
	v_mad_u64_u32 v[4:5], s[8:9], s14, v10, 0
	v_add3_u32 v5, v5, v6, v7
	v_cmp_le_i32_e32 vcc, v10, v0
	v_lshl_add_u64 v[4:5], v[4:5], 3, s[6:7]
	s_and_b64 s[6:7], vcc, s[2:3]
	s_and_saveexec_b64 s[2:3], s[6:7]
	s_cbranch_execz .LBB532_26
; %bb.23:
	v_pk_mul_f32 v[8:9], v[24:25], s[22:23] op_sel:[0,1] op_sel_hi:[0,0]
	v_pk_fma_f32 v[6:7], v[22:23], s[22:23], v[8:9] op_sel_hi:[0,1,1] neg_lo:[0,0,1] neg_hi:[0,0,1]
	v_pk_fma_f32 v[8:9], v[22:23], s[22:23], v[8:9] op_sel_hi:[0,1,1]
	s_and_b64 vcc, exec, s[0:1]
	v_lshl_add_u64 v[0:1], v[0:1], 3, v[4:5]
	s_cbranch_vccnz .LBB532_25
; %bb.24:
	flat_load_dwordx2 v[12:13], v[0:1]
	s_mov_b32 s6, s21
	v_mov_b32_e32 v7, v9
	s_waitcnt vmcnt(0) lgkmcnt(0)
	v_pk_mul_f32 v[8:9], v[12:13], s[6:7] op_sel:[1,0] op_sel_hi:[0,0]
	v_pk_fma_f32 v[14:15], v[12:13], s[20:21], v[8:9] neg_lo:[0,0,1] neg_hi:[0,0,1]
	v_pk_fma_f32 v[8:9], v[12:13], s[20:21], v[8:9] op_sel_hi:[1,0,1]
	s_nop 0
	v_mov_b32_e32 v15, v9
	v_pk_add_f32 v[6:7], v[6:7], v[14:15]
	s_nop 0
	v_mov_b32_e32 v9, v7
.LBB532_25:
	v_mov_b32_e32 v7, v9
	flat_store_dwordx2 v[0:1], v[6:7]
.LBB532_26:
	s_or_b64 exec, exec, s[2:3]
	v_cmp_le_i32_e32 vcc, v10, v2
	s_and_b64 s[2:3], vcc, s[4:5]
	s_and_saveexec_b64 s[4:5], s[2:3]
	s_cbranch_execz .LBB532_30
; %bb.27:
	v_pk_mul_f32 v[6:7], v[20:21], s[22:23] op_sel:[0,1] op_sel_hi:[0,0]
	v_pk_fma_f32 v[0:1], v[18:19], s[22:23], v[6:7] op_sel_hi:[0,1,1] neg_lo:[0,0,1] neg_hi:[0,0,1]
	v_pk_fma_f32 v[6:7], v[18:19], s[22:23], v[6:7] op_sel_hi:[0,1,1]
	s_and_b64 vcc, exec, s[0:1]
	v_lshl_add_u64 v[2:3], v[2:3], 3, v[4:5]
	s_cbranch_vccnz .LBB532_29
; %bb.28:
	flat_load_dwordx2 v[4:5], v[2:3]
	s_mov_b32 s0, s21
	v_mov_b32_e32 v1, v7
	s_waitcnt vmcnt(0) lgkmcnt(0)
	v_pk_mul_f32 v[6:7], v[4:5], s[0:1] op_sel:[1,0] op_sel_hi:[0,0]
	v_pk_fma_f32 v[8:9], v[4:5], s[20:21], v[6:7] neg_lo:[0,0,1] neg_hi:[0,0,1]
	v_pk_fma_f32 v[4:5], v[4:5], s[20:21], v[6:7] op_sel_hi:[1,0,1]
	s_nop 0
	v_mov_b32_e32 v9, v5
	v_pk_add_f32 v[0:1], v[0:1], v[8:9]
	s_nop 0
	v_mov_b32_e32 v7, v1
.LBB532_29:
	v_mov_b32_e32 v1, v7
	flat_store_dwordx2 v[2:3], v[0:1]
.LBB532_30:
	s_endpgm
	.section	.rodata,"a",@progbits
	.p2align	6, 0x0
	.amdhsa_kernel _ZL29rocblas_internal_gemmt_kernelIlLi16ELi32ELi8ELc78ELc84ELc76ELb0ELb0E19rocblas_complex_numIfES1_PKPKS1_PKPS1_EviT_T9_T10_S9_lSB_S9_lSA_T11_S9_li
		.amdhsa_group_segment_fixed_size 4096
		.amdhsa_private_segment_fixed_size 0
		.amdhsa_kernarg_size 108
		.amdhsa_user_sgpr_count 2
		.amdhsa_user_sgpr_dispatch_ptr 0
		.amdhsa_user_sgpr_queue_ptr 0
		.amdhsa_user_sgpr_kernarg_segment_ptr 1
		.amdhsa_user_sgpr_dispatch_id 0
		.amdhsa_user_sgpr_kernarg_preload_length 0
		.amdhsa_user_sgpr_kernarg_preload_offset 0
		.amdhsa_user_sgpr_private_segment_size 0
		.amdhsa_uses_dynamic_stack 0
		.amdhsa_enable_private_segment 0
		.amdhsa_system_sgpr_workgroup_id_x 1
		.amdhsa_system_sgpr_workgroup_id_y 1
		.amdhsa_system_sgpr_workgroup_id_z 1
		.amdhsa_system_sgpr_workgroup_info 0
		.amdhsa_system_vgpr_workitem_id 1
		.amdhsa_next_free_vgpr 51
		.amdhsa_next_free_sgpr 36
		.amdhsa_accum_offset 52
		.amdhsa_reserve_vcc 1
		.amdhsa_float_round_mode_32 0
		.amdhsa_float_round_mode_16_64 0
		.amdhsa_float_denorm_mode_32 3
		.amdhsa_float_denorm_mode_16_64 3
		.amdhsa_dx10_clamp 1
		.amdhsa_ieee_mode 1
		.amdhsa_fp16_overflow 0
		.amdhsa_tg_split 0
		.amdhsa_exception_fp_ieee_invalid_op 0
		.amdhsa_exception_fp_denorm_src 0
		.amdhsa_exception_fp_ieee_div_zero 0
		.amdhsa_exception_fp_ieee_overflow 0
		.amdhsa_exception_fp_ieee_underflow 0
		.amdhsa_exception_fp_ieee_inexact 0
		.amdhsa_exception_int_div_zero 0
	.end_amdhsa_kernel
	.section	.text._ZL29rocblas_internal_gemmt_kernelIlLi16ELi32ELi8ELc78ELc84ELc76ELb0ELb0E19rocblas_complex_numIfES1_PKPKS1_PKPS1_EviT_T9_T10_S9_lSB_S9_lSA_T11_S9_li,"axG",@progbits,_ZL29rocblas_internal_gemmt_kernelIlLi16ELi32ELi8ELc78ELc84ELc76ELb0ELb0E19rocblas_complex_numIfES1_PKPKS1_PKPS1_EviT_T9_T10_S9_lSB_S9_lSA_T11_S9_li,comdat
.Lfunc_end532:
	.size	_ZL29rocblas_internal_gemmt_kernelIlLi16ELi32ELi8ELc78ELc84ELc76ELb0ELb0E19rocblas_complex_numIfES1_PKPKS1_PKPS1_EviT_T9_T10_S9_lSB_S9_lSA_T11_S9_li, .Lfunc_end532-_ZL29rocblas_internal_gemmt_kernelIlLi16ELi32ELi8ELc78ELc84ELc76ELb0ELb0E19rocblas_complex_numIfES1_PKPKS1_PKPS1_EviT_T9_T10_S9_lSB_S9_lSA_T11_S9_li
                                        ; -- End function
	.set _ZL29rocblas_internal_gemmt_kernelIlLi16ELi32ELi8ELc78ELc84ELc76ELb0ELb0E19rocblas_complex_numIfES1_PKPKS1_PKPS1_EviT_T9_T10_S9_lSB_S9_lSA_T11_S9_li.num_vgpr, 51
	.set _ZL29rocblas_internal_gemmt_kernelIlLi16ELi32ELi8ELc78ELc84ELc76ELb0ELb0E19rocblas_complex_numIfES1_PKPKS1_PKPS1_EviT_T9_T10_S9_lSB_S9_lSA_T11_S9_li.num_agpr, 0
	.set _ZL29rocblas_internal_gemmt_kernelIlLi16ELi32ELi8ELc78ELc84ELc76ELb0ELb0E19rocblas_complex_numIfES1_PKPKS1_PKPS1_EviT_T9_T10_S9_lSB_S9_lSA_T11_S9_li.numbered_sgpr, 36
	.set _ZL29rocblas_internal_gemmt_kernelIlLi16ELi32ELi8ELc78ELc84ELc76ELb0ELb0E19rocblas_complex_numIfES1_PKPKS1_PKPS1_EviT_T9_T10_S9_lSB_S9_lSA_T11_S9_li.num_named_barrier, 0
	.set _ZL29rocblas_internal_gemmt_kernelIlLi16ELi32ELi8ELc78ELc84ELc76ELb0ELb0E19rocblas_complex_numIfES1_PKPKS1_PKPS1_EviT_T9_T10_S9_lSB_S9_lSA_T11_S9_li.private_seg_size, 0
	.set _ZL29rocblas_internal_gemmt_kernelIlLi16ELi32ELi8ELc78ELc84ELc76ELb0ELb0E19rocblas_complex_numIfES1_PKPKS1_PKPS1_EviT_T9_T10_S9_lSB_S9_lSA_T11_S9_li.uses_vcc, 1
	.set _ZL29rocblas_internal_gemmt_kernelIlLi16ELi32ELi8ELc78ELc84ELc76ELb0ELb0E19rocblas_complex_numIfES1_PKPKS1_PKPS1_EviT_T9_T10_S9_lSB_S9_lSA_T11_S9_li.uses_flat_scratch, 0
	.set _ZL29rocblas_internal_gemmt_kernelIlLi16ELi32ELi8ELc78ELc84ELc76ELb0ELb0E19rocblas_complex_numIfES1_PKPKS1_PKPS1_EviT_T9_T10_S9_lSB_S9_lSA_T11_S9_li.has_dyn_sized_stack, 0
	.set _ZL29rocblas_internal_gemmt_kernelIlLi16ELi32ELi8ELc78ELc84ELc76ELb0ELb0E19rocblas_complex_numIfES1_PKPKS1_PKPS1_EviT_T9_T10_S9_lSB_S9_lSA_T11_S9_li.has_recursion, 0
	.set _ZL29rocblas_internal_gemmt_kernelIlLi16ELi32ELi8ELc78ELc84ELc76ELb0ELb0E19rocblas_complex_numIfES1_PKPKS1_PKPS1_EviT_T9_T10_S9_lSB_S9_lSA_T11_S9_li.has_indirect_call, 0
	.section	.AMDGPU.csdata,"",@progbits
; Kernel info:
; codeLenInByte = 2552
; TotalNumSgprs: 42
; NumVgprs: 51
; NumAgprs: 0
; TotalNumVgprs: 51
; ScratchSize: 0
; MemoryBound: 0
; FloatMode: 240
; IeeeMode: 1
; LDSByteSize: 4096 bytes/workgroup (compile time only)
; SGPRBlocks: 5
; VGPRBlocks: 6
; NumSGPRsForWavesPerEU: 42
; NumVGPRsForWavesPerEU: 51
; AccumOffset: 52
; Occupancy: 8
; WaveLimiterHint : 1
; COMPUTE_PGM_RSRC2:SCRATCH_EN: 0
; COMPUTE_PGM_RSRC2:USER_SGPR: 2
; COMPUTE_PGM_RSRC2:TRAP_HANDLER: 0
; COMPUTE_PGM_RSRC2:TGID_X_EN: 1
; COMPUTE_PGM_RSRC2:TGID_Y_EN: 1
; COMPUTE_PGM_RSRC2:TGID_Z_EN: 1
; COMPUTE_PGM_RSRC2:TIDIG_COMP_CNT: 1
; COMPUTE_PGM_RSRC3_GFX90A:ACCUM_OFFSET: 12
; COMPUTE_PGM_RSRC3_GFX90A:TG_SPLIT: 0
	.section	.text._ZL29rocblas_internal_gemmt_kernelIlLi16ELi32ELi8ELc78ELc67ELc76ELb0ELb1E19rocblas_complex_numIfES1_PKPKS1_PKPS1_EviT_T9_T10_S9_lSB_S9_lSA_T11_S9_li,"axG",@progbits,_ZL29rocblas_internal_gemmt_kernelIlLi16ELi32ELi8ELc78ELc67ELc76ELb0ELb1E19rocblas_complex_numIfES1_PKPKS1_PKPS1_EviT_T9_T10_S9_lSB_S9_lSA_T11_S9_li,comdat
	.globl	_ZL29rocblas_internal_gemmt_kernelIlLi16ELi32ELi8ELc78ELc67ELc76ELb0ELb1E19rocblas_complex_numIfES1_PKPKS1_PKPS1_EviT_T9_T10_S9_lSB_S9_lSA_T11_S9_li ; -- Begin function _ZL29rocblas_internal_gemmt_kernelIlLi16ELi32ELi8ELc78ELc67ELc76ELb0ELb1E19rocblas_complex_numIfES1_PKPKS1_PKPS1_EviT_T9_T10_S9_lSB_S9_lSA_T11_S9_li
	.p2align	8
	.type	_ZL29rocblas_internal_gemmt_kernelIlLi16ELi32ELi8ELc78ELc67ELc76ELb0ELb1E19rocblas_complex_numIfES1_PKPKS1_PKPS1_EviT_T9_T10_S9_lSB_S9_lSA_T11_S9_li,@function
_ZL29rocblas_internal_gemmt_kernelIlLi16ELi32ELi8ELc78ELc67ELc76ELb0ELb1E19rocblas_complex_numIfES1_PKPKS1_PKPS1_EviT_T9_T10_S9_lSB_S9_lSA_T11_S9_li: ; @_ZL29rocblas_internal_gemmt_kernelIlLi16ELi32ELi8ELc78ELc67ELc76ELb0ELb1E19rocblas_complex_numIfES1_PKPKS1_PKPS1_EviT_T9_T10_S9_lSB_S9_lSA_T11_S9_li
; %bb.0:
	s_load_dwordx2 s[20:21], s[0:1], 0x48
	s_load_dwordx2 s[22:23], s[0:1], 0x10
	s_waitcnt lgkmcnt(0)
	s_and_b32 s5, s21, 0x7fffffff
	s_cmp_eq_u32 s5, 0
	v_cmp_eq_f32_e64 s[6:7], s20, 1.0
	s_cselect_b64 s[24:25], -1, 0
	s_and_b64 s[6:7], s[6:7], s[24:25]
	s_and_b64 vcc, exec, s[6:7]
	s_cbranch_vccnz .LBB533_2
; %bb.1:
	s_mov_b64 s[6:7], -1
	s_load_dwordx2 s[26:27], s[0:1], 0x8
	s_cbranch_execz .LBB533_3
	s_branch .LBB533_4
.LBB533_2:
	s_mov_b64 s[6:7], 0
	s_load_dwordx2 s[26:27], s[0:1], 0x8
.LBB533_3:
	s_waitcnt lgkmcnt(0)
	s_cmp_lg_u64 s[26:27], 0
	v_cmp_neq_f32_e64 s[8:9], s22, 0
	v_cmp_neq_f32_e64 s[10:11], s23, 0
	s_cselect_b64 s[6:7], -1, 0
	s_or_b64 s[8:9], s[8:9], s[10:11]
	s_and_b64 s[6:7], s[6:7], s[8:9]
.LBB533_4:
	s_andn2_b64 vcc, exec, s[6:7]
	s_cbranch_vccnz .LBB533_32
; %bb.5:
	s_load_dwordx2 s[28:29], s[0:1], 0x60
	s_load_dword s33, s[0:1], 0x0
	s_load_dwordx4 s[12:15], s[0:1], 0x50
	s_mov_b32 s5, 0
	s_lshl_b64 s[30:31], s[4:5], 3
	v_and_b32_e32 v9, 0x3ff, v0
	v_bfe_u32 v11, v0, 10, 10
	s_waitcnt lgkmcnt(0)
	s_add_u32 s4, s12, s30
	s_addc_u32 s5, s13, s31
	s_load_dwordx2 s[12:13], s[4:5], 0x0
	s_lshl_b32 s34, s2, 5
	s_lshl_b32 s35, s3, 5
	v_cmp_eq_f32_e64 s[2:3], s22, 0
	v_cmp_eq_f32_e64 s[4:5], s23, 0
	s_and_b64 s[2:3], s[2:3], s[4:5]
	v_cmp_lt_i64_e64 s[4:5], s[26:27], 1
	s_or_b64 s[2:3], s[2:3], s[4:5]
	v_mov_b32_e32 v30, 0
	s_and_b64 vcc, exec, s[2:3]
	v_mov_b32_e32 v32, 0
	v_mov_b32_e32 v26, 0
	;; [unrolled: 1-line block ×7, first 2 shown]
	s_cbranch_vccnz .LBB533_16
; %bb.6:
	s_load_dwordx8 s[4:11], s[0:1], 0x18
	s_load_dwordx4 s[16:19], s[0:1], 0x38
	v_lshl_add_u32 v0, v11, 4, v9
	v_and_b32_e32 v3, 31, v0
	v_lshrrev_b32_e32 v10, 5, v0
	s_waitcnt lgkmcnt(0)
	s_add_u32 s0, s10, s30
	s_addc_u32 s1, s11, s31
	s_load_dwordx2 s[0:1], s[0:1], 0x0
	s_lshl_b64 s[2:3], s[18:19], 3
	v_or_b32_e32 v2, s34, v3
	v_lshlrev_b32_e32 v3, 3, v3
	v_and_b32_e32 v8, 7, v9
	s_waitcnt lgkmcnt(0)
	s_add_u32 s2, s0, s2
	s_addc_u32 s3, s1, s3
	s_add_u32 s0, s4, s30
	s_addc_u32 s1, s5, s31
	s_load_dwordx2 s[4:5], s[0:1], 0x0
	s_lshl_b64 s[8:9], s[8:9], 3
	v_lshl_or_b32 v19, v10, 8, v3
	v_ashrrev_i32_e32 v3, 31, v2
	v_lshrrev_b32_e32 v1, 3, v0
	s_waitcnt lgkmcnt(0)
	s_add_u32 s4, s4, s8
	s_addc_u32 s5, s5, s9
	v_cmp_gt_i32_e64 s[0:1], s33, v2
	v_lshl_add_u64 v[12:13], v[2:3], 3, s[4:5]
	v_lshlrev_b32_e32 v2, 3, v8
	v_add_u32_e32 v0, s35, v1
	v_lshl_or_b32 v1, v1, 6, v2
	v_add_u32_e32 v21, 0x800, v1
	v_ashrrev_i32_e32 v1, 31, v0
	v_cmp_gt_i32_e32 vcc, s33, v0
	v_lshl_add_u64 v[14:15], v[0:1], 3, s[2:3]
	v_mov_b32_e32 v0, 0x800
	v_lshlrev_b32_e32 v23, 3, v9
	v_lshl_add_u32 v25, v11, 6, v0
	v_mov_b32_e32 v17, 0
	s_mov_b64 s[2:3], 0
	s_xor_b64 s[4:5], vcc, -1
	v_mov_b32_e32 v20, 0
	v_mov_b32_e32 v18, 0
	;; [unrolled: 1-line block ×8, first 2 shown]
	s_branch .LBB533_8
.LBB533_7:                              ;   in Loop: Header=BB533_8 Depth=1
	s_or_b64 exec, exec, s[8:9]
	ds_write_b32 v21, v0 offset:4
	s_waitcnt lgkmcnt(0)
	s_barrier
	ds_read2_b64 v[34:37], v23 offset1:16
	ds_read_b128 v[38:41], v25
	ds_read_b128 v[42:45], v25 offset:16
	ds_read_b128 v[4:7], v25 offset:32
	;; [unrolled: 1-line block ×3, first 2 shown]
	s_add_u32 s2, s2, 8
	s_waitcnt lgkmcnt(3)
	v_mul_f32_e32 v16, v39, v35
	v_mul_f32_e32 v27, v38, v35
	v_fma_f32 v16, v38, v34, -v16
	v_fmac_f32_e32 v27, v39, v34
	v_add_f32_e32 v16, v30, v16
	v_add_f32_e32 v50, v32, v27
	ds_read_b128 v[30:33], v25 offset:1024
	v_mul_f32_e32 v27, v39, v37
	v_mul_f32_e32 v29, v38, v37
	v_fma_f32 v27, v38, v36, -v27
	v_fmac_f32_e32 v29, v39, v36
	v_add_f32_e32 v38, v26, v27
	v_add_f32_e32 v39, v28, v29
	ds_read_b128 v[26:29], v25 offset:1040
	s_waitcnt lgkmcnt(1)
	v_mul_f32_e32 v46, v31, v35
	v_fma_f32 v46, v30, v34, -v46
	v_add_f32_e32 v22, v22, v46
	ds_read2_b64 v[46:49], v23 offset0:32 offset1:48
	v_mul_f32_e32 v35, v30, v35
	v_fmac_f32_e32 v35, v31, v34
	v_mul_f32_e32 v34, v31, v37
	v_fma_f32 v34, v30, v36, -v34
	v_mul_f32_e32 v30, v30, v37
	v_fmac_f32_e32 v30, v31, v36
	v_add_f32_e32 v20, v20, v30
	s_waitcnt lgkmcnt(0)
	v_mul_f32_e32 v30, v41, v47
	v_mul_f32_e32 v31, v40, v47
	v_fma_f32 v30, v40, v46, -v30
	v_fmac_f32_e32 v31, v41, v46
	v_add_f32_e32 v18, v18, v34
	v_add_f32_e32 v16, v16, v30
	;; [unrolled: 1-line block ×3, first 2 shown]
	v_mul_f32_e32 v31, v41, v49
	v_mul_f32_e32 v34, v40, v49
	v_fma_f32 v31, v40, v48, -v31
	v_fmac_f32_e32 v34, v41, v48
	v_add_f32_e32 v31, v38, v31
	v_add_f32_e32 v38, v39, v34
	v_mul_f32_e32 v34, v33, v47
	v_add_f32_e32 v24, v24, v35
	v_fma_f32 v34, v32, v46, -v34
	v_mul_f32_e32 v35, v32, v47
	v_fmac_f32_e32 v35, v33, v46
	v_add_f32_e32 v22, v22, v34
	v_mul_f32_e32 v34, v33, v49
	v_add_f32_e32 v24, v24, v35
	v_fma_f32 v39, v32, v48, -v34
	ds_read2_b64 v[34:37], v23 offset0:64 offset1:80
	v_mul_f32_e32 v32, v32, v49
	v_fmac_f32_e32 v32, v33, v48
	v_add_f32_e32 v18, v18, v39
	v_add_f32_e32 v20, v20, v32
	s_waitcnt lgkmcnt(0)
	v_mul_f32_e32 v33, v42, v35
	v_fmac_f32_e32 v33, v43, v34
	v_add_f32_e32 v39, v30, v33
	v_mul_f32_e32 v30, v43, v37
	v_mul_f32_e32 v32, v43, v35
	v_fma_f32 v30, v42, v36, -v30
	v_fma_f32 v32, v42, v34, -v32
	v_add_f32_e32 v40, v31, v30
	v_mul_f32_e32 v30, v27, v35
	v_add_f32_e32 v16, v16, v32
	v_mul_f32_e32 v32, v42, v37
	v_fma_f32 v30, v26, v34, -v30
	v_mul_f32_e32 v31, v26, v35
	v_fmac_f32_e32 v32, v43, v36
	v_fmac_f32_e32 v31, v27, v34
	v_add_f32_e32 v22, v22, v30
	v_mul_f32_e32 v30, v27, v37
	v_add_f32_e32 v38, v38, v32
	v_add_f32_e32 v24, v24, v31
	v_fma_f32 v34, v26, v36, -v30
	ds_read2_b64 v[30:33], v23 offset0:96 offset1:112
	v_mul_f32_e32 v26, v26, v37
	v_fmac_f32_e32 v26, v27, v36
	v_add_f32_e32 v20, v20, v26
	v_add_f32_e32 v18, v18, v34
	s_waitcnt lgkmcnt(0)
	v_mul_f32_e32 v26, v45, v31
	v_mul_f32_e32 v27, v44, v31
	v_fma_f32 v26, v44, v30, -v26
	v_fmac_f32_e32 v27, v45, v30
	v_add_f32_e32 v16, v16, v26
	v_add_f32_e32 v26, v39, v27
	v_mul_f32_e32 v27, v45, v33
	v_mul_f32_e32 v34, v44, v33
	v_fma_f32 v27, v44, v32, -v27
	v_fmac_f32_e32 v34, v45, v32
	v_add_f32_e32 v39, v40, v27
	v_add_f32_e32 v38, v38, v34
	v_mul_f32_e32 v27, v29, v31
	ds_read2_b64 v[34:37], v23 offset0:128 offset1:144
	v_fma_f32 v27, v28, v30, -v27
	v_add_f32_e32 v22, v22, v27
	v_mul_f32_e32 v27, v29, v33
	v_mul_f32_e32 v31, v28, v31
	v_fma_f32 v27, v28, v32, -v27
	v_mul_f32_e32 v28, v28, v33
	v_fmac_f32_e32 v28, v29, v32
	v_add_f32_e32 v20, v20, v28
	s_waitcnt lgkmcnt(0)
	v_mul_f32_e32 v28, v4, v35
	v_add_f32_e32 v18, v18, v27
	v_mul_f32_e32 v27, v5, v35
	v_fmac_f32_e32 v28, v5, v34
	v_fma_f32 v27, v4, v34, -v27
	v_add_f32_e32 v42, v26, v28
	v_mul_f32_e32 v26, v5, v37
	v_fmac_f32_e32 v31, v29, v30
	v_add_f32_e32 v16, v16, v27
	v_fma_f32 v30, v4, v36, -v26
	ds_read_b128 v[26:29], v25 offset:1056
	v_mul_f32_e32 v4, v4, v37
	v_fmac_f32_e32 v4, v5, v36
	v_add_f32_e32 v5, v39, v30
	v_add_f32_e32 v4, v38, v4
	ds_read_b128 v[38:41], v25 offset:1072
	s_waitcnt lgkmcnt(1)
	v_mul_f32_e32 v30, v27, v35
	v_add_f32_e32 v24, v24, v31
	v_fma_f32 v30, v26, v34, -v30
	v_mul_f32_e32 v31, v26, v35
	v_fmac_f32_e32 v31, v27, v34
	v_add_f32_e32 v22, v22, v30
	v_mul_f32_e32 v30, v27, v37
	v_add_f32_e32 v24, v24, v31
	v_fma_f32 v34, v26, v36, -v30
	ds_read2_b64 v[30:33], v23 offset0:160 offset1:176
	v_mul_f32_e32 v26, v26, v37
	v_fmac_f32_e32 v26, v27, v36
	v_add_f32_e32 v20, v20, v26
	v_add_f32_e32 v18, v18, v34
	s_waitcnt lgkmcnt(0)
	v_mul_f32_e32 v26, v7, v31
	v_mul_f32_e32 v27, v6, v31
	v_fma_f32 v26, v6, v30, -v26
	v_fmac_f32_e32 v27, v7, v30
	v_add_f32_e32 v16, v16, v26
	v_add_f32_e32 v26, v42, v27
	v_mul_f32_e32 v27, v7, v33
	v_fma_f32 v27, v6, v32, -v27
	v_mul_f32_e32 v6, v6, v33
	v_fmac_f32_e32 v6, v7, v32
	v_add_f32_e32 v34, v4, v6
	v_mul_f32_e32 v4, v29, v31
	v_add_f32_e32 v27, v5, v27
	v_fma_f32 v4, v28, v30, -v4
	v_mul_f32_e32 v5, v28, v31
	v_fmac_f32_e32 v5, v29, v30
	v_add_f32_e32 v22, v22, v4
	v_mul_f32_e32 v4, v29, v33
	v_add_f32_e32 v24, v24, v5
	v_fma_f32 v30, v28, v32, -v4
	ds_read2_b64 v[4:7], v23 offset0:192 offset1:208
	v_mul_f32_e32 v28, v28, v33
	v_fmac_f32_e32 v28, v29, v32
	v_add_f32_e32 v20, v20, v28
	v_add_f32_e32 v18, v18, v30
	s_waitcnt lgkmcnt(0)
	v_mul_f32_e32 v28, v1, v5
	v_fma_f32 v28, v0, v4, -v28
	v_add_f32_e32 v16, v16, v28
	v_mul_f32_e32 v28, v1, v7
	v_mul_f32_e32 v29, v0, v5
	v_fma_f32 v28, v0, v6, -v28
	v_mul_f32_e32 v0, v0, v7
	v_fmac_f32_e32 v0, v1, v6
	v_add_f32_e32 v0, v34, v0
	ds_read2_b64 v[34:37], v23 offset0:224 offset1:240
	v_fmac_f32_e32 v29, v1, v4
	v_add_f32_e32 v1, v27, v28
	v_mul_f32_e32 v27, v39, v5
	v_fma_f32 v27, v38, v4, -v27
	v_mul_f32_e32 v5, v38, v5
	v_fmac_f32_e32 v5, v39, v4
	v_add_f32_e32 v4, v22, v27
	v_mul_f32_e32 v22, v39, v7
	v_fma_f32 v22, v38, v6, -v22
	v_mul_f32_e32 v7, v38, v7
	v_fmac_f32_e32 v7, v39, v6
	v_add_f32_e32 v6, v18, v22
	s_waitcnt lgkmcnt(0)
	v_mul_f32_e32 v18, v3, v35
	v_fma_f32 v18, v2, v34, -v18
	v_add_f32_e32 v30, v16, v18
	v_mul_f32_e32 v16, v3, v37
	v_add_f32_e32 v7, v20, v7
	v_mul_f32_e32 v20, v2, v35
	v_fma_f32 v16, v2, v36, -v16
	v_mul_f32_e32 v2, v2, v37
	v_add_f32_e32 v26, v26, v29
	v_fmac_f32_e32 v20, v3, v34
	v_fmac_f32_e32 v2, v3, v36
	v_add_f32_e32 v32, v26, v20
	v_add_f32_e32 v26, v1, v16
	;; [unrolled: 1-line block ×3, first 2 shown]
	v_mul_f32_e32 v0, v41, v35
	v_mul_f32_e32 v1, v40, v35
	v_add_f32_e32 v5, v24, v5
	v_fma_f32 v0, v40, v34, -v0
	v_fmac_f32_e32 v1, v41, v34
	v_add_f32_e32 v22, v4, v0
	v_add_f32_e32 v24, v5, v1
	v_mul_f32_e32 v0, v41, v37
	v_mul_f32_e32 v1, v40, v37
	v_fma_f32 v0, v40, v36, -v0
	v_fmac_f32_e32 v1, v41, v36
	s_addc_u32 s3, s3, 0
	v_add_f32_e32 v18, v6, v0
	v_add_f32_e32 v20, v7, v1
	v_mov_b64_e32 v[0:1], s[2:3]
	v_cmp_gt_i64_e32 vcc, s[26:27], v[0:1]
	s_barrier
	s_cbranch_vccz .LBB533_16
.LBB533_8:                              ; =>This Inner Loop Header: Depth=1
	v_mov_b32_e32 v0, 0
	v_mov_b32_e32 v1, 0
	s_and_saveexec_b64 s[8:9], s[0:1]
	s_cbranch_execz .LBB533_12
; %bb.9:                                ;   in Loop: Header=BB533_8 Depth=1
	v_add_u32_e32 v16, s2, v10
	v_cmp_gt_u64_e32 vcc, s[26:27], v[16:17]
	v_mov_b32_e32 v1, 0
	v_mov_b32_e32 v0, 0
	s_and_saveexec_b64 s[10:11], vcc
	s_cbranch_execz .LBB533_11
; %bb.10:                               ;   in Loop: Header=BB533_8 Depth=1
	v_mad_u64_u32 v[0:1], s[18:19], s6, v16, 0
	v_mov_b32_e32 v2, v1
	v_mad_u64_u32 v[2:3], s[18:19], s7, v16, v[2:3]
	v_mov_b32_e32 v1, v2
	v_lshl_add_u64 v[0:1], v[0:1], 3, v[12:13]
	flat_load_dwordx2 v[0:1], v[0:1]
.LBB533_11:                             ;   in Loop: Header=BB533_8 Depth=1
	s_or_b64 exec, exec, s[10:11]
.LBB533_12:                             ;   in Loop: Header=BB533_8 Depth=1
	s_or_b64 exec, exec, s[8:9]
	v_add_u32_e32 v16, s2, v8
	v_cmp_le_u64_e32 vcc, s[26:27], v[16:17]
	s_or_b64 s[8:9], vcc, s[4:5]
	s_waitcnt vmcnt(0) lgkmcnt(0)
	ds_write_b64 v19, v[0:1]
	s_and_saveexec_b64 s[10:11], s[8:9]
	s_xor_b64 s[8:9], exec, s[10:11]
; %bb.13:                               ;   in Loop: Header=BB533_8 Depth=1
	ds_write_b32 v21, v17
; %bb.14:                               ;   in Loop: Header=BB533_8 Depth=1
	s_or_saveexec_b64 s[8:9], s[8:9]
	v_mov_b32_e32 v0, 0
	s_xor_b64 exec, exec, s[8:9]
	s_cbranch_execz .LBB533_7
; %bb.15:                               ;   in Loop: Header=BB533_8 Depth=1
	v_mad_u64_u32 v[0:1], s[10:11], s16, v16, 0
	v_mov_b32_e32 v2, v1
	v_mad_u64_u32 v[2:3], s[10:11], s17, v16, v[2:3]
	v_mov_b32_e32 v1, v2
	v_lshl_add_u64 v[0:1], v[0:1], 3, v[14:15]
	flat_load_dwordx2 v[2:3], v[0:1]
	s_waitcnt vmcnt(0) lgkmcnt(0)
	v_xor_b32_e32 v0, 0x80000000, v3
	ds_write_b32 v21, v2
	s_branch .LBB533_7
.LBB533_16:
	s_lshl_b64 s[0:1], s[28:29], 3
	v_add_u32_e32 v10, s35, v11
	s_waitcnt lgkmcnt(0)
	s_add_u32 s6, s12, s0
	v_ashrrev_i32_e32 v1, 31, v10
	s_addc_u32 s7, s13, s1
	v_cmp_neq_f32_e64 s[0:1], s20, 0
	s_xor_b64 s[4:5], s[24:25], -1
	v_mul_lo_u32 v1, s14, v1
	v_mul_lo_u32 v4, s15, v10
	v_mad_u64_u32 v[2:3], s[2:3], s14, v10, 0
	v_add_u32_e32 v0, s34, v9
	v_add3_u32 v3, v3, v1, v4
	s_or_b64 s[0:1], s[0:1], s[4:5]
	v_lshl_add_u64 v[4:5], v[2:3], 3, s[6:7]
	v_cmp_le_i32_e32 vcc, v10, v0
	v_cmp_gt_i32_e64 s[2:3], s33, v0
	v_cndmask_b32_e64 v2, 0, 1, s[0:1]
	s_and_b64 s[8:9], vcc, s[2:3]
	v_ashrrev_i32_e32 v1, 31, v0
	v_cmp_ne_u32_e64 s[0:1], 1, v2
	s_and_saveexec_b64 s[4:5], s[8:9]
	s_cbranch_execz .LBB533_20
; %bb.17:
	v_pk_mul_f32 v[6:7], v[32:33], s[22:23] op_sel:[0,1] op_sel_hi:[0,0]
	v_pk_fma_f32 v[2:3], v[30:31], s[22:23], v[6:7] op_sel_hi:[0,1,1] neg_lo:[0,0,1] neg_hi:[0,0,1]
	v_pk_fma_f32 v[8:9], v[30:31], s[22:23], v[6:7] op_sel_hi:[0,1,1]
	s_and_b64 vcc, exec, s[0:1]
	v_lshl_add_u64 v[6:7], v[0:1], 3, v[4:5]
	s_cbranch_vccnz .LBB533_19
; %bb.18:
	flat_load_dwordx2 v[12:13], v[6:7]
	s_mov_b32 s8, s21
	v_mov_b32_e32 v3, v9
	s_waitcnt vmcnt(0) lgkmcnt(0)
	v_pk_mul_f32 v[8:9], v[12:13], s[8:9] op_sel:[1,0] op_sel_hi:[0,0]
	v_pk_fma_f32 v[14:15], v[12:13], s[20:21], v[8:9] neg_lo:[0,0,1] neg_hi:[0,0,1]
	v_pk_fma_f32 v[8:9], v[12:13], s[20:21], v[8:9] op_sel_hi:[1,0,1]
	s_nop 0
	v_mov_b32_e32 v15, v9
	v_pk_add_f32 v[2:3], v[2:3], v[14:15]
	s_nop 0
	v_mov_b32_e32 v9, v3
.LBB533_19:
	v_mov_b32_e32 v3, v9
	flat_store_dwordx2 v[6:7], v[2:3]
.LBB533_20:
	s_or_b64 exec, exec, s[4:5]
	v_add_u32_e32 v2, 16, v0
	v_cmp_le_i32_e32 vcc, v10, v2
	v_cmp_gt_i32_e64 s[4:5], s33, v2
	s_and_b64 s[10:11], vcc, s[4:5]
	v_ashrrev_i32_e32 v3, 31, v2
	s_and_saveexec_b64 s[8:9], s[10:11]
	s_cbranch_execz .LBB533_24
; %bb.21:
	v_pk_mul_f32 v[8:9], v[28:29], s[22:23] op_sel:[0,1] op_sel_hi:[0,0]
	v_pk_fma_f32 v[6:7], v[26:27], s[22:23], v[8:9] op_sel_hi:[0,1,1] neg_lo:[0,0,1] neg_hi:[0,0,1]
	v_pk_fma_f32 v[8:9], v[26:27], s[22:23], v[8:9] op_sel_hi:[0,1,1]
	s_and_b64 vcc, exec, s[0:1]
	v_lshl_add_u64 v[4:5], v[2:3], 3, v[4:5]
	s_cbranch_vccnz .LBB533_23
; %bb.22:
	flat_load_dwordx2 v[12:13], v[4:5]
	s_mov_b32 s10, s21
	v_mov_b32_e32 v7, v9
	s_waitcnt vmcnt(0) lgkmcnt(0)
	v_pk_mul_f32 v[8:9], v[12:13], s[10:11] op_sel:[1,0] op_sel_hi:[0,0]
	v_pk_fma_f32 v[14:15], v[12:13], s[20:21], v[8:9] neg_lo:[0,0,1] neg_hi:[0,0,1]
	v_pk_fma_f32 v[8:9], v[12:13], s[20:21], v[8:9] op_sel_hi:[1,0,1]
	s_nop 0
	v_mov_b32_e32 v15, v9
	v_pk_add_f32 v[6:7], v[6:7], v[14:15]
	s_nop 0
	v_mov_b32_e32 v9, v7
.LBB533_23:
	v_mov_b32_e32 v7, v9
	flat_store_dwordx2 v[4:5], v[6:7]
.LBB533_24:
	s_or_b64 exec, exec, s[8:9]
	v_add_u32_e32 v10, 16, v10
	v_ashrrev_i32_e32 v4, 31, v10
	v_mul_lo_u32 v6, s14, v4
	v_mul_lo_u32 v7, s15, v10
	v_mad_u64_u32 v[4:5], s[8:9], s14, v10, 0
	v_add3_u32 v5, v5, v6, v7
	v_cmp_le_i32_e32 vcc, v10, v0
	v_lshl_add_u64 v[4:5], v[4:5], 3, s[6:7]
	s_and_b64 s[6:7], vcc, s[2:3]
	s_and_saveexec_b64 s[2:3], s[6:7]
	s_cbranch_execz .LBB533_28
; %bb.25:
	v_pk_mul_f32 v[8:9], v[24:25], s[22:23] op_sel:[0,1] op_sel_hi:[0,0]
	v_pk_fma_f32 v[6:7], v[22:23], s[22:23], v[8:9] op_sel_hi:[0,1,1] neg_lo:[0,0,1] neg_hi:[0,0,1]
	v_pk_fma_f32 v[8:9], v[22:23], s[22:23], v[8:9] op_sel_hi:[0,1,1]
	s_and_b64 vcc, exec, s[0:1]
	v_lshl_add_u64 v[0:1], v[0:1], 3, v[4:5]
	s_cbranch_vccnz .LBB533_27
; %bb.26:
	flat_load_dwordx2 v[12:13], v[0:1]
	s_mov_b32 s6, s21
	v_mov_b32_e32 v7, v9
	s_waitcnt vmcnt(0) lgkmcnt(0)
	v_pk_mul_f32 v[8:9], v[12:13], s[6:7] op_sel:[1,0] op_sel_hi:[0,0]
	v_pk_fma_f32 v[14:15], v[12:13], s[20:21], v[8:9] neg_lo:[0,0,1] neg_hi:[0,0,1]
	v_pk_fma_f32 v[8:9], v[12:13], s[20:21], v[8:9] op_sel_hi:[1,0,1]
	s_nop 0
	v_mov_b32_e32 v15, v9
	v_pk_add_f32 v[6:7], v[6:7], v[14:15]
	s_nop 0
	v_mov_b32_e32 v9, v7
.LBB533_27:
	v_mov_b32_e32 v7, v9
	flat_store_dwordx2 v[0:1], v[6:7]
.LBB533_28:
	s_or_b64 exec, exec, s[2:3]
	v_cmp_le_i32_e32 vcc, v10, v2
	s_and_b64 s[2:3], vcc, s[4:5]
	s_and_saveexec_b64 s[4:5], s[2:3]
	s_cbranch_execz .LBB533_32
; %bb.29:
	v_pk_mul_f32 v[6:7], v[20:21], s[22:23] op_sel:[0,1] op_sel_hi:[0,0]
	v_pk_fma_f32 v[0:1], v[18:19], s[22:23], v[6:7] op_sel_hi:[0,1,1] neg_lo:[0,0,1] neg_hi:[0,0,1]
	v_pk_fma_f32 v[6:7], v[18:19], s[22:23], v[6:7] op_sel_hi:[0,1,1]
	s_and_b64 vcc, exec, s[0:1]
	v_lshl_add_u64 v[2:3], v[2:3], 3, v[4:5]
	s_cbranch_vccnz .LBB533_31
; %bb.30:
	flat_load_dwordx2 v[4:5], v[2:3]
	s_mov_b32 s0, s21
	v_mov_b32_e32 v1, v7
	s_waitcnt vmcnt(0) lgkmcnt(0)
	v_pk_mul_f32 v[6:7], v[4:5], s[0:1] op_sel:[1,0] op_sel_hi:[0,0]
	v_pk_fma_f32 v[8:9], v[4:5], s[20:21], v[6:7] neg_lo:[0,0,1] neg_hi:[0,0,1]
	v_pk_fma_f32 v[4:5], v[4:5], s[20:21], v[6:7] op_sel_hi:[1,0,1]
	s_nop 0
	v_mov_b32_e32 v9, v5
	v_pk_add_f32 v[0:1], v[0:1], v[8:9]
	s_nop 0
	v_mov_b32_e32 v7, v1
.LBB533_31:
	v_mov_b32_e32 v1, v7
	flat_store_dwordx2 v[2:3], v[0:1]
.LBB533_32:
	s_endpgm
	.section	.rodata,"a",@progbits
	.p2align	6, 0x0
	.amdhsa_kernel _ZL29rocblas_internal_gemmt_kernelIlLi16ELi32ELi8ELc78ELc67ELc76ELb0ELb1E19rocblas_complex_numIfES1_PKPKS1_PKPS1_EviT_T9_T10_S9_lSB_S9_lSA_T11_S9_li
		.amdhsa_group_segment_fixed_size 4096
		.amdhsa_private_segment_fixed_size 0
		.amdhsa_kernarg_size 108
		.amdhsa_user_sgpr_count 2
		.amdhsa_user_sgpr_dispatch_ptr 0
		.amdhsa_user_sgpr_queue_ptr 0
		.amdhsa_user_sgpr_kernarg_segment_ptr 1
		.amdhsa_user_sgpr_dispatch_id 0
		.amdhsa_user_sgpr_kernarg_preload_length 0
		.amdhsa_user_sgpr_kernarg_preload_offset 0
		.amdhsa_user_sgpr_private_segment_size 0
		.amdhsa_uses_dynamic_stack 0
		.amdhsa_enable_private_segment 0
		.amdhsa_system_sgpr_workgroup_id_x 1
		.amdhsa_system_sgpr_workgroup_id_y 1
		.amdhsa_system_sgpr_workgroup_id_z 1
		.amdhsa_system_sgpr_workgroup_info 0
		.amdhsa_system_vgpr_workitem_id 1
		.amdhsa_next_free_vgpr 51
		.amdhsa_next_free_sgpr 36
		.amdhsa_accum_offset 52
		.amdhsa_reserve_vcc 1
		.amdhsa_float_round_mode_32 0
		.amdhsa_float_round_mode_16_64 0
		.amdhsa_float_denorm_mode_32 3
		.amdhsa_float_denorm_mode_16_64 3
		.amdhsa_dx10_clamp 1
		.amdhsa_ieee_mode 1
		.amdhsa_fp16_overflow 0
		.amdhsa_tg_split 0
		.amdhsa_exception_fp_ieee_invalid_op 0
		.amdhsa_exception_fp_denorm_src 0
		.amdhsa_exception_fp_ieee_div_zero 0
		.amdhsa_exception_fp_ieee_overflow 0
		.amdhsa_exception_fp_ieee_underflow 0
		.amdhsa_exception_fp_ieee_inexact 0
		.amdhsa_exception_int_div_zero 0
	.end_amdhsa_kernel
	.section	.text._ZL29rocblas_internal_gemmt_kernelIlLi16ELi32ELi8ELc78ELc67ELc76ELb0ELb1E19rocblas_complex_numIfES1_PKPKS1_PKPS1_EviT_T9_T10_S9_lSB_S9_lSA_T11_S9_li,"axG",@progbits,_ZL29rocblas_internal_gemmt_kernelIlLi16ELi32ELi8ELc78ELc67ELc76ELb0ELb1E19rocblas_complex_numIfES1_PKPKS1_PKPS1_EviT_T9_T10_S9_lSB_S9_lSA_T11_S9_li,comdat
.Lfunc_end533:
	.size	_ZL29rocblas_internal_gemmt_kernelIlLi16ELi32ELi8ELc78ELc67ELc76ELb0ELb1E19rocblas_complex_numIfES1_PKPKS1_PKPS1_EviT_T9_T10_S9_lSB_S9_lSA_T11_S9_li, .Lfunc_end533-_ZL29rocblas_internal_gemmt_kernelIlLi16ELi32ELi8ELc78ELc67ELc76ELb0ELb1E19rocblas_complex_numIfES1_PKPKS1_PKPS1_EviT_T9_T10_S9_lSB_S9_lSA_T11_S9_li
                                        ; -- End function
	.set _ZL29rocblas_internal_gemmt_kernelIlLi16ELi32ELi8ELc78ELc67ELc76ELb0ELb1E19rocblas_complex_numIfES1_PKPKS1_PKPS1_EviT_T9_T10_S9_lSB_S9_lSA_T11_S9_li.num_vgpr, 51
	.set _ZL29rocblas_internal_gemmt_kernelIlLi16ELi32ELi8ELc78ELc67ELc76ELb0ELb1E19rocblas_complex_numIfES1_PKPKS1_PKPS1_EviT_T9_T10_S9_lSB_S9_lSA_T11_S9_li.num_agpr, 0
	.set _ZL29rocblas_internal_gemmt_kernelIlLi16ELi32ELi8ELc78ELc67ELc76ELb0ELb1E19rocblas_complex_numIfES1_PKPKS1_PKPS1_EviT_T9_T10_S9_lSB_S9_lSA_T11_S9_li.numbered_sgpr, 36
	.set _ZL29rocblas_internal_gemmt_kernelIlLi16ELi32ELi8ELc78ELc67ELc76ELb0ELb1E19rocblas_complex_numIfES1_PKPKS1_PKPS1_EviT_T9_T10_S9_lSB_S9_lSA_T11_S9_li.num_named_barrier, 0
	.set _ZL29rocblas_internal_gemmt_kernelIlLi16ELi32ELi8ELc78ELc67ELc76ELb0ELb1E19rocblas_complex_numIfES1_PKPKS1_PKPS1_EviT_T9_T10_S9_lSB_S9_lSA_T11_S9_li.private_seg_size, 0
	.set _ZL29rocblas_internal_gemmt_kernelIlLi16ELi32ELi8ELc78ELc67ELc76ELb0ELb1E19rocblas_complex_numIfES1_PKPKS1_PKPS1_EviT_T9_T10_S9_lSB_S9_lSA_T11_S9_li.uses_vcc, 1
	.set _ZL29rocblas_internal_gemmt_kernelIlLi16ELi32ELi8ELc78ELc67ELc76ELb0ELb1E19rocblas_complex_numIfES1_PKPKS1_PKPS1_EviT_T9_T10_S9_lSB_S9_lSA_T11_S9_li.uses_flat_scratch, 0
	.set _ZL29rocblas_internal_gemmt_kernelIlLi16ELi32ELi8ELc78ELc67ELc76ELb0ELb1E19rocblas_complex_numIfES1_PKPKS1_PKPS1_EviT_T9_T10_S9_lSB_S9_lSA_T11_S9_li.has_dyn_sized_stack, 0
	.set _ZL29rocblas_internal_gemmt_kernelIlLi16ELi32ELi8ELc78ELc67ELc76ELb0ELb1E19rocblas_complex_numIfES1_PKPKS1_PKPS1_EviT_T9_T10_S9_lSB_S9_lSA_T11_S9_li.has_recursion, 0
	.set _ZL29rocblas_internal_gemmt_kernelIlLi16ELi32ELi8ELc78ELc67ELc76ELb0ELb1E19rocblas_complex_numIfES1_PKPKS1_PKPS1_EviT_T9_T10_S9_lSB_S9_lSA_T11_S9_li.has_indirect_call, 0
	.section	.AMDGPU.csdata,"",@progbits
; Kernel info:
; codeLenInByte = 2584
; TotalNumSgprs: 42
; NumVgprs: 51
; NumAgprs: 0
; TotalNumVgprs: 51
; ScratchSize: 0
; MemoryBound: 0
; FloatMode: 240
; IeeeMode: 1
; LDSByteSize: 4096 bytes/workgroup (compile time only)
; SGPRBlocks: 5
; VGPRBlocks: 6
; NumSGPRsForWavesPerEU: 42
; NumVGPRsForWavesPerEU: 51
; AccumOffset: 52
; Occupancy: 8
; WaveLimiterHint : 1
; COMPUTE_PGM_RSRC2:SCRATCH_EN: 0
; COMPUTE_PGM_RSRC2:USER_SGPR: 2
; COMPUTE_PGM_RSRC2:TRAP_HANDLER: 0
; COMPUTE_PGM_RSRC2:TGID_X_EN: 1
; COMPUTE_PGM_RSRC2:TGID_Y_EN: 1
; COMPUTE_PGM_RSRC2:TGID_Z_EN: 1
; COMPUTE_PGM_RSRC2:TIDIG_COMP_CNT: 1
; COMPUTE_PGM_RSRC3_GFX90A:ACCUM_OFFSET: 12
; COMPUTE_PGM_RSRC3_GFX90A:TG_SPLIT: 0
	.section	.text._ZL29rocblas_internal_gemmt_kernelIlLi16ELi32ELi8ELc84ELc78ELc76ELb0ELb0E19rocblas_complex_numIfES1_PKPKS1_PKPS1_EviT_T9_T10_S9_lSB_S9_lSA_T11_S9_li,"axG",@progbits,_ZL29rocblas_internal_gemmt_kernelIlLi16ELi32ELi8ELc84ELc78ELc76ELb0ELb0E19rocblas_complex_numIfES1_PKPKS1_PKPS1_EviT_T9_T10_S9_lSB_S9_lSA_T11_S9_li,comdat
	.globl	_ZL29rocblas_internal_gemmt_kernelIlLi16ELi32ELi8ELc84ELc78ELc76ELb0ELb0E19rocblas_complex_numIfES1_PKPKS1_PKPS1_EviT_T9_T10_S9_lSB_S9_lSA_T11_S9_li ; -- Begin function _ZL29rocblas_internal_gemmt_kernelIlLi16ELi32ELi8ELc84ELc78ELc76ELb0ELb0E19rocblas_complex_numIfES1_PKPKS1_PKPS1_EviT_T9_T10_S9_lSB_S9_lSA_T11_S9_li
	.p2align	8
	.type	_ZL29rocblas_internal_gemmt_kernelIlLi16ELi32ELi8ELc84ELc78ELc76ELb0ELb0E19rocblas_complex_numIfES1_PKPKS1_PKPS1_EviT_T9_T10_S9_lSB_S9_lSA_T11_S9_li,@function
_ZL29rocblas_internal_gemmt_kernelIlLi16ELi32ELi8ELc84ELc78ELc76ELb0ELb0E19rocblas_complex_numIfES1_PKPKS1_PKPS1_EviT_T9_T10_S9_lSB_S9_lSA_T11_S9_li: ; @_ZL29rocblas_internal_gemmt_kernelIlLi16ELi32ELi8ELc84ELc78ELc76ELb0ELb0E19rocblas_complex_numIfES1_PKPKS1_PKPS1_EviT_T9_T10_S9_lSB_S9_lSA_T11_S9_li
; %bb.0:
	s_load_dwordx2 s[20:21], s[0:1], 0x48
	s_load_dwordx2 s[22:23], s[0:1], 0x10
	s_waitcnt lgkmcnt(0)
	s_and_b32 s5, s21, 0x7fffffff
	s_cmp_eq_u32 s5, 0
	v_cmp_eq_f32_e64 s[6:7], s20, 1.0
	s_cselect_b64 s[24:25], -1, 0
	s_and_b64 s[6:7], s[6:7], s[24:25]
	s_and_b64 vcc, exec, s[6:7]
	s_cbranch_vccnz .LBB534_2
; %bb.1:
	s_mov_b64 s[6:7], -1
	s_load_dwordx2 s[26:27], s[0:1], 0x8
	s_cbranch_execz .LBB534_3
	s_branch .LBB534_4
.LBB534_2:
	s_mov_b64 s[6:7], 0
	s_load_dwordx2 s[26:27], s[0:1], 0x8
.LBB534_3:
	s_waitcnt lgkmcnt(0)
	s_cmp_lg_u64 s[26:27], 0
	v_cmp_neq_f32_e64 s[8:9], s22, 0
	v_cmp_neq_f32_e64 s[10:11], s23, 0
	s_cselect_b64 s[6:7], -1, 0
	s_or_b64 s[8:9], s[8:9], s[10:11]
	s_and_b64 s[6:7], s[6:7], s[8:9]
.LBB534_4:
	s_andn2_b64 vcc, exec, s[6:7]
	s_cbranch_vccnz .LBB534_30
; %bb.5:
	s_load_dwordx2 s[28:29], s[0:1], 0x60
	s_load_dword s33, s[0:1], 0x0
	s_load_dwordx4 s[12:15], s[0:1], 0x50
	s_mov_b32 s5, 0
	s_lshl_b64 s[30:31], s[4:5], 3
	v_and_b32_e32 v9, 0x3ff, v0
	v_bfe_u32 v11, v0, 10, 10
	s_waitcnt lgkmcnt(0)
	s_add_u32 s4, s12, s30
	s_addc_u32 s5, s13, s31
	s_load_dwordx2 s[12:13], s[4:5], 0x0
	s_lshl_b32 s34, s2, 5
	s_lshl_b32 s35, s3, 5
	v_cmp_eq_f32_e64 s[2:3], s22, 0
	v_cmp_eq_f32_e64 s[4:5], s23, 0
	s_and_b64 s[2:3], s[2:3], s[4:5]
	v_cmp_lt_i64_e64 s[4:5], s[26:27], 1
	s_or_b64 s[2:3], s[2:3], s[4:5]
	v_mov_b32_e32 v30, 0
	s_and_b64 vcc, exec, s[2:3]
	v_mov_b32_e32 v32, 0
	v_mov_b32_e32 v26, 0
	v_mov_b32_e32 v28, 0
	v_mov_b32_e32 v22, 0
	v_mov_b32_e32 v24, 0
	v_mov_b32_e32 v18, 0
	v_mov_b32_e32 v20, 0
	s_cbranch_vccnz .LBB534_14
; %bb.6:
	s_load_dwordx8 s[4:11], s[0:1], 0x18
	s_load_dwordx4 s[16:19], s[0:1], 0x38
	v_lshl_add_u32 v0, v11, 4, v9
	v_lshrrev_b32_e32 v10, 5, v0
	v_lshrrev_b32_e32 v2, 3, v0
	s_waitcnt lgkmcnt(0)
	s_add_u32 s0, s10, s30
	s_addc_u32 s1, s11, s31
	s_load_dwordx2 s[0:1], s[0:1], 0x0
	s_lshl_b64 s[2:3], s[18:19], 3
	v_and_b32_e32 v0, 31, v0
	v_or_b32_e32 v1, s34, v0
	v_lshlrev_b32_e32 v0, 3, v0
	s_waitcnt lgkmcnt(0)
	s_add_u32 s10, s0, s2
	s_addc_u32 s11, s1, s3
	s_add_u32 s0, s4, s30
	s_addc_u32 s1, s5, s31
	s_load_dwordx2 s[2:3], s[0:1], 0x0
	s_lshl_b64 s[4:5], s[8:9], 3
	v_cmp_gt_i32_e64 s[0:1], s33, v1
	v_lshl_or_b32 v19, v10, 8, v0
	v_mul_lo_u32 v4, s7, v1
	s_waitcnt lgkmcnt(0)
	s_add_u32 s2, s2, s4
	s_addc_u32 s3, s3, s5
	s_ashr_i32 s8, s34, 31
	v_mad_u64_u32 v[0:1], s[4:5], s6, v1, 0
	s_mul_i32 s4, s6, s8
	v_and_b32_e32 v8, 7, v9
	v_add3_u32 v1, v1, s4, v4
	v_lshl_add_u64 v[12:13], v[0:1], 3, s[2:3]
	v_lshlrev_b32_e32 v0, 3, v8
	v_add_u32_e32 v3, s35, v2
	v_lshl_or_b32 v0, v2, 6, v0
	v_add_u32_e32 v21, 0x800, v0
	v_ashrrev_i32_e32 v0, 31, v3
	v_mul_lo_u32 v2, s16, v0
	v_mul_lo_u32 v4, s17, v3
	v_mad_u64_u32 v[0:1], s[4:5], s16, v3, 0
	v_add3_u32 v1, v1, v2, v4
	v_lshl_add_u64 v[14:15], v[0:1], 3, s[10:11]
	v_mov_b32_e32 v0, 0x800
	v_cmp_gt_i32_e64 s[2:3], s33, v3
	v_lshlrev_b32_e32 v23, 3, v9
	v_lshl_add_u32 v25, v11, 6, v0
	v_mov_b32_e32 v17, 0
	s_mov_b64 s[4:5], 0
	v_mov_b32_e32 v20, 0
	v_mov_b32_e32 v18, 0
	;; [unrolled: 1-line block ×8, first 2 shown]
	s_branch .LBB534_8
.LBB534_7:                              ;   in Loop: Header=BB534_8 Depth=1
	s_or_b64 exec, exec, s[6:7]
	s_waitcnt vmcnt(0) lgkmcnt(0)
	ds_write_b64 v21, v[0:1]
	s_waitcnt lgkmcnt(0)
	s_barrier
	ds_read2_b64 v[34:37], v23 offset1:16
	ds_read_b128 v[38:41], v25
	ds_read_b128 v[42:45], v25 offset:16
	ds_read_b128 v[4:7], v25 offset:32
	ds_read_b128 v[0:3], v25 offset:48
	s_add_u32 s4, s4, 8
	s_waitcnt lgkmcnt(3)
	v_mul_f32_e32 v16, v39, v35
	v_mul_f32_e32 v27, v38, v35
	v_fma_f32 v16, v38, v34, -v16
	v_fmac_f32_e32 v27, v39, v34
	v_add_f32_e32 v16, v30, v16
	v_add_f32_e32 v50, v32, v27
	ds_read_b128 v[30:33], v25 offset:1024
	v_mul_f32_e32 v27, v39, v37
	v_mul_f32_e32 v29, v38, v37
	v_fma_f32 v27, v38, v36, -v27
	v_fmac_f32_e32 v29, v39, v36
	v_add_f32_e32 v38, v26, v27
	v_add_f32_e32 v39, v28, v29
	ds_read_b128 v[26:29], v25 offset:1040
	s_waitcnt lgkmcnt(1)
	v_mul_f32_e32 v46, v31, v35
	v_fma_f32 v46, v30, v34, -v46
	v_add_f32_e32 v22, v22, v46
	ds_read2_b64 v[46:49], v23 offset0:32 offset1:48
	v_mul_f32_e32 v35, v30, v35
	v_fmac_f32_e32 v35, v31, v34
	v_mul_f32_e32 v34, v31, v37
	v_fma_f32 v34, v30, v36, -v34
	v_mul_f32_e32 v30, v30, v37
	v_fmac_f32_e32 v30, v31, v36
	v_add_f32_e32 v20, v20, v30
	s_waitcnt lgkmcnt(0)
	v_mul_f32_e32 v30, v41, v47
	v_mul_f32_e32 v31, v40, v47
	v_fma_f32 v30, v40, v46, -v30
	v_fmac_f32_e32 v31, v41, v46
	v_add_f32_e32 v18, v18, v34
	v_add_f32_e32 v16, v16, v30
	;; [unrolled: 1-line block ×3, first 2 shown]
	v_mul_f32_e32 v31, v41, v49
	v_mul_f32_e32 v34, v40, v49
	v_fma_f32 v31, v40, v48, -v31
	v_fmac_f32_e32 v34, v41, v48
	v_add_f32_e32 v31, v38, v31
	v_add_f32_e32 v38, v39, v34
	v_mul_f32_e32 v34, v33, v47
	v_add_f32_e32 v24, v24, v35
	v_fma_f32 v34, v32, v46, -v34
	v_mul_f32_e32 v35, v32, v47
	v_fmac_f32_e32 v35, v33, v46
	v_add_f32_e32 v22, v22, v34
	v_mul_f32_e32 v34, v33, v49
	v_add_f32_e32 v24, v24, v35
	v_fma_f32 v39, v32, v48, -v34
	ds_read2_b64 v[34:37], v23 offset0:64 offset1:80
	v_mul_f32_e32 v32, v32, v49
	v_fmac_f32_e32 v32, v33, v48
	v_add_f32_e32 v18, v18, v39
	v_add_f32_e32 v20, v20, v32
	s_waitcnt lgkmcnt(0)
	v_mul_f32_e32 v33, v42, v35
	v_fmac_f32_e32 v33, v43, v34
	v_add_f32_e32 v39, v30, v33
	v_mul_f32_e32 v30, v43, v37
	v_mul_f32_e32 v32, v43, v35
	v_fma_f32 v30, v42, v36, -v30
	v_fma_f32 v32, v42, v34, -v32
	v_add_f32_e32 v40, v31, v30
	v_mul_f32_e32 v30, v27, v35
	v_add_f32_e32 v16, v16, v32
	v_mul_f32_e32 v32, v42, v37
	v_fma_f32 v30, v26, v34, -v30
	v_mul_f32_e32 v31, v26, v35
	v_fmac_f32_e32 v32, v43, v36
	v_fmac_f32_e32 v31, v27, v34
	v_add_f32_e32 v22, v22, v30
	v_mul_f32_e32 v30, v27, v37
	v_add_f32_e32 v38, v38, v32
	v_add_f32_e32 v24, v24, v31
	v_fma_f32 v34, v26, v36, -v30
	ds_read2_b64 v[30:33], v23 offset0:96 offset1:112
	v_mul_f32_e32 v26, v26, v37
	v_fmac_f32_e32 v26, v27, v36
	v_add_f32_e32 v20, v20, v26
	v_add_f32_e32 v18, v18, v34
	s_waitcnt lgkmcnt(0)
	v_mul_f32_e32 v26, v45, v31
	v_mul_f32_e32 v27, v44, v31
	v_fma_f32 v26, v44, v30, -v26
	v_fmac_f32_e32 v27, v45, v30
	v_add_f32_e32 v16, v16, v26
	v_add_f32_e32 v26, v39, v27
	v_mul_f32_e32 v27, v45, v33
	v_mul_f32_e32 v34, v44, v33
	v_fma_f32 v27, v44, v32, -v27
	v_fmac_f32_e32 v34, v45, v32
	v_add_f32_e32 v39, v40, v27
	v_add_f32_e32 v38, v38, v34
	v_mul_f32_e32 v27, v29, v31
	ds_read2_b64 v[34:37], v23 offset0:128 offset1:144
	v_fma_f32 v27, v28, v30, -v27
	v_add_f32_e32 v22, v22, v27
	v_mul_f32_e32 v27, v29, v33
	v_mul_f32_e32 v31, v28, v31
	v_fma_f32 v27, v28, v32, -v27
	v_mul_f32_e32 v28, v28, v33
	v_fmac_f32_e32 v28, v29, v32
	v_add_f32_e32 v20, v20, v28
	s_waitcnt lgkmcnt(0)
	v_mul_f32_e32 v28, v4, v35
	v_add_f32_e32 v18, v18, v27
	v_mul_f32_e32 v27, v5, v35
	v_fmac_f32_e32 v28, v5, v34
	v_fma_f32 v27, v4, v34, -v27
	v_add_f32_e32 v42, v26, v28
	v_mul_f32_e32 v26, v5, v37
	v_fmac_f32_e32 v31, v29, v30
	v_add_f32_e32 v16, v16, v27
	v_fma_f32 v30, v4, v36, -v26
	ds_read_b128 v[26:29], v25 offset:1056
	v_mul_f32_e32 v4, v4, v37
	v_fmac_f32_e32 v4, v5, v36
	v_add_f32_e32 v5, v39, v30
	v_add_f32_e32 v4, v38, v4
	ds_read_b128 v[38:41], v25 offset:1072
	s_waitcnt lgkmcnt(1)
	v_mul_f32_e32 v30, v27, v35
	v_add_f32_e32 v24, v24, v31
	v_fma_f32 v30, v26, v34, -v30
	v_mul_f32_e32 v31, v26, v35
	v_fmac_f32_e32 v31, v27, v34
	v_add_f32_e32 v22, v22, v30
	v_mul_f32_e32 v30, v27, v37
	v_add_f32_e32 v24, v24, v31
	v_fma_f32 v34, v26, v36, -v30
	ds_read2_b64 v[30:33], v23 offset0:160 offset1:176
	v_mul_f32_e32 v26, v26, v37
	v_fmac_f32_e32 v26, v27, v36
	v_add_f32_e32 v20, v20, v26
	v_add_f32_e32 v18, v18, v34
	s_waitcnt lgkmcnt(0)
	v_mul_f32_e32 v26, v7, v31
	v_mul_f32_e32 v27, v6, v31
	v_fma_f32 v26, v6, v30, -v26
	v_fmac_f32_e32 v27, v7, v30
	v_add_f32_e32 v16, v16, v26
	v_add_f32_e32 v26, v42, v27
	v_mul_f32_e32 v27, v7, v33
	v_fma_f32 v27, v6, v32, -v27
	v_mul_f32_e32 v6, v6, v33
	v_fmac_f32_e32 v6, v7, v32
	v_add_f32_e32 v34, v4, v6
	v_mul_f32_e32 v4, v29, v31
	v_add_f32_e32 v27, v5, v27
	v_fma_f32 v4, v28, v30, -v4
	v_mul_f32_e32 v5, v28, v31
	v_fmac_f32_e32 v5, v29, v30
	v_add_f32_e32 v22, v22, v4
	v_mul_f32_e32 v4, v29, v33
	v_add_f32_e32 v24, v24, v5
	v_fma_f32 v30, v28, v32, -v4
	ds_read2_b64 v[4:7], v23 offset0:192 offset1:208
	v_mul_f32_e32 v28, v28, v33
	v_fmac_f32_e32 v28, v29, v32
	v_add_f32_e32 v20, v20, v28
	v_add_f32_e32 v18, v18, v30
	s_waitcnt lgkmcnt(0)
	v_mul_f32_e32 v28, v1, v5
	v_fma_f32 v28, v0, v4, -v28
	v_add_f32_e32 v16, v16, v28
	v_mul_f32_e32 v28, v1, v7
	v_mul_f32_e32 v29, v0, v5
	v_fma_f32 v28, v0, v6, -v28
	v_mul_f32_e32 v0, v0, v7
	v_fmac_f32_e32 v0, v1, v6
	v_add_f32_e32 v0, v34, v0
	ds_read2_b64 v[34:37], v23 offset0:224 offset1:240
	v_fmac_f32_e32 v29, v1, v4
	v_add_f32_e32 v1, v27, v28
	v_mul_f32_e32 v27, v39, v5
	v_fma_f32 v27, v38, v4, -v27
	v_mul_f32_e32 v5, v38, v5
	v_fmac_f32_e32 v5, v39, v4
	v_add_f32_e32 v4, v22, v27
	v_mul_f32_e32 v22, v39, v7
	v_fma_f32 v22, v38, v6, -v22
	v_mul_f32_e32 v7, v38, v7
	v_fmac_f32_e32 v7, v39, v6
	v_add_f32_e32 v6, v18, v22
	s_waitcnt lgkmcnt(0)
	v_mul_f32_e32 v18, v3, v35
	v_fma_f32 v18, v2, v34, -v18
	v_add_f32_e32 v30, v16, v18
	v_mul_f32_e32 v16, v3, v37
	v_add_f32_e32 v7, v20, v7
	v_mul_f32_e32 v20, v2, v35
	v_fma_f32 v16, v2, v36, -v16
	v_mul_f32_e32 v2, v2, v37
	v_add_f32_e32 v26, v26, v29
	v_fmac_f32_e32 v20, v3, v34
	v_fmac_f32_e32 v2, v3, v36
	v_add_f32_e32 v32, v26, v20
	v_add_f32_e32 v26, v1, v16
	;; [unrolled: 1-line block ×3, first 2 shown]
	v_mul_f32_e32 v0, v41, v35
	v_mul_f32_e32 v1, v40, v35
	v_add_f32_e32 v5, v24, v5
	v_fma_f32 v0, v40, v34, -v0
	v_fmac_f32_e32 v1, v41, v34
	v_add_f32_e32 v22, v4, v0
	v_add_f32_e32 v24, v5, v1
	v_mul_f32_e32 v0, v41, v37
	v_mul_f32_e32 v1, v40, v37
	v_fma_f32 v0, v40, v36, -v0
	v_fmac_f32_e32 v1, v41, v36
	s_addc_u32 s5, s5, 0
	v_add_f32_e32 v18, v6, v0
	v_add_f32_e32 v20, v7, v1
	v_mov_b64_e32 v[0:1], s[4:5]
	v_cmp_gt_i64_e32 vcc, s[26:27], v[0:1]
	s_barrier
	s_cbranch_vccz .LBB534_14
.LBB534_8:                              ; =>This Inner Loop Header: Depth=1
	v_mov_b32_e32 v0, 0
	v_mov_b32_e32 v1, 0
	s_and_saveexec_b64 s[6:7], s[0:1]
	s_cbranch_execz .LBB534_12
; %bb.9:                                ;   in Loop: Header=BB534_8 Depth=1
	v_add_u32_e32 v16, s4, v10
	v_cmp_gt_u64_e32 vcc, s[26:27], v[16:17]
	v_mov_b32_e32 v1, 0
	v_mov_b32_e32 v0, 0
	s_and_saveexec_b64 s[8:9], vcc
	s_cbranch_execz .LBB534_11
; %bb.10:                               ;   in Loop: Header=BB534_8 Depth=1
	v_lshl_add_u64 v[0:1], v[16:17], 3, v[12:13]
	flat_load_dwordx2 v[0:1], v[0:1]
.LBB534_11:                             ;   in Loop: Header=BB534_8 Depth=1
	s_or_b64 exec, exec, s[8:9]
.LBB534_12:                             ;   in Loop: Header=BB534_8 Depth=1
	s_or_b64 exec, exec, s[6:7]
	v_add_u32_e32 v16, s4, v8
	v_cmp_gt_u64_e32 vcc, s[26:27], v[16:17]
	s_waitcnt vmcnt(0) lgkmcnt(0)
	ds_write_b64 v19, v[0:1]
	s_and_b64 s[8:9], vcc, s[2:3]
	v_mov_b32_e32 v0, 0
	v_mov_b32_e32 v1, 0
	s_and_saveexec_b64 s[6:7], s[8:9]
	s_cbranch_execz .LBB534_7
; %bb.13:                               ;   in Loop: Header=BB534_8 Depth=1
	v_lshl_add_u64 v[0:1], v[16:17], 3, v[14:15]
	flat_load_dwordx2 v[0:1], v[0:1]
	s_branch .LBB534_7
.LBB534_14:
	s_lshl_b64 s[0:1], s[28:29], 3
	v_add_u32_e32 v10, s35, v11
	s_waitcnt lgkmcnt(0)
	s_add_u32 s6, s12, s0
	v_ashrrev_i32_e32 v1, 31, v10
	s_addc_u32 s7, s13, s1
	v_cmp_neq_f32_e64 s[0:1], s20, 0
	s_xor_b64 s[4:5], s[24:25], -1
	v_mul_lo_u32 v1, s14, v1
	v_mul_lo_u32 v4, s15, v10
	v_mad_u64_u32 v[2:3], s[2:3], s14, v10, 0
	v_add_u32_e32 v0, s34, v9
	v_add3_u32 v3, v3, v1, v4
	s_or_b64 s[0:1], s[0:1], s[4:5]
	v_lshl_add_u64 v[4:5], v[2:3], 3, s[6:7]
	v_cmp_le_i32_e32 vcc, v10, v0
	v_cmp_gt_i32_e64 s[2:3], s33, v0
	v_cndmask_b32_e64 v2, 0, 1, s[0:1]
	s_and_b64 s[8:9], vcc, s[2:3]
	v_ashrrev_i32_e32 v1, 31, v0
	v_cmp_ne_u32_e64 s[0:1], 1, v2
	s_and_saveexec_b64 s[4:5], s[8:9]
	s_cbranch_execz .LBB534_18
; %bb.15:
	v_pk_mul_f32 v[6:7], v[32:33], s[22:23] op_sel:[0,1] op_sel_hi:[0,0]
	v_pk_fma_f32 v[2:3], v[30:31], s[22:23], v[6:7] op_sel_hi:[0,1,1] neg_lo:[0,0,1] neg_hi:[0,0,1]
	v_pk_fma_f32 v[8:9], v[30:31], s[22:23], v[6:7] op_sel_hi:[0,1,1]
	s_and_b64 vcc, exec, s[0:1]
	v_lshl_add_u64 v[6:7], v[0:1], 3, v[4:5]
	s_cbranch_vccnz .LBB534_17
; %bb.16:
	flat_load_dwordx2 v[12:13], v[6:7]
	s_mov_b32 s8, s21
	v_mov_b32_e32 v3, v9
	s_waitcnt vmcnt(0) lgkmcnt(0)
	v_pk_mul_f32 v[8:9], v[12:13], s[8:9] op_sel:[1,0] op_sel_hi:[0,0]
	v_pk_fma_f32 v[14:15], v[12:13], s[20:21], v[8:9] neg_lo:[0,0,1] neg_hi:[0,0,1]
	v_pk_fma_f32 v[8:9], v[12:13], s[20:21], v[8:9] op_sel_hi:[1,0,1]
	s_nop 0
	v_mov_b32_e32 v15, v9
	v_pk_add_f32 v[2:3], v[2:3], v[14:15]
	s_nop 0
	v_mov_b32_e32 v9, v3
.LBB534_17:
	v_mov_b32_e32 v3, v9
	flat_store_dwordx2 v[6:7], v[2:3]
.LBB534_18:
	s_or_b64 exec, exec, s[4:5]
	v_add_u32_e32 v2, 16, v0
	v_cmp_le_i32_e32 vcc, v10, v2
	v_cmp_gt_i32_e64 s[4:5], s33, v2
	s_and_b64 s[10:11], vcc, s[4:5]
	v_ashrrev_i32_e32 v3, 31, v2
	s_and_saveexec_b64 s[8:9], s[10:11]
	s_cbranch_execz .LBB534_22
; %bb.19:
	v_pk_mul_f32 v[8:9], v[28:29], s[22:23] op_sel:[0,1] op_sel_hi:[0,0]
	v_pk_fma_f32 v[6:7], v[26:27], s[22:23], v[8:9] op_sel_hi:[0,1,1] neg_lo:[0,0,1] neg_hi:[0,0,1]
	v_pk_fma_f32 v[8:9], v[26:27], s[22:23], v[8:9] op_sel_hi:[0,1,1]
	s_and_b64 vcc, exec, s[0:1]
	v_lshl_add_u64 v[4:5], v[2:3], 3, v[4:5]
	s_cbranch_vccnz .LBB534_21
; %bb.20:
	flat_load_dwordx2 v[12:13], v[4:5]
	s_mov_b32 s10, s21
	v_mov_b32_e32 v7, v9
	s_waitcnt vmcnt(0) lgkmcnt(0)
	v_pk_mul_f32 v[8:9], v[12:13], s[10:11] op_sel:[1,0] op_sel_hi:[0,0]
	v_pk_fma_f32 v[14:15], v[12:13], s[20:21], v[8:9] neg_lo:[0,0,1] neg_hi:[0,0,1]
	v_pk_fma_f32 v[8:9], v[12:13], s[20:21], v[8:9] op_sel_hi:[1,0,1]
	s_nop 0
	v_mov_b32_e32 v15, v9
	v_pk_add_f32 v[6:7], v[6:7], v[14:15]
	s_nop 0
	v_mov_b32_e32 v9, v7
.LBB534_21:
	v_mov_b32_e32 v7, v9
	flat_store_dwordx2 v[4:5], v[6:7]
.LBB534_22:
	s_or_b64 exec, exec, s[8:9]
	v_add_u32_e32 v10, 16, v10
	v_ashrrev_i32_e32 v4, 31, v10
	v_mul_lo_u32 v6, s14, v4
	v_mul_lo_u32 v7, s15, v10
	v_mad_u64_u32 v[4:5], s[8:9], s14, v10, 0
	v_add3_u32 v5, v5, v6, v7
	v_cmp_le_i32_e32 vcc, v10, v0
	v_lshl_add_u64 v[4:5], v[4:5], 3, s[6:7]
	s_and_b64 s[6:7], vcc, s[2:3]
	s_and_saveexec_b64 s[2:3], s[6:7]
	s_cbranch_execz .LBB534_26
; %bb.23:
	v_pk_mul_f32 v[8:9], v[24:25], s[22:23] op_sel:[0,1] op_sel_hi:[0,0]
	v_pk_fma_f32 v[6:7], v[22:23], s[22:23], v[8:9] op_sel_hi:[0,1,1] neg_lo:[0,0,1] neg_hi:[0,0,1]
	v_pk_fma_f32 v[8:9], v[22:23], s[22:23], v[8:9] op_sel_hi:[0,1,1]
	s_and_b64 vcc, exec, s[0:1]
	v_lshl_add_u64 v[0:1], v[0:1], 3, v[4:5]
	s_cbranch_vccnz .LBB534_25
; %bb.24:
	flat_load_dwordx2 v[12:13], v[0:1]
	s_mov_b32 s6, s21
	v_mov_b32_e32 v7, v9
	s_waitcnt vmcnt(0) lgkmcnt(0)
	v_pk_mul_f32 v[8:9], v[12:13], s[6:7] op_sel:[1,0] op_sel_hi:[0,0]
	v_pk_fma_f32 v[14:15], v[12:13], s[20:21], v[8:9] neg_lo:[0,0,1] neg_hi:[0,0,1]
	v_pk_fma_f32 v[8:9], v[12:13], s[20:21], v[8:9] op_sel_hi:[1,0,1]
	s_nop 0
	v_mov_b32_e32 v15, v9
	v_pk_add_f32 v[6:7], v[6:7], v[14:15]
	s_nop 0
	v_mov_b32_e32 v9, v7
.LBB534_25:
	v_mov_b32_e32 v7, v9
	flat_store_dwordx2 v[0:1], v[6:7]
.LBB534_26:
	s_or_b64 exec, exec, s[2:3]
	v_cmp_le_i32_e32 vcc, v10, v2
	s_and_b64 s[2:3], vcc, s[4:5]
	s_and_saveexec_b64 s[4:5], s[2:3]
	s_cbranch_execz .LBB534_30
; %bb.27:
	v_pk_mul_f32 v[6:7], v[20:21], s[22:23] op_sel:[0,1] op_sel_hi:[0,0]
	v_pk_fma_f32 v[0:1], v[18:19], s[22:23], v[6:7] op_sel_hi:[0,1,1] neg_lo:[0,0,1] neg_hi:[0,0,1]
	v_pk_fma_f32 v[6:7], v[18:19], s[22:23], v[6:7] op_sel_hi:[0,1,1]
	s_and_b64 vcc, exec, s[0:1]
	v_lshl_add_u64 v[2:3], v[2:3], 3, v[4:5]
	s_cbranch_vccnz .LBB534_29
; %bb.28:
	flat_load_dwordx2 v[4:5], v[2:3]
	s_mov_b32 s0, s21
	v_mov_b32_e32 v1, v7
	s_waitcnt vmcnt(0) lgkmcnt(0)
	v_pk_mul_f32 v[6:7], v[4:5], s[0:1] op_sel:[1,0] op_sel_hi:[0,0]
	v_pk_fma_f32 v[8:9], v[4:5], s[20:21], v[6:7] neg_lo:[0,0,1] neg_hi:[0,0,1]
	v_pk_fma_f32 v[4:5], v[4:5], s[20:21], v[6:7] op_sel_hi:[1,0,1]
	s_nop 0
	v_mov_b32_e32 v9, v5
	v_pk_add_f32 v[0:1], v[0:1], v[8:9]
	s_nop 0
	v_mov_b32_e32 v7, v1
.LBB534_29:
	v_mov_b32_e32 v1, v7
	flat_store_dwordx2 v[2:3], v[0:1]
.LBB534_30:
	s_endpgm
	.section	.rodata,"a",@progbits
	.p2align	6, 0x0
	.amdhsa_kernel _ZL29rocblas_internal_gemmt_kernelIlLi16ELi32ELi8ELc84ELc78ELc76ELb0ELb0E19rocblas_complex_numIfES1_PKPKS1_PKPS1_EviT_T9_T10_S9_lSB_S9_lSA_T11_S9_li
		.amdhsa_group_segment_fixed_size 4096
		.amdhsa_private_segment_fixed_size 0
		.amdhsa_kernarg_size 108
		.amdhsa_user_sgpr_count 2
		.amdhsa_user_sgpr_dispatch_ptr 0
		.amdhsa_user_sgpr_queue_ptr 0
		.amdhsa_user_sgpr_kernarg_segment_ptr 1
		.amdhsa_user_sgpr_dispatch_id 0
		.amdhsa_user_sgpr_kernarg_preload_length 0
		.amdhsa_user_sgpr_kernarg_preload_offset 0
		.amdhsa_user_sgpr_private_segment_size 0
		.amdhsa_uses_dynamic_stack 0
		.amdhsa_enable_private_segment 0
		.amdhsa_system_sgpr_workgroup_id_x 1
		.amdhsa_system_sgpr_workgroup_id_y 1
		.amdhsa_system_sgpr_workgroup_id_z 1
		.amdhsa_system_sgpr_workgroup_info 0
		.amdhsa_system_vgpr_workitem_id 1
		.amdhsa_next_free_vgpr 51
		.amdhsa_next_free_sgpr 36
		.amdhsa_accum_offset 52
		.amdhsa_reserve_vcc 1
		.amdhsa_float_round_mode_32 0
		.amdhsa_float_round_mode_16_64 0
		.amdhsa_float_denorm_mode_32 3
		.amdhsa_float_denorm_mode_16_64 3
		.amdhsa_dx10_clamp 1
		.amdhsa_ieee_mode 1
		.amdhsa_fp16_overflow 0
		.amdhsa_tg_split 0
		.amdhsa_exception_fp_ieee_invalid_op 0
		.amdhsa_exception_fp_denorm_src 0
		.amdhsa_exception_fp_ieee_div_zero 0
		.amdhsa_exception_fp_ieee_overflow 0
		.amdhsa_exception_fp_ieee_underflow 0
		.amdhsa_exception_fp_ieee_inexact 0
		.amdhsa_exception_int_div_zero 0
	.end_amdhsa_kernel
	.section	.text._ZL29rocblas_internal_gemmt_kernelIlLi16ELi32ELi8ELc84ELc78ELc76ELb0ELb0E19rocblas_complex_numIfES1_PKPKS1_PKPS1_EviT_T9_T10_S9_lSB_S9_lSA_T11_S9_li,"axG",@progbits,_ZL29rocblas_internal_gemmt_kernelIlLi16ELi32ELi8ELc84ELc78ELc76ELb0ELb0E19rocblas_complex_numIfES1_PKPKS1_PKPS1_EviT_T9_T10_S9_lSB_S9_lSA_T11_S9_li,comdat
.Lfunc_end534:
	.size	_ZL29rocblas_internal_gemmt_kernelIlLi16ELi32ELi8ELc84ELc78ELc76ELb0ELb0E19rocblas_complex_numIfES1_PKPKS1_PKPS1_EviT_T9_T10_S9_lSB_S9_lSA_T11_S9_li, .Lfunc_end534-_ZL29rocblas_internal_gemmt_kernelIlLi16ELi32ELi8ELc84ELc78ELc76ELb0ELb0E19rocblas_complex_numIfES1_PKPKS1_PKPS1_EviT_T9_T10_S9_lSB_S9_lSA_T11_S9_li
                                        ; -- End function
	.set _ZL29rocblas_internal_gemmt_kernelIlLi16ELi32ELi8ELc84ELc78ELc76ELb0ELb0E19rocblas_complex_numIfES1_PKPKS1_PKPS1_EviT_T9_T10_S9_lSB_S9_lSA_T11_S9_li.num_vgpr, 51
	.set _ZL29rocblas_internal_gemmt_kernelIlLi16ELi32ELi8ELc84ELc78ELc76ELb0ELb0E19rocblas_complex_numIfES1_PKPKS1_PKPS1_EviT_T9_T10_S9_lSB_S9_lSA_T11_S9_li.num_agpr, 0
	.set _ZL29rocblas_internal_gemmt_kernelIlLi16ELi32ELi8ELc84ELc78ELc76ELb0ELb0E19rocblas_complex_numIfES1_PKPKS1_PKPS1_EviT_T9_T10_S9_lSB_S9_lSA_T11_S9_li.numbered_sgpr, 36
	.set _ZL29rocblas_internal_gemmt_kernelIlLi16ELi32ELi8ELc84ELc78ELc76ELb0ELb0E19rocblas_complex_numIfES1_PKPKS1_PKPS1_EviT_T9_T10_S9_lSB_S9_lSA_T11_S9_li.num_named_barrier, 0
	.set _ZL29rocblas_internal_gemmt_kernelIlLi16ELi32ELi8ELc84ELc78ELc76ELb0ELb0E19rocblas_complex_numIfES1_PKPKS1_PKPS1_EviT_T9_T10_S9_lSB_S9_lSA_T11_S9_li.private_seg_size, 0
	.set _ZL29rocblas_internal_gemmt_kernelIlLi16ELi32ELi8ELc84ELc78ELc76ELb0ELb0E19rocblas_complex_numIfES1_PKPKS1_PKPS1_EviT_T9_T10_S9_lSB_S9_lSA_T11_S9_li.uses_vcc, 1
	.set _ZL29rocblas_internal_gemmt_kernelIlLi16ELi32ELi8ELc84ELc78ELc76ELb0ELb0E19rocblas_complex_numIfES1_PKPKS1_PKPS1_EviT_T9_T10_S9_lSB_S9_lSA_T11_S9_li.uses_flat_scratch, 0
	.set _ZL29rocblas_internal_gemmt_kernelIlLi16ELi32ELi8ELc84ELc78ELc76ELb0ELb0E19rocblas_complex_numIfES1_PKPKS1_PKPS1_EviT_T9_T10_S9_lSB_S9_lSA_T11_S9_li.has_dyn_sized_stack, 0
	.set _ZL29rocblas_internal_gemmt_kernelIlLi16ELi32ELi8ELc84ELc78ELc76ELb0ELb0E19rocblas_complex_numIfES1_PKPKS1_PKPS1_EviT_T9_T10_S9_lSB_S9_lSA_T11_S9_li.has_recursion, 0
	.set _ZL29rocblas_internal_gemmt_kernelIlLi16ELi32ELi8ELc84ELc78ELc76ELb0ELb0E19rocblas_complex_numIfES1_PKPKS1_PKPS1_EviT_T9_T10_S9_lSB_S9_lSA_T11_S9_li.has_indirect_call, 0
	.section	.AMDGPU.csdata,"",@progbits
; Kernel info:
; codeLenInByte = 2564
; TotalNumSgprs: 42
; NumVgprs: 51
; NumAgprs: 0
; TotalNumVgprs: 51
; ScratchSize: 0
; MemoryBound: 0
; FloatMode: 240
; IeeeMode: 1
; LDSByteSize: 4096 bytes/workgroup (compile time only)
; SGPRBlocks: 5
; VGPRBlocks: 6
; NumSGPRsForWavesPerEU: 42
; NumVGPRsForWavesPerEU: 51
; AccumOffset: 52
; Occupancy: 8
; WaveLimiterHint : 1
; COMPUTE_PGM_RSRC2:SCRATCH_EN: 0
; COMPUTE_PGM_RSRC2:USER_SGPR: 2
; COMPUTE_PGM_RSRC2:TRAP_HANDLER: 0
; COMPUTE_PGM_RSRC2:TGID_X_EN: 1
; COMPUTE_PGM_RSRC2:TGID_Y_EN: 1
; COMPUTE_PGM_RSRC2:TGID_Z_EN: 1
; COMPUTE_PGM_RSRC2:TIDIG_COMP_CNT: 1
; COMPUTE_PGM_RSRC3_GFX90A:ACCUM_OFFSET: 12
; COMPUTE_PGM_RSRC3_GFX90A:TG_SPLIT: 0
	.section	.text._ZL29rocblas_internal_gemmt_kernelIlLi16ELi32ELi8ELc84ELc84ELc76ELb0ELb0E19rocblas_complex_numIfES1_PKPKS1_PKPS1_EviT_T9_T10_S9_lSB_S9_lSA_T11_S9_li,"axG",@progbits,_ZL29rocblas_internal_gemmt_kernelIlLi16ELi32ELi8ELc84ELc84ELc76ELb0ELb0E19rocblas_complex_numIfES1_PKPKS1_PKPS1_EviT_T9_T10_S9_lSB_S9_lSA_T11_S9_li,comdat
	.globl	_ZL29rocblas_internal_gemmt_kernelIlLi16ELi32ELi8ELc84ELc84ELc76ELb0ELb0E19rocblas_complex_numIfES1_PKPKS1_PKPS1_EviT_T9_T10_S9_lSB_S9_lSA_T11_S9_li ; -- Begin function _ZL29rocblas_internal_gemmt_kernelIlLi16ELi32ELi8ELc84ELc84ELc76ELb0ELb0E19rocblas_complex_numIfES1_PKPKS1_PKPS1_EviT_T9_T10_S9_lSB_S9_lSA_T11_S9_li
	.p2align	8
	.type	_ZL29rocblas_internal_gemmt_kernelIlLi16ELi32ELi8ELc84ELc84ELc76ELb0ELb0E19rocblas_complex_numIfES1_PKPKS1_PKPS1_EviT_T9_T10_S9_lSB_S9_lSA_T11_S9_li,@function
_ZL29rocblas_internal_gemmt_kernelIlLi16ELi32ELi8ELc84ELc84ELc76ELb0ELb0E19rocblas_complex_numIfES1_PKPKS1_PKPS1_EviT_T9_T10_S9_lSB_S9_lSA_T11_S9_li: ; @_ZL29rocblas_internal_gemmt_kernelIlLi16ELi32ELi8ELc84ELc84ELc76ELb0ELb0E19rocblas_complex_numIfES1_PKPKS1_PKPS1_EviT_T9_T10_S9_lSB_S9_lSA_T11_S9_li
; %bb.0:
	s_load_dwordx2 s[20:21], s[0:1], 0x48
	s_load_dwordx2 s[22:23], s[0:1], 0x10
	s_waitcnt lgkmcnt(0)
	s_and_b32 s5, s21, 0x7fffffff
	s_cmp_eq_u32 s5, 0
	v_cmp_eq_f32_e64 s[6:7], s20, 1.0
	s_cselect_b64 s[24:25], -1, 0
	s_and_b64 s[6:7], s[6:7], s[24:25]
	s_and_b64 vcc, exec, s[6:7]
	s_cbranch_vccnz .LBB535_2
; %bb.1:
	s_mov_b64 s[6:7], -1
	s_load_dwordx2 s[26:27], s[0:1], 0x8
	s_cbranch_execz .LBB535_3
	s_branch .LBB535_4
.LBB535_2:
	s_mov_b64 s[6:7], 0
	s_load_dwordx2 s[26:27], s[0:1], 0x8
.LBB535_3:
	s_waitcnt lgkmcnt(0)
	s_cmp_lg_u64 s[26:27], 0
	v_cmp_neq_f32_e64 s[8:9], s22, 0
	v_cmp_neq_f32_e64 s[10:11], s23, 0
	s_cselect_b64 s[6:7], -1, 0
	s_or_b64 s[8:9], s[8:9], s[10:11]
	s_and_b64 s[6:7], s[6:7], s[8:9]
.LBB535_4:
	s_andn2_b64 vcc, exec, s[6:7]
	s_cbranch_vccnz .LBB535_30
; %bb.5:
	s_load_dwordx2 s[28:29], s[0:1], 0x60
	s_load_dword s33, s[0:1], 0x0
	s_load_dwordx4 s[12:15], s[0:1], 0x50
	s_mov_b32 s5, 0
	s_lshl_b64 s[30:31], s[4:5], 3
	v_and_b32_e32 v9, 0x3ff, v0
	v_bfe_u32 v11, v0, 10, 10
	s_waitcnt lgkmcnt(0)
	s_add_u32 s4, s12, s30
	s_addc_u32 s5, s13, s31
	s_load_dwordx2 s[12:13], s[4:5], 0x0
	s_lshl_b32 s34, s2, 5
	s_lshl_b32 s35, s3, 5
	v_cmp_eq_f32_e64 s[2:3], s22, 0
	v_cmp_eq_f32_e64 s[4:5], s23, 0
	s_and_b64 s[2:3], s[2:3], s[4:5]
	v_cmp_lt_i64_e64 s[4:5], s[26:27], 1
	s_or_b64 s[2:3], s[2:3], s[4:5]
	v_mov_b32_e32 v30, 0
	s_and_b64 vcc, exec, s[2:3]
	v_mov_b32_e32 v32, 0
	v_mov_b32_e32 v26, 0
	;; [unrolled: 1-line block ×7, first 2 shown]
	s_cbranch_vccnz .LBB535_14
; %bb.6:
	s_load_dwordx8 s[4:11], s[0:1], 0x18
	s_load_dwordx4 s[16:19], s[0:1], 0x38
	v_lshl_add_u32 v0, v11, 4, v9
	v_and_b32_e32 v2, 31, v0
	v_lshrrev_b32_e32 v10, 5, v0
	s_waitcnt lgkmcnt(0)
	s_add_u32 s0, s10, s30
	s_addc_u32 s1, s11, s31
	s_load_dwordx2 s[0:1], s[0:1], 0x0
	s_lshl_b64 s[2:3], s[18:19], 3
	v_or_b32_e32 v3, s34, v2
	v_lshlrev_b32_e32 v2, 3, v2
	v_lshl_or_b32 v19, v10, 8, v2
	s_waitcnt lgkmcnt(0)
	s_add_u32 s10, s0, s2
	s_addc_u32 s11, s1, s3
	s_add_u32 s0, s4, s30
	s_addc_u32 s1, s5, s31
	s_load_dwordx2 s[2:3], s[0:1], 0x0
	s_lshl_b64 s[4:5], s[8:9], 3
	v_cmp_gt_i32_e64 s[0:1], s33, v3
	v_mul_lo_u32 v4, s7, v3
	v_and_b32_e32 v8, 7, v9
	s_waitcnt lgkmcnt(0)
	s_add_u32 s2, s2, s4
	s_addc_u32 s3, s3, s5
	s_ashr_i32 s8, s34, 31
	v_mad_u64_u32 v[2:3], s[4:5], s6, v3, 0
	s_mul_i32 s4, s6, s8
	s_nop 0
	v_add3_u32 v3, v3, s4, v4
	v_lshrrev_b32_e32 v1, 3, v0
	v_lshl_add_u64 v[12:13], v[2:3], 3, s[2:3]
	v_lshlrev_b32_e32 v2, 3, v8
	v_add_u32_e32 v0, s35, v1
	v_lshl_or_b32 v1, v1, 6, v2
	v_add_u32_e32 v21, 0x800, v1
	v_ashrrev_i32_e32 v1, 31, v0
	v_cmp_gt_i32_e64 s[2:3], s33, v0
	v_lshl_add_u64 v[14:15], v[0:1], 3, s[10:11]
	v_mov_b32_e32 v0, 0x800
	v_lshlrev_b32_e32 v23, 3, v9
	v_lshl_add_u32 v25, v11, 6, v0
	v_mov_b32_e32 v17, 0
	s_mov_b64 s[4:5], 0
	v_mov_b32_e32 v20, 0
	v_mov_b32_e32 v18, 0
	;; [unrolled: 1-line block ×8, first 2 shown]
	s_branch .LBB535_8
.LBB535_7:                              ;   in Loop: Header=BB535_8 Depth=1
	s_or_b64 exec, exec, s[6:7]
	s_waitcnt vmcnt(0) lgkmcnt(0)
	ds_write_b64 v21, v[0:1]
	s_waitcnt lgkmcnt(0)
	s_barrier
	ds_read2_b64 v[34:37], v23 offset1:16
	ds_read_b128 v[38:41], v25
	ds_read_b128 v[42:45], v25 offset:16
	ds_read_b128 v[4:7], v25 offset:32
	;; [unrolled: 1-line block ×3, first 2 shown]
	s_add_u32 s4, s4, 8
	s_waitcnt lgkmcnt(3)
	v_mul_f32_e32 v16, v39, v35
	v_mul_f32_e32 v27, v38, v35
	v_fma_f32 v16, v38, v34, -v16
	v_fmac_f32_e32 v27, v39, v34
	v_add_f32_e32 v16, v30, v16
	v_add_f32_e32 v50, v32, v27
	ds_read_b128 v[30:33], v25 offset:1024
	v_mul_f32_e32 v27, v39, v37
	v_mul_f32_e32 v29, v38, v37
	v_fma_f32 v27, v38, v36, -v27
	v_fmac_f32_e32 v29, v39, v36
	v_add_f32_e32 v38, v26, v27
	v_add_f32_e32 v39, v28, v29
	ds_read_b128 v[26:29], v25 offset:1040
	s_waitcnt lgkmcnt(1)
	v_mul_f32_e32 v46, v31, v35
	v_fma_f32 v46, v30, v34, -v46
	v_add_f32_e32 v22, v22, v46
	ds_read2_b64 v[46:49], v23 offset0:32 offset1:48
	v_mul_f32_e32 v35, v30, v35
	v_fmac_f32_e32 v35, v31, v34
	v_mul_f32_e32 v34, v31, v37
	v_fma_f32 v34, v30, v36, -v34
	v_mul_f32_e32 v30, v30, v37
	v_fmac_f32_e32 v30, v31, v36
	v_add_f32_e32 v20, v20, v30
	s_waitcnt lgkmcnt(0)
	v_mul_f32_e32 v30, v41, v47
	v_mul_f32_e32 v31, v40, v47
	v_fma_f32 v30, v40, v46, -v30
	v_fmac_f32_e32 v31, v41, v46
	v_add_f32_e32 v18, v18, v34
	v_add_f32_e32 v16, v16, v30
	;; [unrolled: 1-line block ×3, first 2 shown]
	v_mul_f32_e32 v31, v41, v49
	v_mul_f32_e32 v34, v40, v49
	v_fma_f32 v31, v40, v48, -v31
	v_fmac_f32_e32 v34, v41, v48
	v_add_f32_e32 v31, v38, v31
	v_add_f32_e32 v38, v39, v34
	v_mul_f32_e32 v34, v33, v47
	v_add_f32_e32 v24, v24, v35
	v_fma_f32 v34, v32, v46, -v34
	v_mul_f32_e32 v35, v32, v47
	v_fmac_f32_e32 v35, v33, v46
	v_add_f32_e32 v22, v22, v34
	v_mul_f32_e32 v34, v33, v49
	v_add_f32_e32 v24, v24, v35
	v_fma_f32 v39, v32, v48, -v34
	ds_read2_b64 v[34:37], v23 offset0:64 offset1:80
	v_mul_f32_e32 v32, v32, v49
	v_fmac_f32_e32 v32, v33, v48
	v_add_f32_e32 v18, v18, v39
	v_add_f32_e32 v20, v20, v32
	s_waitcnt lgkmcnt(0)
	v_mul_f32_e32 v33, v42, v35
	v_fmac_f32_e32 v33, v43, v34
	v_add_f32_e32 v39, v30, v33
	v_mul_f32_e32 v30, v43, v37
	v_mul_f32_e32 v32, v43, v35
	v_fma_f32 v30, v42, v36, -v30
	v_fma_f32 v32, v42, v34, -v32
	v_add_f32_e32 v40, v31, v30
	v_mul_f32_e32 v30, v27, v35
	v_add_f32_e32 v16, v16, v32
	v_mul_f32_e32 v32, v42, v37
	v_fma_f32 v30, v26, v34, -v30
	v_mul_f32_e32 v31, v26, v35
	v_fmac_f32_e32 v32, v43, v36
	v_fmac_f32_e32 v31, v27, v34
	v_add_f32_e32 v22, v22, v30
	v_mul_f32_e32 v30, v27, v37
	v_add_f32_e32 v38, v38, v32
	v_add_f32_e32 v24, v24, v31
	v_fma_f32 v34, v26, v36, -v30
	ds_read2_b64 v[30:33], v23 offset0:96 offset1:112
	v_mul_f32_e32 v26, v26, v37
	v_fmac_f32_e32 v26, v27, v36
	v_add_f32_e32 v20, v20, v26
	v_add_f32_e32 v18, v18, v34
	s_waitcnt lgkmcnt(0)
	v_mul_f32_e32 v26, v45, v31
	v_mul_f32_e32 v27, v44, v31
	v_fma_f32 v26, v44, v30, -v26
	v_fmac_f32_e32 v27, v45, v30
	v_add_f32_e32 v16, v16, v26
	v_add_f32_e32 v26, v39, v27
	v_mul_f32_e32 v27, v45, v33
	v_mul_f32_e32 v34, v44, v33
	v_fma_f32 v27, v44, v32, -v27
	v_fmac_f32_e32 v34, v45, v32
	v_add_f32_e32 v39, v40, v27
	v_add_f32_e32 v38, v38, v34
	v_mul_f32_e32 v27, v29, v31
	ds_read2_b64 v[34:37], v23 offset0:128 offset1:144
	v_fma_f32 v27, v28, v30, -v27
	v_add_f32_e32 v22, v22, v27
	v_mul_f32_e32 v27, v29, v33
	v_mul_f32_e32 v31, v28, v31
	v_fma_f32 v27, v28, v32, -v27
	v_mul_f32_e32 v28, v28, v33
	v_fmac_f32_e32 v28, v29, v32
	v_add_f32_e32 v20, v20, v28
	s_waitcnt lgkmcnt(0)
	v_mul_f32_e32 v28, v4, v35
	v_add_f32_e32 v18, v18, v27
	v_mul_f32_e32 v27, v5, v35
	v_fmac_f32_e32 v28, v5, v34
	v_fma_f32 v27, v4, v34, -v27
	v_add_f32_e32 v42, v26, v28
	v_mul_f32_e32 v26, v5, v37
	v_fmac_f32_e32 v31, v29, v30
	v_add_f32_e32 v16, v16, v27
	v_fma_f32 v30, v4, v36, -v26
	ds_read_b128 v[26:29], v25 offset:1056
	v_mul_f32_e32 v4, v4, v37
	v_fmac_f32_e32 v4, v5, v36
	v_add_f32_e32 v5, v39, v30
	v_add_f32_e32 v4, v38, v4
	ds_read_b128 v[38:41], v25 offset:1072
	s_waitcnt lgkmcnt(1)
	v_mul_f32_e32 v30, v27, v35
	v_add_f32_e32 v24, v24, v31
	v_fma_f32 v30, v26, v34, -v30
	v_mul_f32_e32 v31, v26, v35
	v_fmac_f32_e32 v31, v27, v34
	v_add_f32_e32 v22, v22, v30
	v_mul_f32_e32 v30, v27, v37
	v_add_f32_e32 v24, v24, v31
	v_fma_f32 v34, v26, v36, -v30
	ds_read2_b64 v[30:33], v23 offset0:160 offset1:176
	v_mul_f32_e32 v26, v26, v37
	v_fmac_f32_e32 v26, v27, v36
	v_add_f32_e32 v20, v20, v26
	v_add_f32_e32 v18, v18, v34
	s_waitcnt lgkmcnt(0)
	v_mul_f32_e32 v26, v7, v31
	v_mul_f32_e32 v27, v6, v31
	v_fma_f32 v26, v6, v30, -v26
	v_fmac_f32_e32 v27, v7, v30
	v_add_f32_e32 v16, v16, v26
	v_add_f32_e32 v26, v42, v27
	v_mul_f32_e32 v27, v7, v33
	v_fma_f32 v27, v6, v32, -v27
	v_mul_f32_e32 v6, v6, v33
	v_fmac_f32_e32 v6, v7, v32
	v_add_f32_e32 v34, v4, v6
	v_mul_f32_e32 v4, v29, v31
	v_add_f32_e32 v27, v5, v27
	v_fma_f32 v4, v28, v30, -v4
	v_mul_f32_e32 v5, v28, v31
	v_fmac_f32_e32 v5, v29, v30
	v_add_f32_e32 v22, v22, v4
	v_mul_f32_e32 v4, v29, v33
	v_add_f32_e32 v24, v24, v5
	v_fma_f32 v30, v28, v32, -v4
	ds_read2_b64 v[4:7], v23 offset0:192 offset1:208
	v_mul_f32_e32 v28, v28, v33
	v_fmac_f32_e32 v28, v29, v32
	v_add_f32_e32 v20, v20, v28
	v_add_f32_e32 v18, v18, v30
	s_waitcnt lgkmcnt(0)
	v_mul_f32_e32 v28, v1, v5
	v_fma_f32 v28, v0, v4, -v28
	v_add_f32_e32 v16, v16, v28
	v_mul_f32_e32 v28, v1, v7
	v_mul_f32_e32 v29, v0, v5
	v_fma_f32 v28, v0, v6, -v28
	v_mul_f32_e32 v0, v0, v7
	v_fmac_f32_e32 v0, v1, v6
	v_add_f32_e32 v0, v34, v0
	ds_read2_b64 v[34:37], v23 offset0:224 offset1:240
	v_fmac_f32_e32 v29, v1, v4
	v_add_f32_e32 v1, v27, v28
	v_mul_f32_e32 v27, v39, v5
	v_fma_f32 v27, v38, v4, -v27
	v_mul_f32_e32 v5, v38, v5
	v_fmac_f32_e32 v5, v39, v4
	v_add_f32_e32 v4, v22, v27
	v_mul_f32_e32 v22, v39, v7
	v_fma_f32 v22, v38, v6, -v22
	v_mul_f32_e32 v7, v38, v7
	v_fmac_f32_e32 v7, v39, v6
	v_add_f32_e32 v6, v18, v22
	s_waitcnt lgkmcnt(0)
	v_mul_f32_e32 v18, v3, v35
	v_fma_f32 v18, v2, v34, -v18
	v_add_f32_e32 v30, v16, v18
	v_mul_f32_e32 v16, v3, v37
	v_add_f32_e32 v7, v20, v7
	v_mul_f32_e32 v20, v2, v35
	v_fma_f32 v16, v2, v36, -v16
	v_mul_f32_e32 v2, v2, v37
	v_add_f32_e32 v26, v26, v29
	v_fmac_f32_e32 v20, v3, v34
	v_fmac_f32_e32 v2, v3, v36
	v_add_f32_e32 v32, v26, v20
	v_add_f32_e32 v26, v1, v16
	v_add_f32_e32 v28, v0, v2
	v_mul_f32_e32 v0, v41, v35
	v_mul_f32_e32 v1, v40, v35
	v_add_f32_e32 v5, v24, v5
	v_fma_f32 v0, v40, v34, -v0
	v_fmac_f32_e32 v1, v41, v34
	v_add_f32_e32 v22, v4, v0
	v_add_f32_e32 v24, v5, v1
	v_mul_f32_e32 v0, v41, v37
	v_mul_f32_e32 v1, v40, v37
	v_fma_f32 v0, v40, v36, -v0
	v_fmac_f32_e32 v1, v41, v36
	s_addc_u32 s5, s5, 0
	v_add_f32_e32 v18, v6, v0
	v_add_f32_e32 v20, v7, v1
	v_mov_b64_e32 v[0:1], s[4:5]
	v_cmp_gt_i64_e32 vcc, s[26:27], v[0:1]
	s_barrier
	s_cbranch_vccz .LBB535_14
.LBB535_8:                              ; =>This Inner Loop Header: Depth=1
	v_mov_b32_e32 v0, 0
	v_mov_b32_e32 v1, 0
	s_and_saveexec_b64 s[6:7], s[0:1]
	s_cbranch_execz .LBB535_12
; %bb.9:                                ;   in Loop: Header=BB535_8 Depth=1
	v_add_u32_e32 v16, s4, v10
	v_cmp_gt_u64_e32 vcc, s[26:27], v[16:17]
	v_mov_b32_e32 v1, 0
	v_mov_b32_e32 v0, 0
	s_and_saveexec_b64 s[8:9], vcc
	s_cbranch_execz .LBB535_11
; %bb.10:                               ;   in Loop: Header=BB535_8 Depth=1
	v_lshl_add_u64 v[0:1], v[16:17], 3, v[12:13]
	flat_load_dwordx2 v[0:1], v[0:1]
.LBB535_11:                             ;   in Loop: Header=BB535_8 Depth=1
	s_or_b64 exec, exec, s[8:9]
.LBB535_12:                             ;   in Loop: Header=BB535_8 Depth=1
	s_or_b64 exec, exec, s[6:7]
	v_add_u32_e32 v16, s4, v8
	v_cmp_gt_u64_e32 vcc, s[26:27], v[16:17]
	s_waitcnt vmcnt(0) lgkmcnt(0)
	ds_write_b64 v19, v[0:1]
	s_and_b64 s[8:9], vcc, s[2:3]
	v_mov_b32_e32 v0, 0
	v_mov_b32_e32 v1, 0
	s_and_saveexec_b64 s[6:7], s[8:9]
	s_cbranch_execz .LBB535_7
; %bb.13:                               ;   in Loop: Header=BB535_8 Depth=1
	v_mad_u64_u32 v[0:1], s[8:9], s16, v16, 0
	v_mov_b32_e32 v2, v1
	v_mad_u64_u32 v[2:3], s[8:9], s17, v16, v[2:3]
	v_mov_b32_e32 v1, v2
	v_lshl_add_u64 v[0:1], v[0:1], 3, v[14:15]
	flat_load_dwordx2 v[0:1], v[0:1]
	s_branch .LBB535_7
.LBB535_14:
	s_lshl_b64 s[0:1], s[28:29], 3
	v_add_u32_e32 v10, s35, v11
	s_waitcnt lgkmcnt(0)
	s_add_u32 s6, s12, s0
	v_ashrrev_i32_e32 v1, 31, v10
	s_addc_u32 s7, s13, s1
	v_cmp_neq_f32_e64 s[0:1], s20, 0
	s_xor_b64 s[4:5], s[24:25], -1
	v_mul_lo_u32 v1, s14, v1
	v_mul_lo_u32 v4, s15, v10
	v_mad_u64_u32 v[2:3], s[2:3], s14, v10, 0
	v_add_u32_e32 v0, s34, v9
	v_add3_u32 v3, v3, v1, v4
	s_or_b64 s[0:1], s[0:1], s[4:5]
	v_lshl_add_u64 v[4:5], v[2:3], 3, s[6:7]
	v_cmp_le_i32_e32 vcc, v10, v0
	v_cmp_gt_i32_e64 s[2:3], s33, v0
	v_cndmask_b32_e64 v2, 0, 1, s[0:1]
	s_and_b64 s[8:9], vcc, s[2:3]
	v_ashrrev_i32_e32 v1, 31, v0
	v_cmp_ne_u32_e64 s[0:1], 1, v2
	s_and_saveexec_b64 s[4:5], s[8:9]
	s_cbranch_execz .LBB535_18
; %bb.15:
	v_pk_mul_f32 v[6:7], v[32:33], s[22:23] op_sel:[0,1] op_sel_hi:[0,0]
	v_pk_fma_f32 v[2:3], v[30:31], s[22:23], v[6:7] op_sel_hi:[0,1,1] neg_lo:[0,0,1] neg_hi:[0,0,1]
	v_pk_fma_f32 v[8:9], v[30:31], s[22:23], v[6:7] op_sel_hi:[0,1,1]
	s_and_b64 vcc, exec, s[0:1]
	v_lshl_add_u64 v[6:7], v[0:1], 3, v[4:5]
	s_cbranch_vccnz .LBB535_17
; %bb.16:
	flat_load_dwordx2 v[12:13], v[6:7]
	s_mov_b32 s8, s21
	v_mov_b32_e32 v3, v9
	s_waitcnt vmcnt(0) lgkmcnt(0)
	v_pk_mul_f32 v[8:9], v[12:13], s[8:9] op_sel:[1,0] op_sel_hi:[0,0]
	v_pk_fma_f32 v[14:15], v[12:13], s[20:21], v[8:9] neg_lo:[0,0,1] neg_hi:[0,0,1]
	v_pk_fma_f32 v[8:9], v[12:13], s[20:21], v[8:9] op_sel_hi:[1,0,1]
	s_nop 0
	v_mov_b32_e32 v15, v9
	v_pk_add_f32 v[2:3], v[2:3], v[14:15]
	s_nop 0
	v_mov_b32_e32 v9, v3
.LBB535_17:
	v_mov_b32_e32 v3, v9
	flat_store_dwordx2 v[6:7], v[2:3]
.LBB535_18:
	s_or_b64 exec, exec, s[4:5]
	v_add_u32_e32 v2, 16, v0
	v_cmp_le_i32_e32 vcc, v10, v2
	v_cmp_gt_i32_e64 s[4:5], s33, v2
	s_and_b64 s[10:11], vcc, s[4:5]
	v_ashrrev_i32_e32 v3, 31, v2
	s_and_saveexec_b64 s[8:9], s[10:11]
	s_cbranch_execz .LBB535_22
; %bb.19:
	v_pk_mul_f32 v[8:9], v[28:29], s[22:23] op_sel:[0,1] op_sel_hi:[0,0]
	v_pk_fma_f32 v[6:7], v[26:27], s[22:23], v[8:9] op_sel_hi:[0,1,1] neg_lo:[0,0,1] neg_hi:[0,0,1]
	v_pk_fma_f32 v[8:9], v[26:27], s[22:23], v[8:9] op_sel_hi:[0,1,1]
	s_and_b64 vcc, exec, s[0:1]
	v_lshl_add_u64 v[4:5], v[2:3], 3, v[4:5]
	s_cbranch_vccnz .LBB535_21
; %bb.20:
	flat_load_dwordx2 v[12:13], v[4:5]
	s_mov_b32 s10, s21
	v_mov_b32_e32 v7, v9
	s_waitcnt vmcnt(0) lgkmcnt(0)
	v_pk_mul_f32 v[8:9], v[12:13], s[10:11] op_sel:[1,0] op_sel_hi:[0,0]
	v_pk_fma_f32 v[14:15], v[12:13], s[20:21], v[8:9] neg_lo:[0,0,1] neg_hi:[0,0,1]
	v_pk_fma_f32 v[8:9], v[12:13], s[20:21], v[8:9] op_sel_hi:[1,0,1]
	s_nop 0
	v_mov_b32_e32 v15, v9
	v_pk_add_f32 v[6:7], v[6:7], v[14:15]
	s_nop 0
	v_mov_b32_e32 v9, v7
.LBB535_21:
	v_mov_b32_e32 v7, v9
	flat_store_dwordx2 v[4:5], v[6:7]
.LBB535_22:
	s_or_b64 exec, exec, s[8:9]
	v_add_u32_e32 v10, 16, v10
	v_ashrrev_i32_e32 v4, 31, v10
	v_mul_lo_u32 v6, s14, v4
	v_mul_lo_u32 v7, s15, v10
	v_mad_u64_u32 v[4:5], s[8:9], s14, v10, 0
	v_add3_u32 v5, v5, v6, v7
	v_cmp_le_i32_e32 vcc, v10, v0
	v_lshl_add_u64 v[4:5], v[4:5], 3, s[6:7]
	s_and_b64 s[6:7], vcc, s[2:3]
	s_and_saveexec_b64 s[2:3], s[6:7]
	s_cbranch_execz .LBB535_26
; %bb.23:
	v_pk_mul_f32 v[8:9], v[24:25], s[22:23] op_sel:[0,1] op_sel_hi:[0,0]
	v_pk_fma_f32 v[6:7], v[22:23], s[22:23], v[8:9] op_sel_hi:[0,1,1] neg_lo:[0,0,1] neg_hi:[0,0,1]
	v_pk_fma_f32 v[8:9], v[22:23], s[22:23], v[8:9] op_sel_hi:[0,1,1]
	s_and_b64 vcc, exec, s[0:1]
	v_lshl_add_u64 v[0:1], v[0:1], 3, v[4:5]
	s_cbranch_vccnz .LBB535_25
; %bb.24:
	flat_load_dwordx2 v[12:13], v[0:1]
	s_mov_b32 s6, s21
	v_mov_b32_e32 v7, v9
	s_waitcnt vmcnt(0) lgkmcnt(0)
	v_pk_mul_f32 v[8:9], v[12:13], s[6:7] op_sel:[1,0] op_sel_hi:[0,0]
	v_pk_fma_f32 v[14:15], v[12:13], s[20:21], v[8:9] neg_lo:[0,0,1] neg_hi:[0,0,1]
	v_pk_fma_f32 v[8:9], v[12:13], s[20:21], v[8:9] op_sel_hi:[1,0,1]
	s_nop 0
	v_mov_b32_e32 v15, v9
	v_pk_add_f32 v[6:7], v[6:7], v[14:15]
	s_nop 0
	v_mov_b32_e32 v9, v7
.LBB535_25:
	v_mov_b32_e32 v7, v9
	flat_store_dwordx2 v[0:1], v[6:7]
.LBB535_26:
	s_or_b64 exec, exec, s[2:3]
	v_cmp_le_i32_e32 vcc, v10, v2
	s_and_b64 s[2:3], vcc, s[4:5]
	s_and_saveexec_b64 s[4:5], s[2:3]
	s_cbranch_execz .LBB535_30
; %bb.27:
	v_pk_mul_f32 v[6:7], v[20:21], s[22:23] op_sel:[0,1] op_sel_hi:[0,0]
	v_pk_fma_f32 v[0:1], v[18:19], s[22:23], v[6:7] op_sel_hi:[0,1,1] neg_lo:[0,0,1] neg_hi:[0,0,1]
	v_pk_fma_f32 v[6:7], v[18:19], s[22:23], v[6:7] op_sel_hi:[0,1,1]
	s_and_b64 vcc, exec, s[0:1]
	v_lshl_add_u64 v[2:3], v[2:3], 3, v[4:5]
	s_cbranch_vccnz .LBB535_29
; %bb.28:
	flat_load_dwordx2 v[4:5], v[2:3]
	s_mov_b32 s0, s21
	v_mov_b32_e32 v1, v7
	s_waitcnt vmcnt(0) lgkmcnt(0)
	v_pk_mul_f32 v[6:7], v[4:5], s[0:1] op_sel:[1,0] op_sel_hi:[0,0]
	v_pk_fma_f32 v[8:9], v[4:5], s[20:21], v[6:7] neg_lo:[0,0,1] neg_hi:[0,0,1]
	v_pk_fma_f32 v[4:5], v[4:5], s[20:21], v[6:7] op_sel_hi:[1,0,1]
	s_nop 0
	v_mov_b32_e32 v9, v5
	v_pk_add_f32 v[0:1], v[0:1], v[8:9]
	s_nop 0
	v_mov_b32_e32 v7, v1
.LBB535_29:
	v_mov_b32_e32 v1, v7
	flat_store_dwordx2 v[2:3], v[0:1]
.LBB535_30:
	s_endpgm
	.section	.rodata,"a",@progbits
	.p2align	6, 0x0
	.amdhsa_kernel _ZL29rocblas_internal_gemmt_kernelIlLi16ELi32ELi8ELc84ELc84ELc76ELb0ELb0E19rocblas_complex_numIfES1_PKPKS1_PKPS1_EviT_T9_T10_S9_lSB_S9_lSA_T11_S9_li
		.amdhsa_group_segment_fixed_size 4096
		.amdhsa_private_segment_fixed_size 0
		.amdhsa_kernarg_size 108
		.amdhsa_user_sgpr_count 2
		.amdhsa_user_sgpr_dispatch_ptr 0
		.amdhsa_user_sgpr_queue_ptr 0
		.amdhsa_user_sgpr_kernarg_segment_ptr 1
		.amdhsa_user_sgpr_dispatch_id 0
		.amdhsa_user_sgpr_kernarg_preload_length 0
		.amdhsa_user_sgpr_kernarg_preload_offset 0
		.amdhsa_user_sgpr_private_segment_size 0
		.amdhsa_uses_dynamic_stack 0
		.amdhsa_enable_private_segment 0
		.amdhsa_system_sgpr_workgroup_id_x 1
		.amdhsa_system_sgpr_workgroup_id_y 1
		.amdhsa_system_sgpr_workgroup_id_z 1
		.amdhsa_system_sgpr_workgroup_info 0
		.amdhsa_system_vgpr_workitem_id 1
		.amdhsa_next_free_vgpr 51
		.amdhsa_next_free_sgpr 36
		.amdhsa_accum_offset 52
		.amdhsa_reserve_vcc 1
		.amdhsa_float_round_mode_32 0
		.amdhsa_float_round_mode_16_64 0
		.amdhsa_float_denorm_mode_32 3
		.amdhsa_float_denorm_mode_16_64 3
		.amdhsa_dx10_clamp 1
		.amdhsa_ieee_mode 1
		.amdhsa_fp16_overflow 0
		.amdhsa_tg_split 0
		.amdhsa_exception_fp_ieee_invalid_op 0
		.amdhsa_exception_fp_denorm_src 0
		.amdhsa_exception_fp_ieee_div_zero 0
		.amdhsa_exception_fp_ieee_overflow 0
		.amdhsa_exception_fp_ieee_underflow 0
		.amdhsa_exception_fp_ieee_inexact 0
		.amdhsa_exception_int_div_zero 0
	.end_amdhsa_kernel
	.section	.text._ZL29rocblas_internal_gemmt_kernelIlLi16ELi32ELi8ELc84ELc84ELc76ELb0ELb0E19rocblas_complex_numIfES1_PKPKS1_PKPS1_EviT_T9_T10_S9_lSB_S9_lSA_T11_S9_li,"axG",@progbits,_ZL29rocblas_internal_gemmt_kernelIlLi16ELi32ELi8ELc84ELc84ELc76ELb0ELb0E19rocblas_complex_numIfES1_PKPKS1_PKPS1_EviT_T9_T10_S9_lSB_S9_lSA_T11_S9_li,comdat
.Lfunc_end535:
	.size	_ZL29rocblas_internal_gemmt_kernelIlLi16ELi32ELi8ELc84ELc84ELc76ELb0ELb0E19rocblas_complex_numIfES1_PKPKS1_PKPS1_EviT_T9_T10_S9_lSB_S9_lSA_T11_S9_li, .Lfunc_end535-_ZL29rocblas_internal_gemmt_kernelIlLi16ELi32ELi8ELc84ELc84ELc76ELb0ELb0E19rocblas_complex_numIfES1_PKPKS1_PKPS1_EviT_T9_T10_S9_lSB_S9_lSA_T11_S9_li
                                        ; -- End function
	.set _ZL29rocblas_internal_gemmt_kernelIlLi16ELi32ELi8ELc84ELc84ELc76ELb0ELb0E19rocblas_complex_numIfES1_PKPKS1_PKPS1_EviT_T9_T10_S9_lSB_S9_lSA_T11_S9_li.num_vgpr, 51
	.set _ZL29rocblas_internal_gemmt_kernelIlLi16ELi32ELi8ELc84ELc84ELc76ELb0ELb0E19rocblas_complex_numIfES1_PKPKS1_PKPS1_EviT_T9_T10_S9_lSB_S9_lSA_T11_S9_li.num_agpr, 0
	.set _ZL29rocblas_internal_gemmt_kernelIlLi16ELi32ELi8ELc84ELc84ELc76ELb0ELb0E19rocblas_complex_numIfES1_PKPKS1_PKPS1_EviT_T9_T10_S9_lSB_S9_lSA_T11_S9_li.numbered_sgpr, 36
	.set _ZL29rocblas_internal_gemmt_kernelIlLi16ELi32ELi8ELc84ELc84ELc76ELb0ELb0E19rocblas_complex_numIfES1_PKPKS1_PKPS1_EviT_T9_T10_S9_lSB_S9_lSA_T11_S9_li.num_named_barrier, 0
	.set _ZL29rocblas_internal_gemmt_kernelIlLi16ELi32ELi8ELc84ELc84ELc76ELb0ELb0E19rocblas_complex_numIfES1_PKPKS1_PKPS1_EviT_T9_T10_S9_lSB_S9_lSA_T11_S9_li.private_seg_size, 0
	.set _ZL29rocblas_internal_gemmt_kernelIlLi16ELi32ELi8ELc84ELc84ELc76ELb0ELb0E19rocblas_complex_numIfES1_PKPKS1_PKPS1_EviT_T9_T10_S9_lSB_S9_lSA_T11_S9_li.uses_vcc, 1
	.set _ZL29rocblas_internal_gemmt_kernelIlLi16ELi32ELi8ELc84ELc84ELc76ELb0ELb0E19rocblas_complex_numIfES1_PKPKS1_PKPS1_EviT_T9_T10_S9_lSB_S9_lSA_T11_S9_li.uses_flat_scratch, 0
	.set _ZL29rocblas_internal_gemmt_kernelIlLi16ELi32ELi8ELc84ELc84ELc76ELb0ELb0E19rocblas_complex_numIfES1_PKPKS1_PKPS1_EviT_T9_T10_S9_lSB_S9_lSA_T11_S9_li.has_dyn_sized_stack, 0
	.set _ZL29rocblas_internal_gemmt_kernelIlLi16ELi32ELi8ELc84ELc84ELc76ELb0ELb0E19rocblas_complex_numIfES1_PKPKS1_PKPS1_EviT_T9_T10_S9_lSB_S9_lSA_T11_S9_li.has_recursion, 0
	.set _ZL29rocblas_internal_gemmt_kernelIlLi16ELi32ELi8ELc84ELc84ELc76ELb0ELb0E19rocblas_complex_numIfES1_PKPKS1_PKPS1_EviT_T9_T10_S9_lSB_S9_lSA_T11_S9_li.has_indirect_call, 0
	.section	.AMDGPU.csdata,"",@progbits
; Kernel info:
; codeLenInByte = 2560
; TotalNumSgprs: 42
; NumVgprs: 51
; NumAgprs: 0
; TotalNumVgprs: 51
; ScratchSize: 0
; MemoryBound: 0
; FloatMode: 240
; IeeeMode: 1
; LDSByteSize: 4096 bytes/workgroup (compile time only)
; SGPRBlocks: 5
; VGPRBlocks: 6
; NumSGPRsForWavesPerEU: 42
; NumVGPRsForWavesPerEU: 51
; AccumOffset: 52
; Occupancy: 8
; WaveLimiterHint : 1
; COMPUTE_PGM_RSRC2:SCRATCH_EN: 0
; COMPUTE_PGM_RSRC2:USER_SGPR: 2
; COMPUTE_PGM_RSRC2:TRAP_HANDLER: 0
; COMPUTE_PGM_RSRC2:TGID_X_EN: 1
; COMPUTE_PGM_RSRC2:TGID_Y_EN: 1
; COMPUTE_PGM_RSRC2:TGID_Z_EN: 1
; COMPUTE_PGM_RSRC2:TIDIG_COMP_CNT: 1
; COMPUTE_PGM_RSRC3_GFX90A:ACCUM_OFFSET: 12
; COMPUTE_PGM_RSRC3_GFX90A:TG_SPLIT: 0
	.section	.text._ZL29rocblas_internal_gemmt_kernelIlLi16ELi32ELi8ELc84ELc67ELc76ELb0ELb1E19rocblas_complex_numIfES1_PKPKS1_PKPS1_EviT_T9_T10_S9_lSB_S9_lSA_T11_S9_li,"axG",@progbits,_ZL29rocblas_internal_gemmt_kernelIlLi16ELi32ELi8ELc84ELc67ELc76ELb0ELb1E19rocblas_complex_numIfES1_PKPKS1_PKPS1_EviT_T9_T10_S9_lSB_S9_lSA_T11_S9_li,comdat
	.globl	_ZL29rocblas_internal_gemmt_kernelIlLi16ELi32ELi8ELc84ELc67ELc76ELb0ELb1E19rocblas_complex_numIfES1_PKPKS1_PKPS1_EviT_T9_T10_S9_lSB_S9_lSA_T11_S9_li ; -- Begin function _ZL29rocblas_internal_gemmt_kernelIlLi16ELi32ELi8ELc84ELc67ELc76ELb0ELb1E19rocblas_complex_numIfES1_PKPKS1_PKPS1_EviT_T9_T10_S9_lSB_S9_lSA_T11_S9_li
	.p2align	8
	.type	_ZL29rocblas_internal_gemmt_kernelIlLi16ELi32ELi8ELc84ELc67ELc76ELb0ELb1E19rocblas_complex_numIfES1_PKPKS1_PKPS1_EviT_T9_T10_S9_lSB_S9_lSA_T11_S9_li,@function
_ZL29rocblas_internal_gemmt_kernelIlLi16ELi32ELi8ELc84ELc67ELc76ELb0ELb1E19rocblas_complex_numIfES1_PKPKS1_PKPS1_EviT_T9_T10_S9_lSB_S9_lSA_T11_S9_li: ; @_ZL29rocblas_internal_gemmt_kernelIlLi16ELi32ELi8ELc84ELc67ELc76ELb0ELb1E19rocblas_complex_numIfES1_PKPKS1_PKPS1_EviT_T9_T10_S9_lSB_S9_lSA_T11_S9_li
; %bb.0:
	s_load_dwordx2 s[20:21], s[0:1], 0x48
	s_load_dwordx2 s[22:23], s[0:1], 0x10
	s_waitcnt lgkmcnt(0)
	s_and_b32 s5, s21, 0x7fffffff
	s_cmp_eq_u32 s5, 0
	v_cmp_eq_f32_e64 s[6:7], s20, 1.0
	s_cselect_b64 s[24:25], -1, 0
	s_and_b64 s[6:7], s[6:7], s[24:25]
	s_and_b64 vcc, exec, s[6:7]
	s_cbranch_vccnz .LBB536_2
; %bb.1:
	s_mov_b64 s[6:7], -1
	s_load_dwordx2 s[26:27], s[0:1], 0x8
	s_cbranch_execz .LBB536_3
	s_branch .LBB536_4
.LBB536_2:
	s_mov_b64 s[6:7], 0
	s_load_dwordx2 s[26:27], s[0:1], 0x8
.LBB536_3:
	s_waitcnt lgkmcnt(0)
	s_cmp_lg_u64 s[26:27], 0
	v_cmp_neq_f32_e64 s[8:9], s22, 0
	v_cmp_neq_f32_e64 s[10:11], s23, 0
	s_cselect_b64 s[6:7], -1, 0
	s_or_b64 s[8:9], s[8:9], s[10:11]
	s_and_b64 s[6:7], s[6:7], s[8:9]
.LBB536_4:
	s_andn2_b64 vcc, exec, s[6:7]
	s_cbranch_vccnz .LBB536_32
; %bb.5:
	s_load_dwordx2 s[28:29], s[0:1], 0x60
	s_load_dword s33, s[0:1], 0x0
	s_load_dwordx4 s[12:15], s[0:1], 0x50
	s_mov_b32 s5, 0
	s_lshl_b64 s[30:31], s[4:5], 3
	v_and_b32_e32 v9, 0x3ff, v0
	v_bfe_u32 v11, v0, 10, 10
	s_waitcnt lgkmcnt(0)
	s_add_u32 s4, s12, s30
	s_addc_u32 s5, s13, s31
	s_load_dwordx2 s[12:13], s[4:5], 0x0
	s_lshl_b32 s34, s2, 5
	s_lshl_b32 s35, s3, 5
	v_cmp_eq_f32_e64 s[2:3], s22, 0
	v_cmp_eq_f32_e64 s[4:5], s23, 0
	s_and_b64 s[2:3], s[2:3], s[4:5]
	v_cmp_lt_i64_e64 s[4:5], s[26:27], 1
	s_or_b64 s[2:3], s[2:3], s[4:5]
	v_mov_b32_e32 v30, 0
	s_and_b64 vcc, exec, s[2:3]
	v_mov_b32_e32 v32, 0
	v_mov_b32_e32 v26, 0
	;; [unrolled: 1-line block ×7, first 2 shown]
	s_cbranch_vccnz .LBB536_16
; %bb.6:
	s_load_dwordx8 s[4:11], s[0:1], 0x18
	s_load_dwordx4 s[16:19], s[0:1], 0x38
	v_lshl_add_u32 v0, v11, 4, v9
	v_and_b32_e32 v2, 31, v0
	v_lshrrev_b32_e32 v10, 5, v0
	s_waitcnt lgkmcnt(0)
	s_add_u32 s0, s10, s30
	s_addc_u32 s1, s11, s31
	s_load_dwordx2 s[0:1], s[0:1], 0x0
	s_lshl_b64 s[2:3], s[18:19], 3
	v_or_b32_e32 v3, s34, v2
	v_lshlrev_b32_e32 v2, 3, v2
	v_lshl_or_b32 v19, v10, 8, v2
	s_waitcnt lgkmcnt(0)
	s_add_u32 s2, s0, s2
	s_addc_u32 s3, s1, s3
	s_add_u32 s0, s4, s30
	s_addc_u32 s1, s5, s31
	s_load_dwordx2 s[4:5], s[0:1], 0x0
	s_lshl_b64 s[8:9], s[8:9], 3
	v_cmp_gt_i32_e64 s[0:1], s33, v3
	v_mul_lo_u32 v4, s7, v3
	v_and_b32_e32 v8, 7, v9
	s_waitcnt lgkmcnt(0)
	s_add_u32 s4, s4, s8
	s_addc_u32 s5, s5, s9
	s_ashr_i32 s10, s34, 31
	v_mad_u64_u32 v[2:3], s[8:9], s6, v3, 0
	s_mul_i32 s6, s6, s10
	v_add3_u32 v3, v3, s6, v4
	v_lshrrev_b32_e32 v1, 3, v0
	v_lshl_add_u64 v[12:13], v[2:3], 3, s[4:5]
	v_lshlrev_b32_e32 v2, 3, v8
	v_add_u32_e32 v0, s35, v1
	v_lshl_or_b32 v1, v1, 6, v2
	v_add_u32_e32 v21, 0x800, v1
	v_ashrrev_i32_e32 v1, 31, v0
	v_cmp_gt_i32_e32 vcc, s33, v0
	v_lshl_add_u64 v[14:15], v[0:1], 3, s[2:3]
	v_mov_b32_e32 v0, 0x800
	v_lshlrev_b32_e32 v23, 3, v9
	v_lshl_add_u32 v25, v11, 6, v0
	v_mov_b32_e32 v17, 0
	s_mov_b64 s[2:3], 0
	s_xor_b64 s[4:5], vcc, -1
	v_mov_b32_e32 v20, 0
	v_mov_b32_e32 v18, 0
	;; [unrolled: 1-line block ×8, first 2 shown]
	s_branch .LBB536_8
.LBB536_7:                              ;   in Loop: Header=BB536_8 Depth=1
	s_or_b64 exec, exec, s[6:7]
	ds_write_b32 v21, v0 offset:4
	s_waitcnt lgkmcnt(0)
	s_barrier
	ds_read2_b64 v[34:37], v23 offset1:16
	ds_read_b128 v[38:41], v25
	ds_read_b128 v[42:45], v25 offset:16
	ds_read_b128 v[4:7], v25 offset:32
	;; [unrolled: 1-line block ×3, first 2 shown]
	s_add_u32 s2, s2, 8
	s_waitcnt lgkmcnt(3)
	v_mul_f32_e32 v16, v39, v35
	v_mul_f32_e32 v27, v38, v35
	v_fma_f32 v16, v38, v34, -v16
	v_fmac_f32_e32 v27, v39, v34
	v_add_f32_e32 v16, v30, v16
	v_add_f32_e32 v50, v32, v27
	ds_read_b128 v[30:33], v25 offset:1024
	v_mul_f32_e32 v27, v39, v37
	v_mul_f32_e32 v29, v38, v37
	v_fma_f32 v27, v38, v36, -v27
	v_fmac_f32_e32 v29, v39, v36
	v_add_f32_e32 v38, v26, v27
	v_add_f32_e32 v39, v28, v29
	ds_read_b128 v[26:29], v25 offset:1040
	s_waitcnt lgkmcnt(1)
	v_mul_f32_e32 v46, v31, v35
	v_fma_f32 v46, v30, v34, -v46
	v_add_f32_e32 v22, v22, v46
	ds_read2_b64 v[46:49], v23 offset0:32 offset1:48
	v_mul_f32_e32 v35, v30, v35
	v_fmac_f32_e32 v35, v31, v34
	v_mul_f32_e32 v34, v31, v37
	v_fma_f32 v34, v30, v36, -v34
	v_mul_f32_e32 v30, v30, v37
	v_fmac_f32_e32 v30, v31, v36
	v_add_f32_e32 v20, v20, v30
	s_waitcnt lgkmcnt(0)
	v_mul_f32_e32 v30, v41, v47
	v_mul_f32_e32 v31, v40, v47
	v_fma_f32 v30, v40, v46, -v30
	v_fmac_f32_e32 v31, v41, v46
	v_add_f32_e32 v18, v18, v34
	v_add_f32_e32 v16, v16, v30
	;; [unrolled: 1-line block ×3, first 2 shown]
	v_mul_f32_e32 v31, v41, v49
	v_mul_f32_e32 v34, v40, v49
	v_fma_f32 v31, v40, v48, -v31
	v_fmac_f32_e32 v34, v41, v48
	v_add_f32_e32 v31, v38, v31
	v_add_f32_e32 v38, v39, v34
	v_mul_f32_e32 v34, v33, v47
	v_add_f32_e32 v24, v24, v35
	v_fma_f32 v34, v32, v46, -v34
	v_mul_f32_e32 v35, v32, v47
	v_fmac_f32_e32 v35, v33, v46
	v_add_f32_e32 v22, v22, v34
	v_mul_f32_e32 v34, v33, v49
	v_add_f32_e32 v24, v24, v35
	v_fma_f32 v39, v32, v48, -v34
	ds_read2_b64 v[34:37], v23 offset0:64 offset1:80
	v_mul_f32_e32 v32, v32, v49
	v_fmac_f32_e32 v32, v33, v48
	v_add_f32_e32 v18, v18, v39
	v_add_f32_e32 v20, v20, v32
	s_waitcnt lgkmcnt(0)
	v_mul_f32_e32 v33, v42, v35
	v_fmac_f32_e32 v33, v43, v34
	v_add_f32_e32 v39, v30, v33
	v_mul_f32_e32 v30, v43, v37
	v_mul_f32_e32 v32, v43, v35
	v_fma_f32 v30, v42, v36, -v30
	v_fma_f32 v32, v42, v34, -v32
	v_add_f32_e32 v40, v31, v30
	v_mul_f32_e32 v30, v27, v35
	v_add_f32_e32 v16, v16, v32
	v_mul_f32_e32 v32, v42, v37
	v_fma_f32 v30, v26, v34, -v30
	v_mul_f32_e32 v31, v26, v35
	v_fmac_f32_e32 v32, v43, v36
	v_fmac_f32_e32 v31, v27, v34
	v_add_f32_e32 v22, v22, v30
	v_mul_f32_e32 v30, v27, v37
	v_add_f32_e32 v38, v38, v32
	v_add_f32_e32 v24, v24, v31
	v_fma_f32 v34, v26, v36, -v30
	ds_read2_b64 v[30:33], v23 offset0:96 offset1:112
	v_mul_f32_e32 v26, v26, v37
	v_fmac_f32_e32 v26, v27, v36
	v_add_f32_e32 v20, v20, v26
	v_add_f32_e32 v18, v18, v34
	s_waitcnt lgkmcnt(0)
	v_mul_f32_e32 v26, v45, v31
	v_mul_f32_e32 v27, v44, v31
	v_fma_f32 v26, v44, v30, -v26
	v_fmac_f32_e32 v27, v45, v30
	v_add_f32_e32 v16, v16, v26
	v_add_f32_e32 v26, v39, v27
	v_mul_f32_e32 v27, v45, v33
	v_mul_f32_e32 v34, v44, v33
	v_fma_f32 v27, v44, v32, -v27
	v_fmac_f32_e32 v34, v45, v32
	v_add_f32_e32 v39, v40, v27
	v_add_f32_e32 v38, v38, v34
	v_mul_f32_e32 v27, v29, v31
	ds_read2_b64 v[34:37], v23 offset0:128 offset1:144
	v_fma_f32 v27, v28, v30, -v27
	v_add_f32_e32 v22, v22, v27
	v_mul_f32_e32 v27, v29, v33
	v_mul_f32_e32 v31, v28, v31
	v_fma_f32 v27, v28, v32, -v27
	v_mul_f32_e32 v28, v28, v33
	v_fmac_f32_e32 v28, v29, v32
	v_add_f32_e32 v20, v20, v28
	s_waitcnt lgkmcnt(0)
	v_mul_f32_e32 v28, v4, v35
	v_add_f32_e32 v18, v18, v27
	v_mul_f32_e32 v27, v5, v35
	v_fmac_f32_e32 v28, v5, v34
	v_fma_f32 v27, v4, v34, -v27
	v_add_f32_e32 v42, v26, v28
	v_mul_f32_e32 v26, v5, v37
	v_fmac_f32_e32 v31, v29, v30
	v_add_f32_e32 v16, v16, v27
	v_fma_f32 v30, v4, v36, -v26
	ds_read_b128 v[26:29], v25 offset:1056
	v_mul_f32_e32 v4, v4, v37
	v_fmac_f32_e32 v4, v5, v36
	v_add_f32_e32 v5, v39, v30
	v_add_f32_e32 v4, v38, v4
	ds_read_b128 v[38:41], v25 offset:1072
	s_waitcnt lgkmcnt(1)
	v_mul_f32_e32 v30, v27, v35
	v_add_f32_e32 v24, v24, v31
	v_fma_f32 v30, v26, v34, -v30
	v_mul_f32_e32 v31, v26, v35
	v_fmac_f32_e32 v31, v27, v34
	v_add_f32_e32 v22, v22, v30
	v_mul_f32_e32 v30, v27, v37
	v_add_f32_e32 v24, v24, v31
	v_fma_f32 v34, v26, v36, -v30
	ds_read2_b64 v[30:33], v23 offset0:160 offset1:176
	v_mul_f32_e32 v26, v26, v37
	v_fmac_f32_e32 v26, v27, v36
	v_add_f32_e32 v20, v20, v26
	v_add_f32_e32 v18, v18, v34
	s_waitcnt lgkmcnt(0)
	v_mul_f32_e32 v26, v7, v31
	v_mul_f32_e32 v27, v6, v31
	v_fma_f32 v26, v6, v30, -v26
	v_fmac_f32_e32 v27, v7, v30
	v_add_f32_e32 v16, v16, v26
	v_add_f32_e32 v26, v42, v27
	v_mul_f32_e32 v27, v7, v33
	v_fma_f32 v27, v6, v32, -v27
	v_mul_f32_e32 v6, v6, v33
	v_fmac_f32_e32 v6, v7, v32
	v_add_f32_e32 v34, v4, v6
	v_mul_f32_e32 v4, v29, v31
	v_add_f32_e32 v27, v5, v27
	v_fma_f32 v4, v28, v30, -v4
	v_mul_f32_e32 v5, v28, v31
	v_fmac_f32_e32 v5, v29, v30
	v_add_f32_e32 v22, v22, v4
	v_mul_f32_e32 v4, v29, v33
	v_add_f32_e32 v24, v24, v5
	v_fma_f32 v30, v28, v32, -v4
	ds_read2_b64 v[4:7], v23 offset0:192 offset1:208
	v_mul_f32_e32 v28, v28, v33
	v_fmac_f32_e32 v28, v29, v32
	v_add_f32_e32 v20, v20, v28
	v_add_f32_e32 v18, v18, v30
	s_waitcnt lgkmcnt(0)
	v_mul_f32_e32 v28, v1, v5
	v_fma_f32 v28, v0, v4, -v28
	v_add_f32_e32 v16, v16, v28
	v_mul_f32_e32 v28, v1, v7
	v_mul_f32_e32 v29, v0, v5
	v_fma_f32 v28, v0, v6, -v28
	v_mul_f32_e32 v0, v0, v7
	v_fmac_f32_e32 v0, v1, v6
	v_add_f32_e32 v0, v34, v0
	ds_read2_b64 v[34:37], v23 offset0:224 offset1:240
	v_fmac_f32_e32 v29, v1, v4
	v_add_f32_e32 v1, v27, v28
	v_mul_f32_e32 v27, v39, v5
	v_fma_f32 v27, v38, v4, -v27
	v_mul_f32_e32 v5, v38, v5
	v_fmac_f32_e32 v5, v39, v4
	v_add_f32_e32 v4, v22, v27
	v_mul_f32_e32 v22, v39, v7
	v_fma_f32 v22, v38, v6, -v22
	v_mul_f32_e32 v7, v38, v7
	v_fmac_f32_e32 v7, v39, v6
	v_add_f32_e32 v6, v18, v22
	s_waitcnt lgkmcnt(0)
	v_mul_f32_e32 v18, v3, v35
	v_fma_f32 v18, v2, v34, -v18
	v_add_f32_e32 v30, v16, v18
	v_mul_f32_e32 v16, v3, v37
	v_add_f32_e32 v7, v20, v7
	v_mul_f32_e32 v20, v2, v35
	v_fma_f32 v16, v2, v36, -v16
	v_mul_f32_e32 v2, v2, v37
	v_add_f32_e32 v26, v26, v29
	v_fmac_f32_e32 v20, v3, v34
	v_fmac_f32_e32 v2, v3, v36
	v_add_f32_e32 v32, v26, v20
	v_add_f32_e32 v26, v1, v16
	;; [unrolled: 1-line block ×3, first 2 shown]
	v_mul_f32_e32 v0, v41, v35
	v_mul_f32_e32 v1, v40, v35
	v_add_f32_e32 v5, v24, v5
	v_fma_f32 v0, v40, v34, -v0
	v_fmac_f32_e32 v1, v41, v34
	v_add_f32_e32 v22, v4, v0
	v_add_f32_e32 v24, v5, v1
	v_mul_f32_e32 v0, v41, v37
	v_mul_f32_e32 v1, v40, v37
	v_fma_f32 v0, v40, v36, -v0
	v_fmac_f32_e32 v1, v41, v36
	s_addc_u32 s3, s3, 0
	v_add_f32_e32 v18, v6, v0
	v_add_f32_e32 v20, v7, v1
	v_mov_b64_e32 v[0:1], s[2:3]
	v_cmp_gt_i64_e32 vcc, s[26:27], v[0:1]
	s_barrier
	s_cbranch_vccz .LBB536_16
.LBB536_8:                              ; =>This Inner Loop Header: Depth=1
	v_mov_b32_e32 v0, 0
	v_mov_b32_e32 v1, 0
	s_and_saveexec_b64 s[6:7], s[0:1]
	s_cbranch_execz .LBB536_12
; %bb.9:                                ;   in Loop: Header=BB536_8 Depth=1
	v_add_u32_e32 v16, s2, v10
	v_cmp_gt_u64_e32 vcc, s[26:27], v[16:17]
	v_mov_b32_e32 v1, 0
	v_mov_b32_e32 v0, 0
	s_and_saveexec_b64 s[8:9], vcc
	s_cbranch_execz .LBB536_11
; %bb.10:                               ;   in Loop: Header=BB536_8 Depth=1
	v_lshl_add_u64 v[0:1], v[16:17], 3, v[12:13]
	flat_load_dwordx2 v[0:1], v[0:1]
.LBB536_11:                             ;   in Loop: Header=BB536_8 Depth=1
	s_or_b64 exec, exec, s[8:9]
.LBB536_12:                             ;   in Loop: Header=BB536_8 Depth=1
	s_or_b64 exec, exec, s[6:7]
	v_add_u32_e32 v16, s2, v8
	v_cmp_le_u64_e32 vcc, s[26:27], v[16:17]
	s_or_b64 s[6:7], vcc, s[4:5]
	s_waitcnt vmcnt(0) lgkmcnt(0)
	ds_write_b64 v19, v[0:1]
	s_and_saveexec_b64 s[8:9], s[6:7]
	s_xor_b64 s[6:7], exec, s[8:9]
; %bb.13:                               ;   in Loop: Header=BB536_8 Depth=1
	ds_write_b32 v21, v17
; %bb.14:                               ;   in Loop: Header=BB536_8 Depth=1
	s_or_saveexec_b64 s[6:7], s[6:7]
	v_mov_b32_e32 v0, 0
	s_xor_b64 exec, exec, s[6:7]
	s_cbranch_execz .LBB536_7
; %bb.15:                               ;   in Loop: Header=BB536_8 Depth=1
	v_mad_u64_u32 v[0:1], s[8:9], s16, v16, 0
	v_mov_b32_e32 v2, v1
	v_mad_u64_u32 v[2:3], s[8:9], s17, v16, v[2:3]
	v_mov_b32_e32 v1, v2
	v_lshl_add_u64 v[0:1], v[0:1], 3, v[14:15]
	flat_load_dwordx2 v[2:3], v[0:1]
	s_waitcnt vmcnt(0) lgkmcnt(0)
	v_xor_b32_e32 v0, 0x80000000, v3
	ds_write_b32 v21, v2
	s_branch .LBB536_7
.LBB536_16:
	s_lshl_b64 s[0:1], s[28:29], 3
	v_add_u32_e32 v10, s35, v11
	s_waitcnt lgkmcnt(0)
	s_add_u32 s6, s12, s0
	v_ashrrev_i32_e32 v1, 31, v10
	s_addc_u32 s7, s13, s1
	v_cmp_neq_f32_e64 s[0:1], s20, 0
	s_xor_b64 s[4:5], s[24:25], -1
	v_mul_lo_u32 v1, s14, v1
	v_mul_lo_u32 v4, s15, v10
	v_mad_u64_u32 v[2:3], s[2:3], s14, v10, 0
	v_add_u32_e32 v0, s34, v9
	v_add3_u32 v3, v3, v1, v4
	s_or_b64 s[0:1], s[0:1], s[4:5]
	v_lshl_add_u64 v[4:5], v[2:3], 3, s[6:7]
	v_cmp_le_i32_e32 vcc, v10, v0
	v_cmp_gt_i32_e64 s[2:3], s33, v0
	v_cndmask_b32_e64 v2, 0, 1, s[0:1]
	s_and_b64 s[8:9], vcc, s[2:3]
	v_ashrrev_i32_e32 v1, 31, v0
	v_cmp_ne_u32_e64 s[0:1], 1, v2
	s_and_saveexec_b64 s[4:5], s[8:9]
	s_cbranch_execz .LBB536_20
; %bb.17:
	v_pk_mul_f32 v[6:7], v[32:33], s[22:23] op_sel:[0,1] op_sel_hi:[0,0]
	v_pk_fma_f32 v[2:3], v[30:31], s[22:23], v[6:7] op_sel_hi:[0,1,1] neg_lo:[0,0,1] neg_hi:[0,0,1]
	v_pk_fma_f32 v[8:9], v[30:31], s[22:23], v[6:7] op_sel_hi:[0,1,1]
	s_and_b64 vcc, exec, s[0:1]
	v_lshl_add_u64 v[6:7], v[0:1], 3, v[4:5]
	s_cbranch_vccnz .LBB536_19
; %bb.18:
	flat_load_dwordx2 v[12:13], v[6:7]
	s_mov_b32 s8, s21
	v_mov_b32_e32 v3, v9
	s_waitcnt vmcnt(0) lgkmcnt(0)
	v_pk_mul_f32 v[8:9], v[12:13], s[8:9] op_sel:[1,0] op_sel_hi:[0,0]
	v_pk_fma_f32 v[14:15], v[12:13], s[20:21], v[8:9] neg_lo:[0,0,1] neg_hi:[0,0,1]
	v_pk_fma_f32 v[8:9], v[12:13], s[20:21], v[8:9] op_sel_hi:[1,0,1]
	s_nop 0
	v_mov_b32_e32 v15, v9
	v_pk_add_f32 v[2:3], v[2:3], v[14:15]
	s_nop 0
	v_mov_b32_e32 v9, v3
.LBB536_19:
	v_mov_b32_e32 v3, v9
	flat_store_dwordx2 v[6:7], v[2:3]
.LBB536_20:
	s_or_b64 exec, exec, s[4:5]
	v_add_u32_e32 v2, 16, v0
	v_cmp_le_i32_e32 vcc, v10, v2
	v_cmp_gt_i32_e64 s[4:5], s33, v2
	s_and_b64 s[10:11], vcc, s[4:5]
	v_ashrrev_i32_e32 v3, 31, v2
	s_and_saveexec_b64 s[8:9], s[10:11]
	s_cbranch_execz .LBB536_24
; %bb.21:
	v_pk_mul_f32 v[8:9], v[28:29], s[22:23] op_sel:[0,1] op_sel_hi:[0,0]
	v_pk_fma_f32 v[6:7], v[26:27], s[22:23], v[8:9] op_sel_hi:[0,1,1] neg_lo:[0,0,1] neg_hi:[0,0,1]
	v_pk_fma_f32 v[8:9], v[26:27], s[22:23], v[8:9] op_sel_hi:[0,1,1]
	s_and_b64 vcc, exec, s[0:1]
	v_lshl_add_u64 v[4:5], v[2:3], 3, v[4:5]
	s_cbranch_vccnz .LBB536_23
; %bb.22:
	flat_load_dwordx2 v[12:13], v[4:5]
	s_mov_b32 s10, s21
	v_mov_b32_e32 v7, v9
	s_waitcnt vmcnt(0) lgkmcnt(0)
	v_pk_mul_f32 v[8:9], v[12:13], s[10:11] op_sel:[1,0] op_sel_hi:[0,0]
	v_pk_fma_f32 v[14:15], v[12:13], s[20:21], v[8:9] neg_lo:[0,0,1] neg_hi:[0,0,1]
	v_pk_fma_f32 v[8:9], v[12:13], s[20:21], v[8:9] op_sel_hi:[1,0,1]
	s_nop 0
	v_mov_b32_e32 v15, v9
	v_pk_add_f32 v[6:7], v[6:7], v[14:15]
	s_nop 0
	v_mov_b32_e32 v9, v7
.LBB536_23:
	v_mov_b32_e32 v7, v9
	flat_store_dwordx2 v[4:5], v[6:7]
.LBB536_24:
	s_or_b64 exec, exec, s[8:9]
	v_add_u32_e32 v10, 16, v10
	v_ashrrev_i32_e32 v4, 31, v10
	v_mul_lo_u32 v6, s14, v4
	v_mul_lo_u32 v7, s15, v10
	v_mad_u64_u32 v[4:5], s[8:9], s14, v10, 0
	v_add3_u32 v5, v5, v6, v7
	v_cmp_le_i32_e32 vcc, v10, v0
	v_lshl_add_u64 v[4:5], v[4:5], 3, s[6:7]
	s_and_b64 s[6:7], vcc, s[2:3]
	s_and_saveexec_b64 s[2:3], s[6:7]
	s_cbranch_execz .LBB536_28
; %bb.25:
	v_pk_mul_f32 v[8:9], v[24:25], s[22:23] op_sel:[0,1] op_sel_hi:[0,0]
	v_pk_fma_f32 v[6:7], v[22:23], s[22:23], v[8:9] op_sel_hi:[0,1,1] neg_lo:[0,0,1] neg_hi:[0,0,1]
	v_pk_fma_f32 v[8:9], v[22:23], s[22:23], v[8:9] op_sel_hi:[0,1,1]
	s_and_b64 vcc, exec, s[0:1]
	v_lshl_add_u64 v[0:1], v[0:1], 3, v[4:5]
	s_cbranch_vccnz .LBB536_27
; %bb.26:
	flat_load_dwordx2 v[12:13], v[0:1]
	s_mov_b32 s6, s21
	v_mov_b32_e32 v7, v9
	s_waitcnt vmcnt(0) lgkmcnt(0)
	v_pk_mul_f32 v[8:9], v[12:13], s[6:7] op_sel:[1,0] op_sel_hi:[0,0]
	v_pk_fma_f32 v[14:15], v[12:13], s[20:21], v[8:9] neg_lo:[0,0,1] neg_hi:[0,0,1]
	v_pk_fma_f32 v[8:9], v[12:13], s[20:21], v[8:9] op_sel_hi:[1,0,1]
	s_nop 0
	v_mov_b32_e32 v15, v9
	v_pk_add_f32 v[6:7], v[6:7], v[14:15]
	s_nop 0
	v_mov_b32_e32 v9, v7
.LBB536_27:
	v_mov_b32_e32 v7, v9
	flat_store_dwordx2 v[0:1], v[6:7]
.LBB536_28:
	s_or_b64 exec, exec, s[2:3]
	v_cmp_le_i32_e32 vcc, v10, v2
	s_and_b64 s[2:3], vcc, s[4:5]
	s_and_saveexec_b64 s[4:5], s[2:3]
	s_cbranch_execz .LBB536_32
; %bb.29:
	v_pk_mul_f32 v[6:7], v[20:21], s[22:23] op_sel:[0,1] op_sel_hi:[0,0]
	v_pk_fma_f32 v[0:1], v[18:19], s[22:23], v[6:7] op_sel_hi:[0,1,1] neg_lo:[0,0,1] neg_hi:[0,0,1]
	v_pk_fma_f32 v[6:7], v[18:19], s[22:23], v[6:7] op_sel_hi:[0,1,1]
	s_and_b64 vcc, exec, s[0:1]
	v_lshl_add_u64 v[2:3], v[2:3], 3, v[4:5]
	s_cbranch_vccnz .LBB536_31
; %bb.30:
	flat_load_dwordx2 v[4:5], v[2:3]
	s_mov_b32 s0, s21
	v_mov_b32_e32 v1, v7
	s_waitcnt vmcnt(0) lgkmcnt(0)
	v_pk_mul_f32 v[6:7], v[4:5], s[0:1] op_sel:[1,0] op_sel_hi:[0,0]
	v_pk_fma_f32 v[8:9], v[4:5], s[20:21], v[6:7] neg_lo:[0,0,1] neg_hi:[0,0,1]
	v_pk_fma_f32 v[4:5], v[4:5], s[20:21], v[6:7] op_sel_hi:[1,0,1]
	s_nop 0
	v_mov_b32_e32 v9, v5
	v_pk_add_f32 v[0:1], v[0:1], v[8:9]
	s_nop 0
	v_mov_b32_e32 v7, v1
.LBB536_31:
	v_mov_b32_e32 v1, v7
	flat_store_dwordx2 v[2:3], v[0:1]
.LBB536_32:
	s_endpgm
	.section	.rodata,"a",@progbits
	.p2align	6, 0x0
	.amdhsa_kernel _ZL29rocblas_internal_gemmt_kernelIlLi16ELi32ELi8ELc84ELc67ELc76ELb0ELb1E19rocblas_complex_numIfES1_PKPKS1_PKPS1_EviT_T9_T10_S9_lSB_S9_lSA_T11_S9_li
		.amdhsa_group_segment_fixed_size 4096
		.amdhsa_private_segment_fixed_size 0
		.amdhsa_kernarg_size 108
		.amdhsa_user_sgpr_count 2
		.amdhsa_user_sgpr_dispatch_ptr 0
		.amdhsa_user_sgpr_queue_ptr 0
		.amdhsa_user_sgpr_kernarg_segment_ptr 1
		.amdhsa_user_sgpr_dispatch_id 0
		.amdhsa_user_sgpr_kernarg_preload_length 0
		.amdhsa_user_sgpr_kernarg_preload_offset 0
		.amdhsa_user_sgpr_private_segment_size 0
		.amdhsa_uses_dynamic_stack 0
		.amdhsa_enable_private_segment 0
		.amdhsa_system_sgpr_workgroup_id_x 1
		.amdhsa_system_sgpr_workgroup_id_y 1
		.amdhsa_system_sgpr_workgroup_id_z 1
		.amdhsa_system_sgpr_workgroup_info 0
		.amdhsa_system_vgpr_workitem_id 1
		.amdhsa_next_free_vgpr 51
		.amdhsa_next_free_sgpr 36
		.amdhsa_accum_offset 52
		.amdhsa_reserve_vcc 1
		.amdhsa_float_round_mode_32 0
		.amdhsa_float_round_mode_16_64 0
		.amdhsa_float_denorm_mode_32 3
		.amdhsa_float_denorm_mode_16_64 3
		.amdhsa_dx10_clamp 1
		.amdhsa_ieee_mode 1
		.amdhsa_fp16_overflow 0
		.amdhsa_tg_split 0
		.amdhsa_exception_fp_ieee_invalid_op 0
		.amdhsa_exception_fp_denorm_src 0
		.amdhsa_exception_fp_ieee_div_zero 0
		.amdhsa_exception_fp_ieee_overflow 0
		.amdhsa_exception_fp_ieee_underflow 0
		.amdhsa_exception_fp_ieee_inexact 0
		.amdhsa_exception_int_div_zero 0
	.end_amdhsa_kernel
	.section	.text._ZL29rocblas_internal_gemmt_kernelIlLi16ELi32ELi8ELc84ELc67ELc76ELb0ELb1E19rocblas_complex_numIfES1_PKPKS1_PKPS1_EviT_T9_T10_S9_lSB_S9_lSA_T11_S9_li,"axG",@progbits,_ZL29rocblas_internal_gemmt_kernelIlLi16ELi32ELi8ELc84ELc67ELc76ELb0ELb1E19rocblas_complex_numIfES1_PKPKS1_PKPS1_EviT_T9_T10_S9_lSB_S9_lSA_T11_S9_li,comdat
.Lfunc_end536:
	.size	_ZL29rocblas_internal_gemmt_kernelIlLi16ELi32ELi8ELc84ELc67ELc76ELb0ELb1E19rocblas_complex_numIfES1_PKPKS1_PKPS1_EviT_T9_T10_S9_lSB_S9_lSA_T11_S9_li, .Lfunc_end536-_ZL29rocblas_internal_gemmt_kernelIlLi16ELi32ELi8ELc84ELc67ELc76ELb0ELb1E19rocblas_complex_numIfES1_PKPKS1_PKPS1_EviT_T9_T10_S9_lSB_S9_lSA_T11_S9_li
                                        ; -- End function
	.set _ZL29rocblas_internal_gemmt_kernelIlLi16ELi32ELi8ELc84ELc67ELc76ELb0ELb1E19rocblas_complex_numIfES1_PKPKS1_PKPS1_EviT_T9_T10_S9_lSB_S9_lSA_T11_S9_li.num_vgpr, 51
	.set _ZL29rocblas_internal_gemmt_kernelIlLi16ELi32ELi8ELc84ELc67ELc76ELb0ELb1E19rocblas_complex_numIfES1_PKPKS1_PKPS1_EviT_T9_T10_S9_lSB_S9_lSA_T11_S9_li.num_agpr, 0
	.set _ZL29rocblas_internal_gemmt_kernelIlLi16ELi32ELi8ELc84ELc67ELc76ELb0ELb1E19rocblas_complex_numIfES1_PKPKS1_PKPS1_EviT_T9_T10_S9_lSB_S9_lSA_T11_S9_li.numbered_sgpr, 36
	.set _ZL29rocblas_internal_gemmt_kernelIlLi16ELi32ELi8ELc84ELc67ELc76ELb0ELb1E19rocblas_complex_numIfES1_PKPKS1_PKPS1_EviT_T9_T10_S9_lSB_S9_lSA_T11_S9_li.num_named_barrier, 0
	.set _ZL29rocblas_internal_gemmt_kernelIlLi16ELi32ELi8ELc84ELc67ELc76ELb0ELb1E19rocblas_complex_numIfES1_PKPKS1_PKPS1_EviT_T9_T10_S9_lSB_S9_lSA_T11_S9_li.private_seg_size, 0
	.set _ZL29rocblas_internal_gemmt_kernelIlLi16ELi32ELi8ELc84ELc67ELc76ELb0ELb1E19rocblas_complex_numIfES1_PKPKS1_PKPS1_EviT_T9_T10_S9_lSB_S9_lSA_T11_S9_li.uses_vcc, 1
	.set _ZL29rocblas_internal_gemmt_kernelIlLi16ELi32ELi8ELc84ELc67ELc76ELb0ELb1E19rocblas_complex_numIfES1_PKPKS1_PKPS1_EviT_T9_T10_S9_lSB_S9_lSA_T11_S9_li.uses_flat_scratch, 0
	.set _ZL29rocblas_internal_gemmt_kernelIlLi16ELi32ELi8ELc84ELc67ELc76ELb0ELb1E19rocblas_complex_numIfES1_PKPKS1_PKPS1_EviT_T9_T10_S9_lSB_S9_lSA_T11_S9_li.has_dyn_sized_stack, 0
	.set _ZL29rocblas_internal_gemmt_kernelIlLi16ELi32ELi8ELc84ELc67ELc76ELb0ELb1E19rocblas_complex_numIfES1_PKPKS1_PKPS1_EviT_T9_T10_S9_lSB_S9_lSA_T11_S9_li.has_recursion, 0
	.set _ZL29rocblas_internal_gemmt_kernelIlLi16ELi32ELi8ELc84ELc67ELc76ELb0ELb1E19rocblas_complex_numIfES1_PKPKS1_PKPS1_EviT_T9_T10_S9_lSB_S9_lSA_T11_S9_li.has_indirect_call, 0
	.section	.AMDGPU.csdata,"",@progbits
; Kernel info:
; codeLenInByte = 2588
; TotalNumSgprs: 42
; NumVgprs: 51
; NumAgprs: 0
; TotalNumVgprs: 51
; ScratchSize: 0
; MemoryBound: 0
; FloatMode: 240
; IeeeMode: 1
; LDSByteSize: 4096 bytes/workgroup (compile time only)
; SGPRBlocks: 5
; VGPRBlocks: 6
; NumSGPRsForWavesPerEU: 42
; NumVGPRsForWavesPerEU: 51
; AccumOffset: 52
; Occupancy: 8
; WaveLimiterHint : 1
; COMPUTE_PGM_RSRC2:SCRATCH_EN: 0
; COMPUTE_PGM_RSRC2:USER_SGPR: 2
; COMPUTE_PGM_RSRC2:TRAP_HANDLER: 0
; COMPUTE_PGM_RSRC2:TGID_X_EN: 1
; COMPUTE_PGM_RSRC2:TGID_Y_EN: 1
; COMPUTE_PGM_RSRC2:TGID_Z_EN: 1
; COMPUTE_PGM_RSRC2:TIDIG_COMP_CNT: 1
; COMPUTE_PGM_RSRC3_GFX90A:ACCUM_OFFSET: 12
; COMPUTE_PGM_RSRC3_GFX90A:TG_SPLIT: 0
	.section	.text._ZL29rocblas_internal_gemmt_kernelIlLi16ELi32ELi8ELc67ELc78ELc76ELb1ELb0E19rocblas_complex_numIfES1_PKPKS1_PKPS1_EviT_T9_T10_S9_lSB_S9_lSA_T11_S9_li,"axG",@progbits,_ZL29rocblas_internal_gemmt_kernelIlLi16ELi32ELi8ELc67ELc78ELc76ELb1ELb0E19rocblas_complex_numIfES1_PKPKS1_PKPS1_EviT_T9_T10_S9_lSB_S9_lSA_T11_S9_li,comdat
	.globl	_ZL29rocblas_internal_gemmt_kernelIlLi16ELi32ELi8ELc67ELc78ELc76ELb1ELb0E19rocblas_complex_numIfES1_PKPKS1_PKPS1_EviT_T9_T10_S9_lSB_S9_lSA_T11_S9_li ; -- Begin function _ZL29rocblas_internal_gemmt_kernelIlLi16ELi32ELi8ELc67ELc78ELc76ELb1ELb0E19rocblas_complex_numIfES1_PKPKS1_PKPS1_EviT_T9_T10_S9_lSB_S9_lSA_T11_S9_li
	.p2align	8
	.type	_ZL29rocblas_internal_gemmt_kernelIlLi16ELi32ELi8ELc67ELc78ELc76ELb1ELb0E19rocblas_complex_numIfES1_PKPKS1_PKPS1_EviT_T9_T10_S9_lSB_S9_lSA_T11_S9_li,@function
_ZL29rocblas_internal_gemmt_kernelIlLi16ELi32ELi8ELc67ELc78ELc76ELb1ELb0E19rocblas_complex_numIfES1_PKPKS1_PKPS1_EviT_T9_T10_S9_lSB_S9_lSA_T11_S9_li: ; @_ZL29rocblas_internal_gemmt_kernelIlLi16ELi32ELi8ELc67ELc78ELc76ELb1ELb0E19rocblas_complex_numIfES1_PKPKS1_PKPS1_EviT_T9_T10_S9_lSB_S9_lSA_T11_S9_li
; %bb.0:
	s_load_dwordx2 s[20:21], s[0:1], 0x48
	s_load_dwordx2 s[22:23], s[0:1], 0x10
	s_waitcnt lgkmcnt(0)
	s_and_b32 s5, s21, 0x7fffffff
	s_cmp_eq_u32 s5, 0
	v_cmp_eq_f32_e64 s[6:7], s20, 1.0
	s_cselect_b64 s[24:25], -1, 0
	s_and_b64 s[6:7], s[6:7], s[24:25]
	s_and_b64 vcc, exec, s[6:7]
	s_cbranch_vccnz .LBB537_2
; %bb.1:
	s_mov_b64 s[6:7], -1
	s_load_dwordx2 s[26:27], s[0:1], 0x8
	s_cbranch_execz .LBB537_3
	s_branch .LBB537_4
.LBB537_2:
	s_mov_b64 s[6:7], 0
	s_load_dwordx2 s[26:27], s[0:1], 0x8
.LBB537_3:
	s_waitcnt lgkmcnt(0)
	s_cmp_lg_u64 s[26:27], 0
	v_cmp_neq_f32_e64 s[8:9], s22, 0
	v_cmp_neq_f32_e64 s[10:11], s23, 0
	s_cselect_b64 s[6:7], -1, 0
	s_or_b64 s[8:9], s[8:9], s[10:11]
	s_and_b64 s[6:7], s[6:7], s[8:9]
.LBB537_4:
	s_andn2_b64 vcc, exec, s[6:7]
	s_cbranch_vccnz .LBB537_32
; %bb.5:
	s_load_dwordx2 s[28:29], s[0:1], 0x60
	s_load_dword s33, s[0:1], 0x0
	s_load_dwordx4 s[12:15], s[0:1], 0x50
	s_mov_b32 s5, 0
	s_lshl_b64 s[30:31], s[4:5], 3
	v_and_b32_e32 v9, 0x3ff, v0
	v_bfe_u32 v11, v0, 10, 10
	s_waitcnt lgkmcnt(0)
	s_add_u32 s4, s12, s30
	s_addc_u32 s5, s13, s31
	s_load_dwordx2 s[12:13], s[4:5], 0x0
	s_lshl_b32 s34, s2, 5
	s_lshl_b32 s35, s3, 5
	v_cmp_eq_f32_e64 s[2:3], s22, 0
	v_cmp_eq_f32_e64 s[4:5], s23, 0
	s_and_b64 s[2:3], s[2:3], s[4:5]
	v_cmp_lt_i64_e64 s[4:5], s[26:27], 1
	s_or_b64 s[2:3], s[2:3], s[4:5]
	v_mov_b32_e32 v32, 0
	s_and_b64 vcc, exec, s[2:3]
	v_mov_b32_e32 v34, 0
	v_mov_b32_e32 v28, 0
	;; [unrolled: 1-line block ×7, first 2 shown]
	s_cbranch_vccnz .LBB537_16
; %bb.6:
	s_load_dwordx8 s[4:11], s[0:1], 0x18
	s_load_dwordx4 s[16:19], s[0:1], 0x38
	v_lshl_add_u32 v0, v11, 4, v9
	v_lshrrev_b32_e32 v10, 5, v0
	v_lshrrev_b32_e32 v2, 3, v0
	s_waitcnt lgkmcnt(0)
	s_add_u32 s0, s10, s30
	s_addc_u32 s1, s11, s31
	s_load_dwordx2 s[0:1], s[0:1], 0x0
	s_lshl_b64 s[2:3], s[18:19], 3
	v_and_b32_e32 v0, 31, v0
	v_or_b32_e32 v1, s34, v0
	v_lshlrev_b32_e32 v0, 3, v0
	s_waitcnt lgkmcnt(0)
	s_add_u32 s10, s0, s2
	s_addc_u32 s11, s1, s3
	s_add_u32 s0, s4, s30
	s_addc_u32 s1, s5, s31
	s_load_dwordx2 s[2:3], s[0:1], 0x0
	s_lshl_b64 s[8:9], s[8:9], 3
	v_cmp_gt_i32_e64 s[0:1], s33, v1
	v_cmp_le_i32_e64 s[4:5], s33, v1
	v_lshl_or_b32 v21, v10, 8, v0
	s_waitcnt lgkmcnt(0)
	s_add_u32 s2, s2, s8
	s_addc_u32 s3, s3, s9
	s_ashr_i32 s18, s34, 31
	v_mul_lo_u32 v4, s7, v1
	v_mad_u64_u32 v[0:1], s[8:9], s6, v1, 0
	s_mul_i32 s6, s6, s18
	v_and_b32_e32 v8, 7, v9
	v_add3_u32 v1, v1, s6, v4
	v_lshl_add_u64 v[12:13], v[0:1], 3, s[2:3]
	v_lshlrev_b32_e32 v0, 3, v8
	v_add_u32_e32 v3, s35, v2
	v_lshl_or_b32 v0, v2, 6, v0
	v_add_u32_e32 v23, 0x800, v0
	v_ashrrev_i32_e32 v0, 31, v3
	v_mul_lo_u32 v2, s16, v0
	v_mul_lo_u32 v4, s17, v3
	v_mad_u64_u32 v[0:1], s[6:7], s16, v3, 0
	v_add3_u32 v1, v1, v2, v4
	v_lshl_add_u64 v[14:15], v[0:1], 3, s[10:11]
	v_mov_b32_e32 v0, 0x800
	v_cmp_gt_i32_e64 s[2:3], s33, v3
	v_lshlrev_b32_e32 v25, 3, v9
	v_lshl_add_u32 v27, v11, 6, v0
	v_mov_b32_e32 v17, 0
	s_mov_b64 s[6:7], 0
	v_mov_b32_e32 v22, 0
	v_mov_b32_e32 v20, 0
	;; [unrolled: 1-line block ×8, first 2 shown]
                                        ; implicit-def: $vgpr18_vgpr19
	s_branch .LBB537_8
.LBB537_7:                              ;   in Loop: Header=BB537_8 Depth=1
	s_or_b64 exec, exec, s[8:9]
	s_waitcnt vmcnt(0) lgkmcnt(0)
	ds_write_b64 v23, v[2:3]
	s_waitcnt lgkmcnt(0)
	s_barrier
	ds_read2_b64 v[36:39], v25 offset1:16
	ds_read_b128 v[40:43], v27
	ds_read_b128 v[44:47], v27 offset:16
	ds_read_b128 v[4:7], v27 offset:32
	;; [unrolled: 1-line block ×3, first 2 shown]
	s_add_u32 s6, s6, 8
	s_waitcnt lgkmcnt(3)
	v_mul_f32_e32 v16, v41, v37
	v_mul_f32_e32 v29, v40, v37
	v_fma_f32 v16, v40, v36, -v16
	v_fmac_f32_e32 v29, v41, v36
	v_add_f32_e32 v16, v32, v16
	v_add_f32_e32 v52, v34, v29
	ds_read_b128 v[32:35], v27 offset:1024
	v_mul_f32_e32 v29, v41, v39
	v_mul_f32_e32 v31, v40, v39
	v_fma_f32 v29, v40, v38, -v29
	v_fmac_f32_e32 v31, v41, v38
	v_add_f32_e32 v40, v28, v29
	v_add_f32_e32 v41, v30, v31
	ds_read_b128 v[28:31], v27 offset:1040
	s_waitcnt lgkmcnt(1)
	v_mul_f32_e32 v48, v33, v37
	v_fma_f32 v48, v32, v36, -v48
	v_add_f32_e32 v24, v24, v48
	ds_read2_b64 v[48:51], v25 offset0:32 offset1:48
	v_mul_f32_e32 v37, v32, v37
	v_fmac_f32_e32 v37, v33, v36
	v_mul_f32_e32 v36, v33, v39
	v_fma_f32 v36, v32, v38, -v36
	v_mul_f32_e32 v32, v32, v39
	v_fmac_f32_e32 v32, v33, v38
	v_add_f32_e32 v22, v22, v32
	s_waitcnt lgkmcnt(0)
	v_mul_f32_e32 v32, v43, v49
	v_mul_f32_e32 v33, v42, v49
	v_fma_f32 v32, v42, v48, -v32
	v_fmac_f32_e32 v33, v43, v48
	v_add_f32_e32 v20, v20, v36
	v_add_f32_e32 v16, v16, v32
	;; [unrolled: 1-line block ×3, first 2 shown]
	v_mul_f32_e32 v33, v43, v51
	v_mul_f32_e32 v36, v42, v51
	v_fma_f32 v33, v42, v50, -v33
	v_fmac_f32_e32 v36, v43, v50
	v_add_f32_e32 v33, v40, v33
	v_add_f32_e32 v40, v41, v36
	v_mul_f32_e32 v36, v35, v49
	v_add_f32_e32 v26, v26, v37
	v_fma_f32 v36, v34, v48, -v36
	v_mul_f32_e32 v37, v34, v49
	v_fmac_f32_e32 v37, v35, v48
	v_add_f32_e32 v24, v24, v36
	v_mul_f32_e32 v36, v35, v51
	v_add_f32_e32 v26, v26, v37
	v_fma_f32 v41, v34, v50, -v36
	ds_read2_b64 v[36:39], v25 offset0:64 offset1:80
	v_mul_f32_e32 v34, v34, v51
	v_fmac_f32_e32 v34, v35, v50
	v_add_f32_e32 v20, v20, v41
	v_add_f32_e32 v22, v22, v34
	s_waitcnt lgkmcnt(0)
	v_mul_f32_e32 v35, v44, v37
	v_fmac_f32_e32 v35, v45, v36
	v_add_f32_e32 v41, v32, v35
	v_mul_f32_e32 v32, v45, v39
	v_mul_f32_e32 v34, v45, v37
	v_fma_f32 v32, v44, v38, -v32
	v_fma_f32 v34, v44, v36, -v34
	v_add_f32_e32 v42, v33, v32
	v_mul_f32_e32 v32, v29, v37
	v_add_f32_e32 v16, v16, v34
	v_mul_f32_e32 v34, v44, v39
	v_fma_f32 v32, v28, v36, -v32
	v_mul_f32_e32 v33, v28, v37
	v_fmac_f32_e32 v34, v45, v38
	v_fmac_f32_e32 v33, v29, v36
	v_add_f32_e32 v24, v24, v32
	v_mul_f32_e32 v32, v29, v39
	v_add_f32_e32 v40, v40, v34
	v_add_f32_e32 v26, v26, v33
	v_fma_f32 v36, v28, v38, -v32
	ds_read2_b64 v[32:35], v25 offset0:96 offset1:112
	v_mul_f32_e32 v28, v28, v39
	v_fmac_f32_e32 v28, v29, v38
	v_add_f32_e32 v22, v22, v28
	v_add_f32_e32 v20, v20, v36
	s_waitcnt lgkmcnt(0)
	v_mul_f32_e32 v28, v47, v33
	v_mul_f32_e32 v29, v46, v33
	v_fma_f32 v28, v46, v32, -v28
	v_fmac_f32_e32 v29, v47, v32
	v_add_f32_e32 v16, v16, v28
	v_add_f32_e32 v28, v41, v29
	v_mul_f32_e32 v29, v47, v35
	v_mul_f32_e32 v36, v46, v35
	v_fma_f32 v29, v46, v34, -v29
	v_fmac_f32_e32 v36, v47, v34
	v_add_f32_e32 v41, v42, v29
	v_add_f32_e32 v40, v40, v36
	v_mul_f32_e32 v29, v31, v33
	ds_read2_b64 v[36:39], v25 offset0:128 offset1:144
	v_fma_f32 v29, v30, v32, -v29
	v_add_f32_e32 v24, v24, v29
	v_mul_f32_e32 v29, v31, v35
	v_mul_f32_e32 v33, v30, v33
	v_fma_f32 v29, v30, v34, -v29
	v_mul_f32_e32 v30, v30, v35
	v_fmac_f32_e32 v30, v31, v34
	v_add_f32_e32 v22, v22, v30
	s_waitcnt lgkmcnt(0)
	v_mul_f32_e32 v30, v4, v37
	v_add_f32_e32 v20, v20, v29
	v_mul_f32_e32 v29, v5, v37
	v_fmac_f32_e32 v30, v5, v36
	v_fma_f32 v29, v4, v36, -v29
	v_add_f32_e32 v44, v28, v30
	v_mul_f32_e32 v28, v5, v39
	v_fmac_f32_e32 v33, v31, v32
	v_add_f32_e32 v16, v16, v29
	v_fma_f32 v32, v4, v38, -v28
	ds_read_b128 v[28:31], v27 offset:1056
	v_mul_f32_e32 v4, v4, v39
	v_fmac_f32_e32 v4, v5, v38
	v_add_f32_e32 v5, v41, v32
	v_add_f32_e32 v4, v40, v4
	ds_read_b128 v[40:43], v27 offset:1072
	s_waitcnt lgkmcnt(1)
	v_mul_f32_e32 v32, v29, v37
	v_add_f32_e32 v26, v26, v33
	v_fma_f32 v32, v28, v36, -v32
	v_mul_f32_e32 v33, v28, v37
	v_fmac_f32_e32 v33, v29, v36
	v_add_f32_e32 v24, v24, v32
	v_mul_f32_e32 v32, v29, v39
	v_add_f32_e32 v26, v26, v33
	v_fma_f32 v36, v28, v38, -v32
	ds_read2_b64 v[32:35], v25 offset0:160 offset1:176
	v_mul_f32_e32 v28, v28, v39
	v_fmac_f32_e32 v28, v29, v38
	v_add_f32_e32 v22, v22, v28
	v_add_f32_e32 v20, v20, v36
	s_waitcnt lgkmcnt(0)
	v_mul_f32_e32 v28, v7, v33
	v_mul_f32_e32 v29, v6, v33
	v_fma_f32 v28, v6, v32, -v28
	v_fmac_f32_e32 v29, v7, v32
	v_add_f32_e32 v16, v16, v28
	v_add_f32_e32 v28, v44, v29
	v_mul_f32_e32 v29, v7, v35
	v_fma_f32 v29, v6, v34, -v29
	v_mul_f32_e32 v6, v6, v35
	v_fmac_f32_e32 v6, v7, v34
	v_add_f32_e32 v36, v4, v6
	v_mul_f32_e32 v4, v31, v33
	v_add_f32_e32 v29, v5, v29
	v_fma_f32 v4, v30, v32, -v4
	v_mul_f32_e32 v5, v30, v33
	v_fmac_f32_e32 v5, v31, v32
	v_add_f32_e32 v24, v24, v4
	v_mul_f32_e32 v4, v31, v35
	v_add_f32_e32 v26, v26, v5
	v_fma_f32 v32, v30, v34, -v4
	ds_read2_b64 v[4:7], v25 offset0:192 offset1:208
	v_mul_f32_e32 v30, v30, v35
	v_fmac_f32_e32 v30, v31, v34
	v_add_f32_e32 v22, v22, v30
	v_add_f32_e32 v20, v20, v32
	s_waitcnt lgkmcnt(0)
	v_mul_f32_e32 v30, v1, v5
	v_fma_f32 v30, v0, v4, -v30
	v_add_f32_e32 v16, v16, v30
	v_mul_f32_e32 v30, v1, v7
	v_mul_f32_e32 v31, v0, v5
	v_fma_f32 v30, v0, v6, -v30
	v_mul_f32_e32 v0, v0, v7
	v_fmac_f32_e32 v0, v1, v6
	v_add_f32_e32 v0, v36, v0
	ds_read2_b64 v[36:39], v25 offset0:224 offset1:240
	v_fmac_f32_e32 v31, v1, v4
	v_add_f32_e32 v1, v29, v30
	v_mul_f32_e32 v29, v41, v5
	v_fma_f32 v29, v40, v4, -v29
	v_mul_f32_e32 v5, v40, v5
	v_fmac_f32_e32 v5, v41, v4
	v_add_f32_e32 v4, v24, v29
	v_mul_f32_e32 v24, v41, v7
	v_fma_f32 v24, v40, v6, -v24
	v_mul_f32_e32 v7, v40, v7
	v_fmac_f32_e32 v7, v41, v6
	v_add_f32_e32 v6, v20, v24
	s_waitcnt lgkmcnt(0)
	v_mul_f32_e32 v20, v3, v37
	v_fma_f32 v20, v2, v36, -v20
	v_add_f32_e32 v32, v16, v20
	v_mul_f32_e32 v16, v3, v39
	v_add_f32_e32 v7, v22, v7
	v_mul_f32_e32 v22, v2, v37
	v_fma_f32 v16, v2, v38, -v16
	v_mul_f32_e32 v2, v2, v39
	v_add_f32_e32 v28, v28, v31
	v_fmac_f32_e32 v22, v3, v36
	v_fmac_f32_e32 v2, v3, v38
	v_add_f32_e32 v34, v28, v22
	v_add_f32_e32 v28, v1, v16
	;; [unrolled: 1-line block ×3, first 2 shown]
	v_mul_f32_e32 v0, v43, v37
	v_mul_f32_e32 v1, v42, v37
	v_add_f32_e32 v5, v26, v5
	v_fma_f32 v0, v42, v36, -v0
	v_fmac_f32_e32 v1, v43, v36
	v_add_f32_e32 v24, v4, v0
	v_add_f32_e32 v26, v5, v1
	v_mul_f32_e32 v0, v43, v39
	v_mul_f32_e32 v1, v42, v39
	v_fma_f32 v0, v42, v38, -v0
	v_fmac_f32_e32 v1, v43, v38
	s_addc_u32 s7, s7, 0
	v_add_f32_e32 v20, v6, v0
	v_add_f32_e32 v22, v7, v1
	v_mov_b64_e32 v[0:1], s[6:7]
	v_cmp_gt_i64_e32 vcc, s[26:27], v[0:1]
	s_barrier
	s_cbranch_vccz .LBB537_16
.LBB537_8:                              ; =>This Inner Loop Header: Depth=1
	s_mov_b64 s[16:17], s[4:5]
	s_mov_b64 s[8:9], 0
	s_and_saveexec_b64 s[10:11], s[0:1]
; %bb.9:                                ;   in Loop: Header=BB537_8 Depth=1
	v_add_u32_e32 v16, s6, v10
	v_cmp_le_u64_e32 vcc, s[26:27], v[16:17]
	s_andn2_b64 s[16:17], s[4:5], exec
	s_and_b64 s[18:19], vcc, exec
	s_mov_b64 s[8:9], exec
	s_or_b64 s[16:17], s[16:17], s[18:19]
	v_mov_b64_e32 v[18:19], v[16:17]
; %bb.10:                               ;   in Loop: Header=BB537_8 Depth=1
	s_or_b64 exec, exec, s[10:11]
	s_and_saveexec_b64 s[10:11], s[16:17]
	s_xor_b64 s[10:11], exec, s[10:11]
; %bb.11:                               ;   in Loop: Header=BB537_8 Depth=1
	ds_write_b32 v21, v17
	s_andn2_b64 s[8:9], s[8:9], exec
; %bb.12:                               ;   in Loop: Header=BB537_8 Depth=1
	s_or_b64 exec, exec, s[10:11]
	v_mov_b32_e32 v2, 0
	v_mov_b32_e32 v0, 0
	s_and_saveexec_b64 s[10:11], s[8:9]
	s_cbranch_execz .LBB537_14
; %bb.13:                               ;   in Loop: Header=BB537_8 Depth=1
	v_lshl_add_u64 v[0:1], v[18:19], 3, v[12:13]
	flat_load_dwordx2 v[4:5], v[0:1]
	s_waitcnt vmcnt(0) lgkmcnt(0)
	v_xor_b32_e32 v0, 0x80000000, v5
	ds_write_b32 v21, v4
.LBB537_14:                             ;   in Loop: Header=BB537_8 Depth=1
	s_or_b64 exec, exec, s[10:11]
	v_add_u32_e32 v16, s6, v8
	v_cmp_gt_u64_e32 vcc, s[26:27], v[16:17]
	s_and_b64 s[10:11], vcc, s[2:3]
	v_mov_b32_e32 v3, 0
	ds_write_b32 v21, v0 offset:4
	s_and_saveexec_b64 s[8:9], s[10:11]
	s_cbranch_execz .LBB537_7
; %bb.15:                               ;   in Loop: Header=BB537_8 Depth=1
	v_lshl_add_u64 v[0:1], v[16:17], 3, v[14:15]
	flat_load_dwordx2 v[2:3], v[0:1]
	s_branch .LBB537_7
.LBB537_16:
	s_lshl_b64 s[0:1], s[28:29], 3
	v_add_u32_e32 v10, s35, v11
	s_waitcnt lgkmcnt(0)
	s_add_u32 s6, s12, s0
	v_ashrrev_i32_e32 v1, 31, v10
	s_addc_u32 s7, s13, s1
	v_cmp_neq_f32_e64 s[0:1], s20, 0
	s_xor_b64 s[4:5], s[24:25], -1
	v_mul_lo_u32 v1, s14, v1
	v_mul_lo_u32 v4, s15, v10
	v_mad_u64_u32 v[2:3], s[2:3], s14, v10, 0
	v_add_u32_e32 v0, s34, v9
	v_add3_u32 v3, v3, v1, v4
	s_or_b64 s[0:1], s[0:1], s[4:5]
	v_lshl_add_u64 v[4:5], v[2:3], 3, s[6:7]
	v_cmp_le_i32_e32 vcc, v10, v0
	v_cmp_gt_i32_e64 s[2:3], s33, v0
	v_cndmask_b32_e64 v2, 0, 1, s[0:1]
	s_and_b64 s[8:9], vcc, s[2:3]
	v_ashrrev_i32_e32 v1, 31, v0
	v_cmp_ne_u32_e64 s[0:1], 1, v2
	s_and_saveexec_b64 s[4:5], s[8:9]
	s_cbranch_execz .LBB537_20
; %bb.17:
	v_pk_mul_f32 v[6:7], v[34:35], s[22:23] op_sel:[0,1] op_sel_hi:[0,0]
	v_pk_fma_f32 v[2:3], v[32:33], s[22:23], v[6:7] op_sel_hi:[0,1,1] neg_lo:[0,0,1] neg_hi:[0,0,1]
	v_pk_fma_f32 v[8:9], v[32:33], s[22:23], v[6:7] op_sel_hi:[0,1,1]
	s_and_b64 vcc, exec, s[0:1]
	v_lshl_add_u64 v[6:7], v[0:1], 3, v[4:5]
	s_cbranch_vccnz .LBB537_19
; %bb.18:
	flat_load_dwordx2 v[12:13], v[6:7]
	s_mov_b32 s8, s21
	v_mov_b32_e32 v3, v9
	s_waitcnt vmcnt(0) lgkmcnt(0)
	v_pk_mul_f32 v[8:9], v[12:13], s[8:9] op_sel:[1,0] op_sel_hi:[0,0]
	v_pk_fma_f32 v[14:15], v[12:13], s[20:21], v[8:9] neg_lo:[0,0,1] neg_hi:[0,0,1]
	v_pk_fma_f32 v[8:9], v[12:13], s[20:21], v[8:9] op_sel_hi:[1,0,1]
	s_nop 0
	v_mov_b32_e32 v15, v9
	v_pk_add_f32 v[2:3], v[2:3], v[14:15]
	s_nop 0
	v_mov_b32_e32 v9, v3
.LBB537_19:
	v_mov_b32_e32 v3, v9
	flat_store_dwordx2 v[6:7], v[2:3]
.LBB537_20:
	s_or_b64 exec, exec, s[4:5]
	v_add_u32_e32 v2, 16, v0
	v_cmp_le_i32_e32 vcc, v10, v2
	v_cmp_gt_i32_e64 s[4:5], s33, v2
	s_and_b64 s[10:11], vcc, s[4:5]
	v_ashrrev_i32_e32 v3, 31, v2
	s_and_saveexec_b64 s[8:9], s[10:11]
	s_cbranch_execz .LBB537_24
; %bb.21:
	v_pk_mul_f32 v[8:9], v[30:31], s[22:23] op_sel:[0,1] op_sel_hi:[0,0]
	v_pk_fma_f32 v[6:7], v[28:29], s[22:23], v[8:9] op_sel_hi:[0,1,1] neg_lo:[0,0,1] neg_hi:[0,0,1]
	v_pk_fma_f32 v[8:9], v[28:29], s[22:23], v[8:9] op_sel_hi:[0,1,1]
	s_and_b64 vcc, exec, s[0:1]
	v_lshl_add_u64 v[4:5], v[2:3], 3, v[4:5]
	s_cbranch_vccnz .LBB537_23
; %bb.22:
	flat_load_dwordx2 v[12:13], v[4:5]
	s_mov_b32 s10, s21
	v_mov_b32_e32 v7, v9
	s_waitcnt vmcnt(0) lgkmcnt(0)
	v_pk_mul_f32 v[8:9], v[12:13], s[10:11] op_sel:[1,0] op_sel_hi:[0,0]
	v_pk_fma_f32 v[14:15], v[12:13], s[20:21], v[8:9] neg_lo:[0,0,1] neg_hi:[0,0,1]
	v_pk_fma_f32 v[8:9], v[12:13], s[20:21], v[8:9] op_sel_hi:[1,0,1]
	s_nop 0
	v_mov_b32_e32 v15, v9
	v_pk_add_f32 v[6:7], v[6:7], v[14:15]
	s_nop 0
	v_mov_b32_e32 v9, v7
.LBB537_23:
	v_mov_b32_e32 v7, v9
	flat_store_dwordx2 v[4:5], v[6:7]
.LBB537_24:
	s_or_b64 exec, exec, s[8:9]
	v_add_u32_e32 v10, 16, v10
	v_ashrrev_i32_e32 v4, 31, v10
	v_mul_lo_u32 v6, s14, v4
	v_mul_lo_u32 v7, s15, v10
	v_mad_u64_u32 v[4:5], s[8:9], s14, v10, 0
	v_add3_u32 v5, v5, v6, v7
	v_cmp_le_i32_e32 vcc, v10, v0
	v_lshl_add_u64 v[4:5], v[4:5], 3, s[6:7]
	s_and_b64 s[6:7], vcc, s[2:3]
	s_and_saveexec_b64 s[2:3], s[6:7]
	s_cbranch_execz .LBB537_28
; %bb.25:
	v_pk_mul_f32 v[8:9], v[26:27], s[22:23] op_sel:[0,1] op_sel_hi:[0,0]
	v_pk_fma_f32 v[6:7], v[24:25], s[22:23], v[8:9] op_sel_hi:[0,1,1] neg_lo:[0,0,1] neg_hi:[0,0,1]
	v_pk_fma_f32 v[8:9], v[24:25], s[22:23], v[8:9] op_sel_hi:[0,1,1]
	s_and_b64 vcc, exec, s[0:1]
	v_lshl_add_u64 v[0:1], v[0:1], 3, v[4:5]
	s_cbranch_vccnz .LBB537_27
; %bb.26:
	flat_load_dwordx2 v[12:13], v[0:1]
	s_mov_b32 s6, s21
	v_mov_b32_e32 v7, v9
	s_waitcnt vmcnt(0) lgkmcnt(0)
	v_pk_mul_f32 v[8:9], v[12:13], s[6:7] op_sel:[1,0] op_sel_hi:[0,0]
	v_pk_fma_f32 v[14:15], v[12:13], s[20:21], v[8:9] neg_lo:[0,0,1] neg_hi:[0,0,1]
	v_pk_fma_f32 v[8:9], v[12:13], s[20:21], v[8:9] op_sel_hi:[1,0,1]
	s_nop 0
	v_mov_b32_e32 v15, v9
	v_pk_add_f32 v[6:7], v[6:7], v[14:15]
	s_nop 0
	v_mov_b32_e32 v9, v7
.LBB537_27:
	v_mov_b32_e32 v7, v9
	flat_store_dwordx2 v[0:1], v[6:7]
.LBB537_28:
	s_or_b64 exec, exec, s[2:3]
	v_cmp_le_i32_e32 vcc, v10, v2
	s_and_b64 s[2:3], vcc, s[4:5]
	s_and_saveexec_b64 s[4:5], s[2:3]
	s_cbranch_execz .LBB537_32
; %bb.29:
	v_pk_mul_f32 v[6:7], v[22:23], s[22:23] op_sel:[0,1] op_sel_hi:[0,0]
	v_pk_fma_f32 v[0:1], v[20:21], s[22:23], v[6:7] op_sel_hi:[0,1,1] neg_lo:[0,0,1] neg_hi:[0,0,1]
	v_pk_fma_f32 v[6:7], v[20:21], s[22:23], v[6:7] op_sel_hi:[0,1,1]
	s_and_b64 vcc, exec, s[0:1]
	v_lshl_add_u64 v[2:3], v[2:3], 3, v[4:5]
	s_cbranch_vccnz .LBB537_31
; %bb.30:
	flat_load_dwordx2 v[4:5], v[2:3]
	s_mov_b32 s0, s21
	v_mov_b32_e32 v1, v7
	s_waitcnt vmcnt(0) lgkmcnt(0)
	v_pk_mul_f32 v[6:7], v[4:5], s[0:1] op_sel:[1,0] op_sel_hi:[0,0]
	v_pk_fma_f32 v[8:9], v[4:5], s[20:21], v[6:7] neg_lo:[0,0,1] neg_hi:[0,0,1]
	v_pk_fma_f32 v[4:5], v[4:5], s[20:21], v[6:7] op_sel_hi:[1,0,1]
	s_nop 0
	v_mov_b32_e32 v9, v5
	v_pk_add_f32 v[0:1], v[0:1], v[8:9]
	s_nop 0
	v_mov_b32_e32 v7, v1
.LBB537_31:
	v_mov_b32_e32 v1, v7
	flat_store_dwordx2 v[2:3], v[0:1]
.LBB537_32:
	s_endpgm
	.section	.rodata,"a",@progbits
	.p2align	6, 0x0
	.amdhsa_kernel _ZL29rocblas_internal_gemmt_kernelIlLi16ELi32ELi8ELc67ELc78ELc76ELb1ELb0E19rocblas_complex_numIfES1_PKPKS1_PKPS1_EviT_T9_T10_S9_lSB_S9_lSA_T11_S9_li
		.amdhsa_group_segment_fixed_size 4096
		.amdhsa_private_segment_fixed_size 0
		.amdhsa_kernarg_size 108
		.amdhsa_user_sgpr_count 2
		.amdhsa_user_sgpr_dispatch_ptr 0
		.amdhsa_user_sgpr_queue_ptr 0
		.amdhsa_user_sgpr_kernarg_segment_ptr 1
		.amdhsa_user_sgpr_dispatch_id 0
		.amdhsa_user_sgpr_kernarg_preload_length 0
		.amdhsa_user_sgpr_kernarg_preload_offset 0
		.amdhsa_user_sgpr_private_segment_size 0
		.amdhsa_uses_dynamic_stack 0
		.amdhsa_enable_private_segment 0
		.amdhsa_system_sgpr_workgroup_id_x 1
		.amdhsa_system_sgpr_workgroup_id_y 1
		.amdhsa_system_sgpr_workgroup_id_z 1
		.amdhsa_system_sgpr_workgroup_info 0
		.amdhsa_system_vgpr_workitem_id 1
		.amdhsa_next_free_vgpr 53
		.amdhsa_next_free_sgpr 36
		.amdhsa_accum_offset 56
		.amdhsa_reserve_vcc 1
		.amdhsa_float_round_mode_32 0
		.amdhsa_float_round_mode_16_64 0
		.amdhsa_float_denorm_mode_32 3
		.amdhsa_float_denorm_mode_16_64 3
		.amdhsa_dx10_clamp 1
		.amdhsa_ieee_mode 1
		.amdhsa_fp16_overflow 0
		.amdhsa_tg_split 0
		.amdhsa_exception_fp_ieee_invalid_op 0
		.amdhsa_exception_fp_denorm_src 0
		.amdhsa_exception_fp_ieee_div_zero 0
		.amdhsa_exception_fp_ieee_overflow 0
		.amdhsa_exception_fp_ieee_underflow 0
		.amdhsa_exception_fp_ieee_inexact 0
		.amdhsa_exception_int_div_zero 0
	.end_amdhsa_kernel
	.section	.text._ZL29rocblas_internal_gemmt_kernelIlLi16ELi32ELi8ELc67ELc78ELc76ELb1ELb0E19rocblas_complex_numIfES1_PKPKS1_PKPS1_EviT_T9_T10_S9_lSB_S9_lSA_T11_S9_li,"axG",@progbits,_ZL29rocblas_internal_gemmt_kernelIlLi16ELi32ELi8ELc67ELc78ELc76ELb1ELb0E19rocblas_complex_numIfES1_PKPKS1_PKPS1_EviT_T9_T10_S9_lSB_S9_lSA_T11_S9_li,comdat
.Lfunc_end537:
	.size	_ZL29rocblas_internal_gemmt_kernelIlLi16ELi32ELi8ELc67ELc78ELc76ELb1ELb0E19rocblas_complex_numIfES1_PKPKS1_PKPS1_EviT_T9_T10_S9_lSB_S9_lSA_T11_S9_li, .Lfunc_end537-_ZL29rocblas_internal_gemmt_kernelIlLi16ELi32ELi8ELc67ELc78ELc76ELb1ELb0E19rocblas_complex_numIfES1_PKPKS1_PKPS1_EviT_T9_T10_S9_lSB_S9_lSA_T11_S9_li
                                        ; -- End function
	.set _ZL29rocblas_internal_gemmt_kernelIlLi16ELi32ELi8ELc67ELc78ELc76ELb1ELb0E19rocblas_complex_numIfES1_PKPKS1_PKPS1_EviT_T9_T10_S9_lSB_S9_lSA_T11_S9_li.num_vgpr, 53
	.set _ZL29rocblas_internal_gemmt_kernelIlLi16ELi32ELi8ELc67ELc78ELc76ELb1ELb0E19rocblas_complex_numIfES1_PKPKS1_PKPS1_EviT_T9_T10_S9_lSB_S9_lSA_T11_S9_li.num_agpr, 0
	.set _ZL29rocblas_internal_gemmt_kernelIlLi16ELi32ELi8ELc67ELc78ELc76ELb1ELb0E19rocblas_complex_numIfES1_PKPKS1_PKPS1_EviT_T9_T10_S9_lSB_S9_lSA_T11_S9_li.numbered_sgpr, 36
	.set _ZL29rocblas_internal_gemmt_kernelIlLi16ELi32ELi8ELc67ELc78ELc76ELb1ELb0E19rocblas_complex_numIfES1_PKPKS1_PKPS1_EviT_T9_T10_S9_lSB_S9_lSA_T11_S9_li.num_named_barrier, 0
	.set _ZL29rocblas_internal_gemmt_kernelIlLi16ELi32ELi8ELc67ELc78ELc76ELb1ELb0E19rocblas_complex_numIfES1_PKPKS1_PKPS1_EviT_T9_T10_S9_lSB_S9_lSA_T11_S9_li.private_seg_size, 0
	.set _ZL29rocblas_internal_gemmt_kernelIlLi16ELi32ELi8ELc67ELc78ELc76ELb1ELb0E19rocblas_complex_numIfES1_PKPKS1_PKPS1_EviT_T9_T10_S9_lSB_S9_lSA_T11_S9_li.uses_vcc, 1
	.set _ZL29rocblas_internal_gemmt_kernelIlLi16ELi32ELi8ELc67ELc78ELc76ELb1ELb0E19rocblas_complex_numIfES1_PKPKS1_PKPS1_EviT_T9_T10_S9_lSB_S9_lSA_T11_S9_li.uses_flat_scratch, 0
	.set _ZL29rocblas_internal_gemmt_kernelIlLi16ELi32ELi8ELc67ELc78ELc76ELb1ELb0E19rocblas_complex_numIfES1_PKPKS1_PKPS1_EviT_T9_T10_S9_lSB_S9_lSA_T11_S9_li.has_dyn_sized_stack, 0
	.set _ZL29rocblas_internal_gemmt_kernelIlLi16ELi32ELi8ELc67ELc78ELc76ELb1ELb0E19rocblas_complex_numIfES1_PKPKS1_PKPS1_EviT_T9_T10_S9_lSB_S9_lSA_T11_S9_li.has_recursion, 0
	.set _ZL29rocblas_internal_gemmt_kernelIlLi16ELi32ELi8ELc67ELc78ELc76ELb1ELb0E19rocblas_complex_numIfES1_PKPKS1_PKPS1_EviT_T9_T10_S9_lSB_S9_lSA_T11_S9_li.has_indirect_call, 0
	.section	.AMDGPU.csdata,"",@progbits
; Kernel info:
; codeLenInByte = 2624
; TotalNumSgprs: 42
; NumVgprs: 53
; NumAgprs: 0
; TotalNumVgprs: 53
; ScratchSize: 0
; MemoryBound: 0
; FloatMode: 240
; IeeeMode: 1
; LDSByteSize: 4096 bytes/workgroup (compile time only)
; SGPRBlocks: 5
; VGPRBlocks: 6
; NumSGPRsForWavesPerEU: 42
; NumVGPRsForWavesPerEU: 53
; AccumOffset: 56
; Occupancy: 8
; WaveLimiterHint : 1
; COMPUTE_PGM_RSRC2:SCRATCH_EN: 0
; COMPUTE_PGM_RSRC2:USER_SGPR: 2
; COMPUTE_PGM_RSRC2:TRAP_HANDLER: 0
; COMPUTE_PGM_RSRC2:TGID_X_EN: 1
; COMPUTE_PGM_RSRC2:TGID_Y_EN: 1
; COMPUTE_PGM_RSRC2:TGID_Z_EN: 1
; COMPUTE_PGM_RSRC2:TIDIG_COMP_CNT: 1
; COMPUTE_PGM_RSRC3_GFX90A:ACCUM_OFFSET: 13
; COMPUTE_PGM_RSRC3_GFX90A:TG_SPLIT: 0
	.section	.text._ZL29rocblas_internal_gemmt_kernelIlLi16ELi32ELi8ELc67ELc84ELc76ELb1ELb0E19rocblas_complex_numIfES1_PKPKS1_PKPS1_EviT_T9_T10_S9_lSB_S9_lSA_T11_S9_li,"axG",@progbits,_ZL29rocblas_internal_gemmt_kernelIlLi16ELi32ELi8ELc67ELc84ELc76ELb1ELb0E19rocblas_complex_numIfES1_PKPKS1_PKPS1_EviT_T9_T10_S9_lSB_S9_lSA_T11_S9_li,comdat
	.globl	_ZL29rocblas_internal_gemmt_kernelIlLi16ELi32ELi8ELc67ELc84ELc76ELb1ELb0E19rocblas_complex_numIfES1_PKPKS1_PKPS1_EviT_T9_T10_S9_lSB_S9_lSA_T11_S9_li ; -- Begin function _ZL29rocblas_internal_gemmt_kernelIlLi16ELi32ELi8ELc67ELc84ELc76ELb1ELb0E19rocblas_complex_numIfES1_PKPKS1_PKPS1_EviT_T9_T10_S9_lSB_S9_lSA_T11_S9_li
	.p2align	8
	.type	_ZL29rocblas_internal_gemmt_kernelIlLi16ELi32ELi8ELc67ELc84ELc76ELb1ELb0E19rocblas_complex_numIfES1_PKPKS1_PKPS1_EviT_T9_T10_S9_lSB_S9_lSA_T11_S9_li,@function
_ZL29rocblas_internal_gemmt_kernelIlLi16ELi32ELi8ELc67ELc84ELc76ELb1ELb0E19rocblas_complex_numIfES1_PKPKS1_PKPS1_EviT_T9_T10_S9_lSB_S9_lSA_T11_S9_li: ; @_ZL29rocblas_internal_gemmt_kernelIlLi16ELi32ELi8ELc67ELc84ELc76ELb1ELb0E19rocblas_complex_numIfES1_PKPKS1_PKPS1_EviT_T9_T10_S9_lSB_S9_lSA_T11_S9_li
; %bb.0:
	s_load_dwordx2 s[20:21], s[0:1], 0x48
	s_load_dwordx2 s[22:23], s[0:1], 0x10
	s_waitcnt lgkmcnt(0)
	s_and_b32 s5, s21, 0x7fffffff
	s_cmp_eq_u32 s5, 0
	v_cmp_eq_f32_e64 s[6:7], s20, 1.0
	s_cselect_b64 s[24:25], -1, 0
	s_and_b64 s[6:7], s[6:7], s[24:25]
	s_and_b64 vcc, exec, s[6:7]
	s_cbranch_vccnz .LBB538_2
; %bb.1:
	s_mov_b64 s[6:7], -1
	s_load_dwordx2 s[26:27], s[0:1], 0x8
	s_cbranch_execz .LBB538_3
	s_branch .LBB538_4
.LBB538_2:
	s_mov_b64 s[6:7], 0
	s_load_dwordx2 s[26:27], s[0:1], 0x8
.LBB538_3:
	s_waitcnt lgkmcnt(0)
	s_cmp_lg_u64 s[26:27], 0
	v_cmp_neq_f32_e64 s[8:9], s22, 0
	v_cmp_neq_f32_e64 s[10:11], s23, 0
	s_cselect_b64 s[6:7], -1, 0
	s_or_b64 s[8:9], s[8:9], s[10:11]
	s_and_b64 s[6:7], s[6:7], s[8:9]
.LBB538_4:
	s_andn2_b64 vcc, exec, s[6:7]
	s_cbranch_vccnz .LBB538_32
; %bb.5:
	s_load_dwordx2 s[28:29], s[0:1], 0x60
	s_load_dword s33, s[0:1], 0x0
	s_load_dwordx4 s[12:15], s[0:1], 0x50
	s_mov_b32 s5, 0
	s_lshl_b64 s[30:31], s[4:5], 3
	v_and_b32_e32 v9, 0x3ff, v0
	v_bfe_u32 v11, v0, 10, 10
	s_waitcnt lgkmcnt(0)
	s_add_u32 s4, s12, s30
	s_addc_u32 s5, s13, s31
	s_load_dwordx2 s[12:13], s[4:5], 0x0
	s_lshl_b32 s34, s2, 5
	s_lshl_b32 s35, s3, 5
	v_cmp_eq_f32_e64 s[2:3], s22, 0
	v_cmp_eq_f32_e64 s[4:5], s23, 0
	s_and_b64 s[2:3], s[2:3], s[4:5]
	v_cmp_lt_i64_e64 s[4:5], s[26:27], 1
	s_or_b64 s[2:3], s[2:3], s[4:5]
	v_mov_b32_e32 v32, 0
	s_and_b64 vcc, exec, s[2:3]
	v_mov_b32_e32 v34, 0
	v_mov_b32_e32 v28, 0
	;; [unrolled: 1-line block ×7, first 2 shown]
	s_cbranch_vccnz .LBB538_16
; %bb.6:
	s_load_dwordx8 s[4:11], s[0:1], 0x18
	s_load_dwordx4 s[16:19], s[0:1], 0x38
	v_lshl_add_u32 v0, v11, 4, v9
	v_and_b32_e32 v2, 31, v0
	v_lshrrev_b32_e32 v10, 5, v0
	s_waitcnt lgkmcnt(0)
	s_add_u32 s0, s10, s30
	s_addc_u32 s1, s11, s31
	s_load_dwordx2 s[0:1], s[0:1], 0x0
	s_lshl_b64 s[2:3], s[18:19], 3
	v_or_b32_e32 v3, s34, v2
	v_lshlrev_b32_e32 v2, 3, v2
	v_lshl_or_b32 v21, v10, 8, v2
	s_waitcnt lgkmcnt(0)
	s_add_u32 s10, s0, s2
	s_addc_u32 s11, s1, s3
	s_add_u32 s0, s4, s30
	s_addc_u32 s1, s5, s31
	s_load_dwordx2 s[2:3], s[0:1], 0x0
	s_lshl_b64 s[8:9], s[8:9], 3
	v_cmp_gt_i32_e64 s[0:1], s33, v3
	v_cmp_le_i32_e64 s[4:5], s33, v3
	v_mul_lo_u32 v4, s7, v3
	s_waitcnt lgkmcnt(0)
	s_add_u32 s2, s2, s8
	s_addc_u32 s3, s3, s9
	s_ashr_i32 s18, s34, 31
	v_mad_u64_u32 v[2:3], s[8:9], s6, v3, 0
	s_mul_i32 s6, s6, s18
	v_and_b32_e32 v8, 7, v9
	v_add3_u32 v3, v3, s6, v4
	v_lshrrev_b32_e32 v1, 3, v0
	v_lshl_add_u64 v[12:13], v[2:3], 3, s[2:3]
	v_lshlrev_b32_e32 v2, 3, v8
	v_add_u32_e32 v0, s35, v1
	v_lshl_or_b32 v1, v1, 6, v2
	v_add_u32_e32 v23, 0x800, v1
	v_ashrrev_i32_e32 v1, 31, v0
	v_cmp_gt_i32_e64 s[2:3], s33, v0
	v_lshl_add_u64 v[14:15], v[0:1], 3, s[10:11]
	v_mov_b32_e32 v0, 0x800
	v_lshlrev_b32_e32 v25, 3, v9
	v_lshl_add_u32 v27, v11, 6, v0
	v_mov_b32_e32 v17, 0
	s_mov_b64 s[6:7], 0
	v_mov_b32_e32 v22, 0
	v_mov_b32_e32 v20, 0
	;; [unrolled: 1-line block ×8, first 2 shown]
                                        ; implicit-def: $vgpr18_vgpr19
	s_branch .LBB538_8
.LBB538_7:                              ;   in Loop: Header=BB538_8 Depth=1
	s_or_b64 exec, exec, s[8:9]
	s_waitcnt vmcnt(0) lgkmcnt(0)
	ds_write_b64 v23, v[2:3]
	s_waitcnt lgkmcnt(0)
	s_barrier
	ds_read2_b64 v[36:39], v25 offset1:16
	ds_read_b128 v[40:43], v27
	ds_read_b128 v[44:47], v27 offset:16
	ds_read_b128 v[4:7], v27 offset:32
	;; [unrolled: 1-line block ×3, first 2 shown]
	s_add_u32 s6, s6, 8
	s_waitcnt lgkmcnt(3)
	v_mul_f32_e32 v16, v41, v37
	v_mul_f32_e32 v29, v40, v37
	v_fma_f32 v16, v40, v36, -v16
	v_fmac_f32_e32 v29, v41, v36
	v_add_f32_e32 v16, v32, v16
	v_add_f32_e32 v52, v34, v29
	ds_read_b128 v[32:35], v27 offset:1024
	v_mul_f32_e32 v29, v41, v39
	v_mul_f32_e32 v31, v40, v39
	v_fma_f32 v29, v40, v38, -v29
	v_fmac_f32_e32 v31, v41, v38
	v_add_f32_e32 v40, v28, v29
	v_add_f32_e32 v41, v30, v31
	ds_read_b128 v[28:31], v27 offset:1040
	s_waitcnt lgkmcnt(1)
	v_mul_f32_e32 v48, v33, v37
	v_fma_f32 v48, v32, v36, -v48
	v_add_f32_e32 v24, v24, v48
	ds_read2_b64 v[48:51], v25 offset0:32 offset1:48
	v_mul_f32_e32 v37, v32, v37
	v_fmac_f32_e32 v37, v33, v36
	v_mul_f32_e32 v36, v33, v39
	v_fma_f32 v36, v32, v38, -v36
	v_mul_f32_e32 v32, v32, v39
	v_fmac_f32_e32 v32, v33, v38
	v_add_f32_e32 v22, v22, v32
	s_waitcnt lgkmcnt(0)
	v_mul_f32_e32 v32, v43, v49
	v_mul_f32_e32 v33, v42, v49
	v_fma_f32 v32, v42, v48, -v32
	v_fmac_f32_e32 v33, v43, v48
	v_add_f32_e32 v20, v20, v36
	v_add_f32_e32 v16, v16, v32
	;; [unrolled: 1-line block ×3, first 2 shown]
	v_mul_f32_e32 v33, v43, v51
	v_mul_f32_e32 v36, v42, v51
	v_fma_f32 v33, v42, v50, -v33
	v_fmac_f32_e32 v36, v43, v50
	v_add_f32_e32 v33, v40, v33
	v_add_f32_e32 v40, v41, v36
	v_mul_f32_e32 v36, v35, v49
	v_add_f32_e32 v26, v26, v37
	v_fma_f32 v36, v34, v48, -v36
	v_mul_f32_e32 v37, v34, v49
	v_fmac_f32_e32 v37, v35, v48
	v_add_f32_e32 v24, v24, v36
	v_mul_f32_e32 v36, v35, v51
	v_add_f32_e32 v26, v26, v37
	v_fma_f32 v41, v34, v50, -v36
	ds_read2_b64 v[36:39], v25 offset0:64 offset1:80
	v_mul_f32_e32 v34, v34, v51
	v_fmac_f32_e32 v34, v35, v50
	v_add_f32_e32 v20, v20, v41
	v_add_f32_e32 v22, v22, v34
	s_waitcnt lgkmcnt(0)
	v_mul_f32_e32 v35, v44, v37
	v_fmac_f32_e32 v35, v45, v36
	v_add_f32_e32 v41, v32, v35
	v_mul_f32_e32 v32, v45, v39
	v_mul_f32_e32 v34, v45, v37
	v_fma_f32 v32, v44, v38, -v32
	v_fma_f32 v34, v44, v36, -v34
	v_add_f32_e32 v42, v33, v32
	v_mul_f32_e32 v32, v29, v37
	v_add_f32_e32 v16, v16, v34
	v_mul_f32_e32 v34, v44, v39
	v_fma_f32 v32, v28, v36, -v32
	v_mul_f32_e32 v33, v28, v37
	v_fmac_f32_e32 v34, v45, v38
	v_fmac_f32_e32 v33, v29, v36
	v_add_f32_e32 v24, v24, v32
	v_mul_f32_e32 v32, v29, v39
	v_add_f32_e32 v40, v40, v34
	v_add_f32_e32 v26, v26, v33
	v_fma_f32 v36, v28, v38, -v32
	ds_read2_b64 v[32:35], v25 offset0:96 offset1:112
	v_mul_f32_e32 v28, v28, v39
	v_fmac_f32_e32 v28, v29, v38
	v_add_f32_e32 v22, v22, v28
	v_add_f32_e32 v20, v20, v36
	s_waitcnt lgkmcnt(0)
	v_mul_f32_e32 v28, v47, v33
	v_mul_f32_e32 v29, v46, v33
	v_fma_f32 v28, v46, v32, -v28
	v_fmac_f32_e32 v29, v47, v32
	v_add_f32_e32 v16, v16, v28
	v_add_f32_e32 v28, v41, v29
	v_mul_f32_e32 v29, v47, v35
	v_mul_f32_e32 v36, v46, v35
	v_fma_f32 v29, v46, v34, -v29
	v_fmac_f32_e32 v36, v47, v34
	v_add_f32_e32 v41, v42, v29
	v_add_f32_e32 v40, v40, v36
	v_mul_f32_e32 v29, v31, v33
	ds_read2_b64 v[36:39], v25 offset0:128 offset1:144
	v_fma_f32 v29, v30, v32, -v29
	v_add_f32_e32 v24, v24, v29
	v_mul_f32_e32 v29, v31, v35
	v_mul_f32_e32 v33, v30, v33
	v_fma_f32 v29, v30, v34, -v29
	v_mul_f32_e32 v30, v30, v35
	v_fmac_f32_e32 v30, v31, v34
	v_add_f32_e32 v22, v22, v30
	s_waitcnt lgkmcnt(0)
	v_mul_f32_e32 v30, v4, v37
	v_add_f32_e32 v20, v20, v29
	v_mul_f32_e32 v29, v5, v37
	v_fmac_f32_e32 v30, v5, v36
	v_fma_f32 v29, v4, v36, -v29
	v_add_f32_e32 v44, v28, v30
	v_mul_f32_e32 v28, v5, v39
	v_fmac_f32_e32 v33, v31, v32
	v_add_f32_e32 v16, v16, v29
	v_fma_f32 v32, v4, v38, -v28
	ds_read_b128 v[28:31], v27 offset:1056
	v_mul_f32_e32 v4, v4, v39
	v_fmac_f32_e32 v4, v5, v38
	v_add_f32_e32 v5, v41, v32
	v_add_f32_e32 v4, v40, v4
	ds_read_b128 v[40:43], v27 offset:1072
	s_waitcnt lgkmcnt(1)
	v_mul_f32_e32 v32, v29, v37
	v_add_f32_e32 v26, v26, v33
	v_fma_f32 v32, v28, v36, -v32
	v_mul_f32_e32 v33, v28, v37
	v_fmac_f32_e32 v33, v29, v36
	v_add_f32_e32 v24, v24, v32
	v_mul_f32_e32 v32, v29, v39
	v_add_f32_e32 v26, v26, v33
	v_fma_f32 v36, v28, v38, -v32
	ds_read2_b64 v[32:35], v25 offset0:160 offset1:176
	v_mul_f32_e32 v28, v28, v39
	v_fmac_f32_e32 v28, v29, v38
	v_add_f32_e32 v22, v22, v28
	v_add_f32_e32 v20, v20, v36
	s_waitcnt lgkmcnt(0)
	v_mul_f32_e32 v28, v7, v33
	v_mul_f32_e32 v29, v6, v33
	v_fma_f32 v28, v6, v32, -v28
	v_fmac_f32_e32 v29, v7, v32
	v_add_f32_e32 v16, v16, v28
	v_add_f32_e32 v28, v44, v29
	v_mul_f32_e32 v29, v7, v35
	v_fma_f32 v29, v6, v34, -v29
	v_mul_f32_e32 v6, v6, v35
	v_fmac_f32_e32 v6, v7, v34
	v_add_f32_e32 v36, v4, v6
	v_mul_f32_e32 v4, v31, v33
	v_add_f32_e32 v29, v5, v29
	v_fma_f32 v4, v30, v32, -v4
	v_mul_f32_e32 v5, v30, v33
	v_fmac_f32_e32 v5, v31, v32
	v_add_f32_e32 v24, v24, v4
	v_mul_f32_e32 v4, v31, v35
	v_add_f32_e32 v26, v26, v5
	v_fma_f32 v32, v30, v34, -v4
	ds_read2_b64 v[4:7], v25 offset0:192 offset1:208
	v_mul_f32_e32 v30, v30, v35
	v_fmac_f32_e32 v30, v31, v34
	v_add_f32_e32 v22, v22, v30
	v_add_f32_e32 v20, v20, v32
	s_waitcnt lgkmcnt(0)
	v_mul_f32_e32 v30, v1, v5
	v_fma_f32 v30, v0, v4, -v30
	v_add_f32_e32 v16, v16, v30
	v_mul_f32_e32 v30, v1, v7
	v_mul_f32_e32 v31, v0, v5
	v_fma_f32 v30, v0, v6, -v30
	v_mul_f32_e32 v0, v0, v7
	v_fmac_f32_e32 v0, v1, v6
	v_add_f32_e32 v0, v36, v0
	ds_read2_b64 v[36:39], v25 offset0:224 offset1:240
	v_fmac_f32_e32 v31, v1, v4
	v_add_f32_e32 v1, v29, v30
	v_mul_f32_e32 v29, v41, v5
	v_fma_f32 v29, v40, v4, -v29
	v_mul_f32_e32 v5, v40, v5
	v_fmac_f32_e32 v5, v41, v4
	v_add_f32_e32 v4, v24, v29
	v_mul_f32_e32 v24, v41, v7
	v_fma_f32 v24, v40, v6, -v24
	v_mul_f32_e32 v7, v40, v7
	v_fmac_f32_e32 v7, v41, v6
	v_add_f32_e32 v6, v20, v24
	s_waitcnt lgkmcnt(0)
	v_mul_f32_e32 v20, v3, v37
	v_fma_f32 v20, v2, v36, -v20
	v_add_f32_e32 v32, v16, v20
	v_mul_f32_e32 v16, v3, v39
	v_add_f32_e32 v7, v22, v7
	v_mul_f32_e32 v22, v2, v37
	v_fma_f32 v16, v2, v38, -v16
	v_mul_f32_e32 v2, v2, v39
	v_add_f32_e32 v28, v28, v31
	v_fmac_f32_e32 v22, v3, v36
	v_fmac_f32_e32 v2, v3, v38
	v_add_f32_e32 v34, v28, v22
	v_add_f32_e32 v28, v1, v16
	;; [unrolled: 1-line block ×3, first 2 shown]
	v_mul_f32_e32 v0, v43, v37
	v_mul_f32_e32 v1, v42, v37
	v_add_f32_e32 v5, v26, v5
	v_fma_f32 v0, v42, v36, -v0
	v_fmac_f32_e32 v1, v43, v36
	v_add_f32_e32 v24, v4, v0
	v_add_f32_e32 v26, v5, v1
	v_mul_f32_e32 v0, v43, v39
	v_mul_f32_e32 v1, v42, v39
	v_fma_f32 v0, v42, v38, -v0
	v_fmac_f32_e32 v1, v43, v38
	s_addc_u32 s7, s7, 0
	v_add_f32_e32 v20, v6, v0
	v_add_f32_e32 v22, v7, v1
	v_mov_b64_e32 v[0:1], s[6:7]
	v_cmp_gt_i64_e32 vcc, s[26:27], v[0:1]
	s_barrier
	s_cbranch_vccz .LBB538_16
.LBB538_8:                              ; =>This Inner Loop Header: Depth=1
	s_mov_b64 s[18:19], s[4:5]
	s_mov_b64 s[8:9], 0
	s_and_saveexec_b64 s[10:11], s[0:1]
; %bb.9:                                ;   in Loop: Header=BB538_8 Depth=1
	v_add_u32_e32 v16, s6, v10
	v_cmp_le_u64_e32 vcc, s[26:27], v[16:17]
	s_andn2_b64 s[18:19], s[4:5], exec
	s_and_b64 s[30:31], vcc, exec
	s_mov_b64 s[8:9], exec
	s_or_b64 s[18:19], s[18:19], s[30:31]
	v_mov_b64_e32 v[18:19], v[16:17]
; %bb.10:                               ;   in Loop: Header=BB538_8 Depth=1
	s_or_b64 exec, exec, s[10:11]
	s_and_saveexec_b64 s[10:11], s[18:19]
	s_xor_b64 s[10:11], exec, s[10:11]
; %bb.11:                               ;   in Loop: Header=BB538_8 Depth=1
	ds_write_b32 v21, v17
	s_andn2_b64 s[8:9], s[8:9], exec
; %bb.12:                               ;   in Loop: Header=BB538_8 Depth=1
	s_or_b64 exec, exec, s[10:11]
	v_mov_b32_e32 v2, 0
	v_mov_b32_e32 v0, 0
	s_and_saveexec_b64 s[10:11], s[8:9]
	s_cbranch_execz .LBB538_14
; %bb.13:                               ;   in Loop: Header=BB538_8 Depth=1
	v_lshl_add_u64 v[0:1], v[18:19], 3, v[12:13]
	flat_load_dwordx2 v[4:5], v[0:1]
	s_waitcnt vmcnt(0) lgkmcnt(0)
	v_xor_b32_e32 v0, 0x80000000, v5
	ds_write_b32 v21, v4
.LBB538_14:                             ;   in Loop: Header=BB538_8 Depth=1
	s_or_b64 exec, exec, s[10:11]
	v_add_u32_e32 v16, s6, v8
	v_cmp_gt_u64_e32 vcc, s[26:27], v[16:17]
	s_and_b64 s[10:11], vcc, s[2:3]
	v_mov_b32_e32 v3, 0
	ds_write_b32 v21, v0 offset:4
	s_and_saveexec_b64 s[8:9], s[10:11]
	s_cbranch_execz .LBB538_7
; %bb.15:                               ;   in Loop: Header=BB538_8 Depth=1
	v_mad_u64_u32 v[0:1], s[10:11], s16, v16, 0
	v_mov_b32_e32 v2, v1
	v_mad_u64_u32 v[2:3], s[10:11], s17, v16, v[2:3]
	v_mov_b32_e32 v1, v2
	v_lshl_add_u64 v[0:1], v[0:1], 3, v[14:15]
	flat_load_dwordx2 v[2:3], v[0:1]
	s_branch .LBB538_7
.LBB538_16:
	s_lshl_b64 s[0:1], s[28:29], 3
	v_add_u32_e32 v10, s35, v11
	s_waitcnt lgkmcnt(0)
	s_add_u32 s6, s12, s0
	v_ashrrev_i32_e32 v1, 31, v10
	s_addc_u32 s7, s13, s1
	v_cmp_neq_f32_e64 s[0:1], s20, 0
	s_xor_b64 s[4:5], s[24:25], -1
	v_mul_lo_u32 v1, s14, v1
	v_mul_lo_u32 v4, s15, v10
	v_mad_u64_u32 v[2:3], s[2:3], s14, v10, 0
	v_add_u32_e32 v0, s34, v9
	v_add3_u32 v3, v3, v1, v4
	s_or_b64 s[0:1], s[0:1], s[4:5]
	v_lshl_add_u64 v[4:5], v[2:3], 3, s[6:7]
	v_cmp_le_i32_e32 vcc, v10, v0
	v_cmp_gt_i32_e64 s[2:3], s33, v0
	v_cndmask_b32_e64 v2, 0, 1, s[0:1]
	s_and_b64 s[8:9], vcc, s[2:3]
	v_ashrrev_i32_e32 v1, 31, v0
	v_cmp_ne_u32_e64 s[0:1], 1, v2
	s_and_saveexec_b64 s[4:5], s[8:9]
	s_cbranch_execz .LBB538_20
; %bb.17:
	v_pk_mul_f32 v[6:7], v[34:35], s[22:23] op_sel:[0,1] op_sel_hi:[0,0]
	v_pk_fma_f32 v[2:3], v[32:33], s[22:23], v[6:7] op_sel_hi:[0,1,1] neg_lo:[0,0,1] neg_hi:[0,0,1]
	v_pk_fma_f32 v[8:9], v[32:33], s[22:23], v[6:7] op_sel_hi:[0,1,1]
	s_and_b64 vcc, exec, s[0:1]
	v_lshl_add_u64 v[6:7], v[0:1], 3, v[4:5]
	s_cbranch_vccnz .LBB538_19
; %bb.18:
	flat_load_dwordx2 v[12:13], v[6:7]
	s_mov_b32 s8, s21
	v_mov_b32_e32 v3, v9
	s_waitcnt vmcnt(0) lgkmcnt(0)
	v_pk_mul_f32 v[8:9], v[12:13], s[8:9] op_sel:[1,0] op_sel_hi:[0,0]
	v_pk_fma_f32 v[14:15], v[12:13], s[20:21], v[8:9] neg_lo:[0,0,1] neg_hi:[0,0,1]
	v_pk_fma_f32 v[8:9], v[12:13], s[20:21], v[8:9] op_sel_hi:[1,0,1]
	s_nop 0
	v_mov_b32_e32 v15, v9
	v_pk_add_f32 v[2:3], v[2:3], v[14:15]
	s_nop 0
	v_mov_b32_e32 v9, v3
.LBB538_19:
	v_mov_b32_e32 v3, v9
	flat_store_dwordx2 v[6:7], v[2:3]
.LBB538_20:
	s_or_b64 exec, exec, s[4:5]
	v_add_u32_e32 v2, 16, v0
	v_cmp_le_i32_e32 vcc, v10, v2
	v_cmp_gt_i32_e64 s[4:5], s33, v2
	s_and_b64 s[10:11], vcc, s[4:5]
	v_ashrrev_i32_e32 v3, 31, v2
	s_and_saveexec_b64 s[8:9], s[10:11]
	s_cbranch_execz .LBB538_24
; %bb.21:
	v_pk_mul_f32 v[8:9], v[30:31], s[22:23] op_sel:[0,1] op_sel_hi:[0,0]
	v_pk_fma_f32 v[6:7], v[28:29], s[22:23], v[8:9] op_sel_hi:[0,1,1] neg_lo:[0,0,1] neg_hi:[0,0,1]
	v_pk_fma_f32 v[8:9], v[28:29], s[22:23], v[8:9] op_sel_hi:[0,1,1]
	s_and_b64 vcc, exec, s[0:1]
	v_lshl_add_u64 v[4:5], v[2:3], 3, v[4:5]
	s_cbranch_vccnz .LBB538_23
; %bb.22:
	flat_load_dwordx2 v[12:13], v[4:5]
	s_mov_b32 s10, s21
	v_mov_b32_e32 v7, v9
	s_waitcnt vmcnt(0) lgkmcnt(0)
	v_pk_mul_f32 v[8:9], v[12:13], s[10:11] op_sel:[1,0] op_sel_hi:[0,0]
	v_pk_fma_f32 v[14:15], v[12:13], s[20:21], v[8:9] neg_lo:[0,0,1] neg_hi:[0,0,1]
	v_pk_fma_f32 v[8:9], v[12:13], s[20:21], v[8:9] op_sel_hi:[1,0,1]
	s_nop 0
	v_mov_b32_e32 v15, v9
	v_pk_add_f32 v[6:7], v[6:7], v[14:15]
	s_nop 0
	v_mov_b32_e32 v9, v7
.LBB538_23:
	v_mov_b32_e32 v7, v9
	flat_store_dwordx2 v[4:5], v[6:7]
.LBB538_24:
	s_or_b64 exec, exec, s[8:9]
	v_add_u32_e32 v10, 16, v10
	v_ashrrev_i32_e32 v4, 31, v10
	v_mul_lo_u32 v6, s14, v4
	v_mul_lo_u32 v7, s15, v10
	v_mad_u64_u32 v[4:5], s[8:9], s14, v10, 0
	v_add3_u32 v5, v5, v6, v7
	v_cmp_le_i32_e32 vcc, v10, v0
	v_lshl_add_u64 v[4:5], v[4:5], 3, s[6:7]
	s_and_b64 s[6:7], vcc, s[2:3]
	s_and_saveexec_b64 s[2:3], s[6:7]
	s_cbranch_execz .LBB538_28
; %bb.25:
	v_pk_mul_f32 v[8:9], v[26:27], s[22:23] op_sel:[0,1] op_sel_hi:[0,0]
	v_pk_fma_f32 v[6:7], v[24:25], s[22:23], v[8:9] op_sel_hi:[0,1,1] neg_lo:[0,0,1] neg_hi:[0,0,1]
	v_pk_fma_f32 v[8:9], v[24:25], s[22:23], v[8:9] op_sel_hi:[0,1,1]
	s_and_b64 vcc, exec, s[0:1]
	v_lshl_add_u64 v[0:1], v[0:1], 3, v[4:5]
	s_cbranch_vccnz .LBB538_27
; %bb.26:
	flat_load_dwordx2 v[12:13], v[0:1]
	s_mov_b32 s6, s21
	v_mov_b32_e32 v7, v9
	s_waitcnt vmcnt(0) lgkmcnt(0)
	v_pk_mul_f32 v[8:9], v[12:13], s[6:7] op_sel:[1,0] op_sel_hi:[0,0]
	v_pk_fma_f32 v[14:15], v[12:13], s[20:21], v[8:9] neg_lo:[0,0,1] neg_hi:[0,0,1]
	v_pk_fma_f32 v[8:9], v[12:13], s[20:21], v[8:9] op_sel_hi:[1,0,1]
	s_nop 0
	v_mov_b32_e32 v15, v9
	v_pk_add_f32 v[6:7], v[6:7], v[14:15]
	s_nop 0
	v_mov_b32_e32 v9, v7
.LBB538_27:
	v_mov_b32_e32 v7, v9
	flat_store_dwordx2 v[0:1], v[6:7]
.LBB538_28:
	s_or_b64 exec, exec, s[2:3]
	v_cmp_le_i32_e32 vcc, v10, v2
	s_and_b64 s[2:3], vcc, s[4:5]
	s_and_saveexec_b64 s[4:5], s[2:3]
	s_cbranch_execz .LBB538_32
; %bb.29:
	v_pk_mul_f32 v[6:7], v[22:23], s[22:23] op_sel:[0,1] op_sel_hi:[0,0]
	v_pk_fma_f32 v[0:1], v[20:21], s[22:23], v[6:7] op_sel_hi:[0,1,1] neg_lo:[0,0,1] neg_hi:[0,0,1]
	v_pk_fma_f32 v[6:7], v[20:21], s[22:23], v[6:7] op_sel_hi:[0,1,1]
	s_and_b64 vcc, exec, s[0:1]
	v_lshl_add_u64 v[2:3], v[2:3], 3, v[4:5]
	s_cbranch_vccnz .LBB538_31
; %bb.30:
	flat_load_dwordx2 v[4:5], v[2:3]
	s_mov_b32 s0, s21
	v_mov_b32_e32 v1, v7
	s_waitcnt vmcnt(0) lgkmcnt(0)
	v_pk_mul_f32 v[6:7], v[4:5], s[0:1] op_sel:[1,0] op_sel_hi:[0,0]
	v_pk_fma_f32 v[8:9], v[4:5], s[20:21], v[6:7] neg_lo:[0,0,1] neg_hi:[0,0,1]
	v_pk_fma_f32 v[4:5], v[4:5], s[20:21], v[6:7] op_sel_hi:[1,0,1]
	s_nop 0
	v_mov_b32_e32 v9, v5
	v_pk_add_f32 v[0:1], v[0:1], v[8:9]
	s_nop 0
	v_mov_b32_e32 v7, v1
.LBB538_31:
	v_mov_b32_e32 v1, v7
	flat_store_dwordx2 v[2:3], v[0:1]
.LBB538_32:
	s_endpgm
	.section	.rodata,"a",@progbits
	.p2align	6, 0x0
	.amdhsa_kernel _ZL29rocblas_internal_gemmt_kernelIlLi16ELi32ELi8ELc67ELc84ELc76ELb1ELb0E19rocblas_complex_numIfES1_PKPKS1_PKPS1_EviT_T9_T10_S9_lSB_S9_lSA_T11_S9_li
		.amdhsa_group_segment_fixed_size 4096
		.amdhsa_private_segment_fixed_size 0
		.amdhsa_kernarg_size 108
		.amdhsa_user_sgpr_count 2
		.amdhsa_user_sgpr_dispatch_ptr 0
		.amdhsa_user_sgpr_queue_ptr 0
		.amdhsa_user_sgpr_kernarg_segment_ptr 1
		.amdhsa_user_sgpr_dispatch_id 0
		.amdhsa_user_sgpr_kernarg_preload_length 0
		.amdhsa_user_sgpr_kernarg_preload_offset 0
		.amdhsa_user_sgpr_private_segment_size 0
		.amdhsa_uses_dynamic_stack 0
		.amdhsa_enable_private_segment 0
		.amdhsa_system_sgpr_workgroup_id_x 1
		.amdhsa_system_sgpr_workgroup_id_y 1
		.amdhsa_system_sgpr_workgroup_id_z 1
		.amdhsa_system_sgpr_workgroup_info 0
		.amdhsa_system_vgpr_workitem_id 1
		.amdhsa_next_free_vgpr 53
		.amdhsa_next_free_sgpr 36
		.amdhsa_accum_offset 56
		.amdhsa_reserve_vcc 1
		.amdhsa_float_round_mode_32 0
		.amdhsa_float_round_mode_16_64 0
		.amdhsa_float_denorm_mode_32 3
		.amdhsa_float_denorm_mode_16_64 3
		.amdhsa_dx10_clamp 1
		.amdhsa_ieee_mode 1
		.amdhsa_fp16_overflow 0
		.amdhsa_tg_split 0
		.amdhsa_exception_fp_ieee_invalid_op 0
		.amdhsa_exception_fp_denorm_src 0
		.amdhsa_exception_fp_ieee_div_zero 0
		.amdhsa_exception_fp_ieee_overflow 0
		.amdhsa_exception_fp_ieee_underflow 0
		.amdhsa_exception_fp_ieee_inexact 0
		.amdhsa_exception_int_div_zero 0
	.end_amdhsa_kernel
	.section	.text._ZL29rocblas_internal_gemmt_kernelIlLi16ELi32ELi8ELc67ELc84ELc76ELb1ELb0E19rocblas_complex_numIfES1_PKPKS1_PKPS1_EviT_T9_T10_S9_lSB_S9_lSA_T11_S9_li,"axG",@progbits,_ZL29rocblas_internal_gemmt_kernelIlLi16ELi32ELi8ELc67ELc84ELc76ELb1ELb0E19rocblas_complex_numIfES1_PKPKS1_PKPS1_EviT_T9_T10_S9_lSB_S9_lSA_T11_S9_li,comdat
.Lfunc_end538:
	.size	_ZL29rocblas_internal_gemmt_kernelIlLi16ELi32ELi8ELc67ELc84ELc76ELb1ELb0E19rocblas_complex_numIfES1_PKPKS1_PKPS1_EviT_T9_T10_S9_lSB_S9_lSA_T11_S9_li, .Lfunc_end538-_ZL29rocblas_internal_gemmt_kernelIlLi16ELi32ELi8ELc67ELc84ELc76ELb1ELb0E19rocblas_complex_numIfES1_PKPKS1_PKPS1_EviT_T9_T10_S9_lSB_S9_lSA_T11_S9_li
                                        ; -- End function
	.set _ZL29rocblas_internal_gemmt_kernelIlLi16ELi32ELi8ELc67ELc84ELc76ELb1ELb0E19rocblas_complex_numIfES1_PKPKS1_PKPS1_EviT_T9_T10_S9_lSB_S9_lSA_T11_S9_li.num_vgpr, 53
	.set _ZL29rocblas_internal_gemmt_kernelIlLi16ELi32ELi8ELc67ELc84ELc76ELb1ELb0E19rocblas_complex_numIfES1_PKPKS1_PKPS1_EviT_T9_T10_S9_lSB_S9_lSA_T11_S9_li.num_agpr, 0
	.set _ZL29rocblas_internal_gemmt_kernelIlLi16ELi32ELi8ELc67ELc84ELc76ELb1ELb0E19rocblas_complex_numIfES1_PKPKS1_PKPS1_EviT_T9_T10_S9_lSB_S9_lSA_T11_S9_li.numbered_sgpr, 36
	.set _ZL29rocblas_internal_gemmt_kernelIlLi16ELi32ELi8ELc67ELc84ELc76ELb1ELb0E19rocblas_complex_numIfES1_PKPKS1_PKPS1_EviT_T9_T10_S9_lSB_S9_lSA_T11_S9_li.num_named_barrier, 0
	.set _ZL29rocblas_internal_gemmt_kernelIlLi16ELi32ELi8ELc67ELc84ELc76ELb1ELb0E19rocblas_complex_numIfES1_PKPKS1_PKPS1_EviT_T9_T10_S9_lSB_S9_lSA_T11_S9_li.private_seg_size, 0
	.set _ZL29rocblas_internal_gemmt_kernelIlLi16ELi32ELi8ELc67ELc84ELc76ELb1ELb0E19rocblas_complex_numIfES1_PKPKS1_PKPS1_EviT_T9_T10_S9_lSB_S9_lSA_T11_S9_li.uses_vcc, 1
	.set _ZL29rocblas_internal_gemmt_kernelIlLi16ELi32ELi8ELc67ELc84ELc76ELb1ELb0E19rocblas_complex_numIfES1_PKPKS1_PKPS1_EviT_T9_T10_S9_lSB_S9_lSA_T11_S9_li.uses_flat_scratch, 0
	.set _ZL29rocblas_internal_gemmt_kernelIlLi16ELi32ELi8ELc67ELc84ELc76ELb1ELb0E19rocblas_complex_numIfES1_PKPKS1_PKPS1_EviT_T9_T10_S9_lSB_S9_lSA_T11_S9_li.has_dyn_sized_stack, 0
	.set _ZL29rocblas_internal_gemmt_kernelIlLi16ELi32ELi8ELc67ELc84ELc76ELb1ELb0E19rocblas_complex_numIfES1_PKPKS1_PKPS1_EviT_T9_T10_S9_lSB_S9_lSA_T11_S9_li.has_recursion, 0
	.set _ZL29rocblas_internal_gemmt_kernelIlLi16ELi32ELi8ELc67ELc84ELc76ELb1ELb0E19rocblas_complex_numIfES1_PKPKS1_PKPS1_EviT_T9_T10_S9_lSB_S9_lSA_T11_S9_li.has_indirect_call, 0
	.section	.AMDGPU.csdata,"",@progbits
; Kernel info:
; codeLenInByte = 2616
; TotalNumSgprs: 42
; NumVgprs: 53
; NumAgprs: 0
; TotalNumVgprs: 53
; ScratchSize: 0
; MemoryBound: 0
; FloatMode: 240
; IeeeMode: 1
; LDSByteSize: 4096 bytes/workgroup (compile time only)
; SGPRBlocks: 5
; VGPRBlocks: 6
; NumSGPRsForWavesPerEU: 42
; NumVGPRsForWavesPerEU: 53
; AccumOffset: 56
; Occupancy: 8
; WaveLimiterHint : 1
; COMPUTE_PGM_RSRC2:SCRATCH_EN: 0
; COMPUTE_PGM_RSRC2:USER_SGPR: 2
; COMPUTE_PGM_RSRC2:TRAP_HANDLER: 0
; COMPUTE_PGM_RSRC2:TGID_X_EN: 1
; COMPUTE_PGM_RSRC2:TGID_Y_EN: 1
; COMPUTE_PGM_RSRC2:TGID_Z_EN: 1
; COMPUTE_PGM_RSRC2:TIDIG_COMP_CNT: 1
; COMPUTE_PGM_RSRC3_GFX90A:ACCUM_OFFSET: 13
; COMPUTE_PGM_RSRC3_GFX90A:TG_SPLIT: 0
	.section	.text._ZL29rocblas_internal_gemmt_kernelIlLi16ELi32ELi8ELc67ELc67ELc76ELb1ELb1E19rocblas_complex_numIfES1_PKPKS1_PKPS1_EviT_T9_T10_S9_lSB_S9_lSA_T11_S9_li,"axG",@progbits,_ZL29rocblas_internal_gemmt_kernelIlLi16ELi32ELi8ELc67ELc67ELc76ELb1ELb1E19rocblas_complex_numIfES1_PKPKS1_PKPS1_EviT_T9_T10_S9_lSB_S9_lSA_T11_S9_li,comdat
	.globl	_ZL29rocblas_internal_gemmt_kernelIlLi16ELi32ELi8ELc67ELc67ELc76ELb1ELb1E19rocblas_complex_numIfES1_PKPKS1_PKPS1_EviT_T9_T10_S9_lSB_S9_lSA_T11_S9_li ; -- Begin function _ZL29rocblas_internal_gemmt_kernelIlLi16ELi32ELi8ELc67ELc67ELc76ELb1ELb1E19rocblas_complex_numIfES1_PKPKS1_PKPS1_EviT_T9_T10_S9_lSB_S9_lSA_T11_S9_li
	.p2align	8
	.type	_ZL29rocblas_internal_gemmt_kernelIlLi16ELi32ELi8ELc67ELc67ELc76ELb1ELb1E19rocblas_complex_numIfES1_PKPKS1_PKPS1_EviT_T9_T10_S9_lSB_S9_lSA_T11_S9_li,@function
_ZL29rocblas_internal_gemmt_kernelIlLi16ELi32ELi8ELc67ELc67ELc76ELb1ELb1E19rocblas_complex_numIfES1_PKPKS1_PKPS1_EviT_T9_T10_S9_lSB_S9_lSA_T11_S9_li: ; @_ZL29rocblas_internal_gemmt_kernelIlLi16ELi32ELi8ELc67ELc67ELc76ELb1ELb1E19rocblas_complex_numIfES1_PKPKS1_PKPS1_EviT_T9_T10_S9_lSB_S9_lSA_T11_S9_li
; %bb.0:
	s_load_dwordx2 s[20:21], s[0:1], 0x48
	s_load_dwordx2 s[22:23], s[0:1], 0x10
	s_waitcnt lgkmcnt(0)
	s_and_b32 s5, s21, 0x7fffffff
	s_cmp_eq_u32 s5, 0
	v_cmp_eq_f32_e64 s[6:7], s20, 1.0
	s_cselect_b64 s[24:25], -1, 0
	s_and_b64 s[6:7], s[6:7], s[24:25]
	s_and_b64 vcc, exec, s[6:7]
	s_cbranch_vccnz .LBB539_2
; %bb.1:
	s_mov_b64 s[6:7], -1
	s_load_dwordx2 s[26:27], s[0:1], 0x8
	s_cbranch_execz .LBB539_3
	s_branch .LBB539_4
.LBB539_2:
	s_mov_b64 s[6:7], 0
	s_load_dwordx2 s[26:27], s[0:1], 0x8
.LBB539_3:
	s_waitcnt lgkmcnt(0)
	s_cmp_lg_u64 s[26:27], 0
	v_cmp_neq_f32_e64 s[8:9], s22, 0
	v_cmp_neq_f32_e64 s[10:11], s23, 0
	s_cselect_b64 s[6:7], -1, 0
	s_or_b64 s[8:9], s[8:9], s[10:11]
	s_and_b64 s[6:7], s[6:7], s[8:9]
.LBB539_4:
	s_andn2_b64 vcc, exec, s[6:7]
	s_cbranch_vccnz .LBB539_34
; %bb.5:
	s_load_dwordx2 s[28:29], s[0:1], 0x60
	s_load_dword s33, s[0:1], 0x0
	s_load_dwordx4 s[12:15], s[0:1], 0x50
	s_mov_b32 s5, 0
	s_lshl_b64 s[30:31], s[4:5], 3
	v_and_b32_e32 v9, 0x3ff, v0
	v_bfe_u32 v11, v0, 10, 10
	s_waitcnt lgkmcnt(0)
	s_add_u32 s4, s12, s30
	s_addc_u32 s5, s13, s31
	s_load_dwordx2 s[12:13], s[4:5], 0x0
	s_lshl_b32 s34, s2, 5
	s_lshl_b32 s35, s3, 5
	v_cmp_eq_f32_e64 s[2:3], s22, 0
	v_cmp_eq_f32_e64 s[4:5], s23, 0
	s_and_b64 s[2:3], s[2:3], s[4:5]
	v_cmp_lt_i64_e64 s[4:5], s[26:27], 1
	s_or_b64 s[2:3], s[2:3], s[4:5]
	v_mov_b32_e32 v32, 0
	s_and_b64 vcc, exec, s[2:3]
	v_mov_b32_e32 v34, 0
	v_mov_b32_e32 v28, 0
	;; [unrolled: 1-line block ×7, first 2 shown]
	s_cbranch_vccnz .LBB539_18
; %bb.6:
	s_load_dwordx8 s[4:11], s[0:1], 0x18
	s_load_dwordx4 s[16:19], s[0:1], 0x38
	v_lshl_add_u32 v0, v11, 4, v9
	v_and_b32_e32 v2, 31, v0
	v_lshrrev_b32_e32 v10, 5, v0
	s_waitcnt lgkmcnt(0)
	s_add_u32 s0, s10, s30
	s_addc_u32 s1, s11, s31
	s_load_dwordx2 s[0:1], s[0:1], 0x0
	s_lshl_b64 s[2:3], s[18:19], 3
	v_or_b32_e32 v3, s34, v2
	v_lshlrev_b32_e32 v2, 3, v2
	v_lshl_or_b32 v21, v10, 8, v2
	s_waitcnt lgkmcnt(0)
	s_add_u32 s10, s0, s2
	s_addc_u32 s11, s1, s3
	s_add_u32 s0, s4, s30
	s_addc_u32 s1, s5, s31
	s_load_dwordx2 s[4:5], s[0:1], 0x0
	s_lshl_b64 s[8:9], s[8:9], 3
	v_cmp_gt_i32_e64 s[0:1], s33, v3
	v_cmp_le_i32_e64 s[2:3], s33, v3
	v_mul_lo_u32 v4, s7, v3
	s_waitcnt lgkmcnt(0)
	s_add_u32 s4, s4, s8
	s_addc_u32 s5, s5, s9
	s_ashr_i32 s18, s34, 31
	v_mad_u64_u32 v[2:3], s[8:9], s6, v3, 0
	s_mul_i32 s6, s6, s18
	v_and_b32_e32 v8, 7, v9
	v_add3_u32 v3, v3, s6, v4
	v_lshrrev_b32_e32 v1, 3, v0
	v_lshl_add_u64 v[12:13], v[2:3], 3, s[4:5]
	v_lshlrev_b32_e32 v2, 3, v8
	v_add_u32_e32 v0, s35, v1
	v_lshl_or_b32 v1, v1, 6, v2
	v_add_u32_e32 v23, 0x800, v1
	v_ashrrev_i32_e32 v1, 31, v0
	v_cmp_gt_i32_e32 vcc, s33, v0
	v_lshl_add_u64 v[14:15], v[0:1], 3, s[10:11]
	v_mov_b32_e32 v0, 0x800
	v_lshlrev_b32_e32 v25, 3, v9
	v_lshl_add_u32 v27, v11, 6, v0
	v_mov_b32_e32 v17, 0
	s_mov_b64 s[4:5], 0
	s_xor_b64 s[6:7], vcc, -1
	v_mov_b32_e32 v22, 0
	v_mov_b32_e32 v20, 0
	;; [unrolled: 1-line block ×8, first 2 shown]
                                        ; implicit-def: $vgpr18_vgpr19
	s_branch .LBB539_8
.LBB539_7:                              ;   in Loop: Header=BB539_8 Depth=1
	s_or_b64 exec, exec, s[8:9]
	ds_write_b32 v23, v0 offset:4
	s_waitcnt lgkmcnt(0)
	s_barrier
	ds_read2_b64 v[36:39], v25 offset1:16
	ds_read_b128 v[40:43], v27
	ds_read_b128 v[44:47], v27 offset:16
	ds_read_b128 v[4:7], v27 offset:32
	ds_read_b128 v[0:3], v27 offset:48
	s_add_u32 s4, s4, 8
	s_waitcnt lgkmcnt(3)
	v_mul_f32_e32 v16, v41, v37
	v_mul_f32_e32 v29, v40, v37
	v_fma_f32 v16, v40, v36, -v16
	v_fmac_f32_e32 v29, v41, v36
	v_add_f32_e32 v16, v32, v16
	v_add_f32_e32 v52, v34, v29
	ds_read_b128 v[32:35], v27 offset:1024
	v_mul_f32_e32 v29, v41, v39
	v_mul_f32_e32 v31, v40, v39
	v_fma_f32 v29, v40, v38, -v29
	v_fmac_f32_e32 v31, v41, v38
	v_add_f32_e32 v40, v28, v29
	v_add_f32_e32 v41, v30, v31
	ds_read_b128 v[28:31], v27 offset:1040
	s_waitcnt lgkmcnt(1)
	v_mul_f32_e32 v48, v33, v37
	v_fma_f32 v48, v32, v36, -v48
	v_add_f32_e32 v24, v24, v48
	ds_read2_b64 v[48:51], v25 offset0:32 offset1:48
	v_mul_f32_e32 v37, v32, v37
	v_fmac_f32_e32 v37, v33, v36
	v_mul_f32_e32 v36, v33, v39
	v_fma_f32 v36, v32, v38, -v36
	v_mul_f32_e32 v32, v32, v39
	v_fmac_f32_e32 v32, v33, v38
	v_add_f32_e32 v22, v22, v32
	s_waitcnt lgkmcnt(0)
	v_mul_f32_e32 v32, v43, v49
	v_mul_f32_e32 v33, v42, v49
	v_fma_f32 v32, v42, v48, -v32
	v_fmac_f32_e32 v33, v43, v48
	v_add_f32_e32 v20, v20, v36
	v_add_f32_e32 v16, v16, v32
	;; [unrolled: 1-line block ×3, first 2 shown]
	v_mul_f32_e32 v33, v43, v51
	v_mul_f32_e32 v36, v42, v51
	v_fma_f32 v33, v42, v50, -v33
	v_fmac_f32_e32 v36, v43, v50
	v_add_f32_e32 v33, v40, v33
	v_add_f32_e32 v40, v41, v36
	v_mul_f32_e32 v36, v35, v49
	v_add_f32_e32 v26, v26, v37
	v_fma_f32 v36, v34, v48, -v36
	v_mul_f32_e32 v37, v34, v49
	v_fmac_f32_e32 v37, v35, v48
	v_add_f32_e32 v24, v24, v36
	v_mul_f32_e32 v36, v35, v51
	v_add_f32_e32 v26, v26, v37
	v_fma_f32 v41, v34, v50, -v36
	ds_read2_b64 v[36:39], v25 offset0:64 offset1:80
	v_mul_f32_e32 v34, v34, v51
	v_fmac_f32_e32 v34, v35, v50
	v_add_f32_e32 v20, v20, v41
	v_add_f32_e32 v22, v22, v34
	s_waitcnt lgkmcnt(0)
	v_mul_f32_e32 v35, v44, v37
	v_fmac_f32_e32 v35, v45, v36
	v_add_f32_e32 v41, v32, v35
	v_mul_f32_e32 v32, v45, v39
	v_mul_f32_e32 v34, v45, v37
	v_fma_f32 v32, v44, v38, -v32
	v_fma_f32 v34, v44, v36, -v34
	v_add_f32_e32 v42, v33, v32
	v_mul_f32_e32 v32, v29, v37
	v_add_f32_e32 v16, v16, v34
	v_mul_f32_e32 v34, v44, v39
	v_fma_f32 v32, v28, v36, -v32
	v_mul_f32_e32 v33, v28, v37
	v_fmac_f32_e32 v34, v45, v38
	v_fmac_f32_e32 v33, v29, v36
	v_add_f32_e32 v24, v24, v32
	v_mul_f32_e32 v32, v29, v39
	v_add_f32_e32 v40, v40, v34
	v_add_f32_e32 v26, v26, v33
	v_fma_f32 v36, v28, v38, -v32
	ds_read2_b64 v[32:35], v25 offset0:96 offset1:112
	v_mul_f32_e32 v28, v28, v39
	v_fmac_f32_e32 v28, v29, v38
	v_add_f32_e32 v22, v22, v28
	v_add_f32_e32 v20, v20, v36
	s_waitcnt lgkmcnt(0)
	v_mul_f32_e32 v28, v47, v33
	v_mul_f32_e32 v29, v46, v33
	v_fma_f32 v28, v46, v32, -v28
	v_fmac_f32_e32 v29, v47, v32
	v_add_f32_e32 v16, v16, v28
	v_add_f32_e32 v28, v41, v29
	v_mul_f32_e32 v29, v47, v35
	v_mul_f32_e32 v36, v46, v35
	v_fma_f32 v29, v46, v34, -v29
	v_fmac_f32_e32 v36, v47, v34
	v_add_f32_e32 v41, v42, v29
	v_add_f32_e32 v40, v40, v36
	v_mul_f32_e32 v29, v31, v33
	ds_read2_b64 v[36:39], v25 offset0:128 offset1:144
	v_fma_f32 v29, v30, v32, -v29
	v_add_f32_e32 v24, v24, v29
	v_mul_f32_e32 v29, v31, v35
	v_mul_f32_e32 v33, v30, v33
	v_fma_f32 v29, v30, v34, -v29
	v_mul_f32_e32 v30, v30, v35
	v_fmac_f32_e32 v30, v31, v34
	v_add_f32_e32 v22, v22, v30
	s_waitcnt lgkmcnt(0)
	v_mul_f32_e32 v30, v4, v37
	v_add_f32_e32 v20, v20, v29
	v_mul_f32_e32 v29, v5, v37
	v_fmac_f32_e32 v30, v5, v36
	v_fma_f32 v29, v4, v36, -v29
	v_add_f32_e32 v44, v28, v30
	v_mul_f32_e32 v28, v5, v39
	v_fmac_f32_e32 v33, v31, v32
	v_add_f32_e32 v16, v16, v29
	v_fma_f32 v32, v4, v38, -v28
	ds_read_b128 v[28:31], v27 offset:1056
	v_mul_f32_e32 v4, v4, v39
	v_fmac_f32_e32 v4, v5, v38
	v_add_f32_e32 v5, v41, v32
	v_add_f32_e32 v4, v40, v4
	ds_read_b128 v[40:43], v27 offset:1072
	s_waitcnt lgkmcnt(1)
	v_mul_f32_e32 v32, v29, v37
	v_add_f32_e32 v26, v26, v33
	v_fma_f32 v32, v28, v36, -v32
	v_mul_f32_e32 v33, v28, v37
	v_fmac_f32_e32 v33, v29, v36
	v_add_f32_e32 v24, v24, v32
	v_mul_f32_e32 v32, v29, v39
	v_add_f32_e32 v26, v26, v33
	v_fma_f32 v36, v28, v38, -v32
	ds_read2_b64 v[32:35], v25 offset0:160 offset1:176
	v_mul_f32_e32 v28, v28, v39
	v_fmac_f32_e32 v28, v29, v38
	v_add_f32_e32 v22, v22, v28
	v_add_f32_e32 v20, v20, v36
	s_waitcnt lgkmcnt(0)
	v_mul_f32_e32 v28, v7, v33
	v_mul_f32_e32 v29, v6, v33
	v_fma_f32 v28, v6, v32, -v28
	v_fmac_f32_e32 v29, v7, v32
	v_add_f32_e32 v16, v16, v28
	v_add_f32_e32 v28, v44, v29
	v_mul_f32_e32 v29, v7, v35
	v_fma_f32 v29, v6, v34, -v29
	v_mul_f32_e32 v6, v6, v35
	v_fmac_f32_e32 v6, v7, v34
	v_add_f32_e32 v36, v4, v6
	v_mul_f32_e32 v4, v31, v33
	v_add_f32_e32 v29, v5, v29
	v_fma_f32 v4, v30, v32, -v4
	v_mul_f32_e32 v5, v30, v33
	v_fmac_f32_e32 v5, v31, v32
	v_add_f32_e32 v24, v24, v4
	v_mul_f32_e32 v4, v31, v35
	v_add_f32_e32 v26, v26, v5
	v_fma_f32 v32, v30, v34, -v4
	ds_read2_b64 v[4:7], v25 offset0:192 offset1:208
	v_mul_f32_e32 v30, v30, v35
	v_fmac_f32_e32 v30, v31, v34
	v_add_f32_e32 v22, v22, v30
	v_add_f32_e32 v20, v20, v32
	s_waitcnt lgkmcnt(0)
	v_mul_f32_e32 v30, v1, v5
	v_fma_f32 v30, v0, v4, -v30
	v_add_f32_e32 v16, v16, v30
	v_mul_f32_e32 v30, v1, v7
	v_mul_f32_e32 v31, v0, v5
	v_fma_f32 v30, v0, v6, -v30
	v_mul_f32_e32 v0, v0, v7
	v_fmac_f32_e32 v0, v1, v6
	v_add_f32_e32 v0, v36, v0
	ds_read2_b64 v[36:39], v25 offset0:224 offset1:240
	v_fmac_f32_e32 v31, v1, v4
	v_add_f32_e32 v1, v29, v30
	v_mul_f32_e32 v29, v41, v5
	v_fma_f32 v29, v40, v4, -v29
	v_mul_f32_e32 v5, v40, v5
	v_fmac_f32_e32 v5, v41, v4
	v_add_f32_e32 v4, v24, v29
	v_mul_f32_e32 v24, v41, v7
	v_fma_f32 v24, v40, v6, -v24
	v_mul_f32_e32 v7, v40, v7
	v_fmac_f32_e32 v7, v41, v6
	v_add_f32_e32 v6, v20, v24
	s_waitcnt lgkmcnt(0)
	v_mul_f32_e32 v20, v3, v37
	v_fma_f32 v20, v2, v36, -v20
	v_add_f32_e32 v32, v16, v20
	v_mul_f32_e32 v16, v3, v39
	v_add_f32_e32 v7, v22, v7
	v_mul_f32_e32 v22, v2, v37
	v_fma_f32 v16, v2, v38, -v16
	v_mul_f32_e32 v2, v2, v39
	v_add_f32_e32 v28, v28, v31
	v_fmac_f32_e32 v22, v3, v36
	v_fmac_f32_e32 v2, v3, v38
	v_add_f32_e32 v34, v28, v22
	v_add_f32_e32 v28, v1, v16
	;; [unrolled: 1-line block ×3, first 2 shown]
	v_mul_f32_e32 v0, v43, v37
	v_mul_f32_e32 v1, v42, v37
	v_add_f32_e32 v5, v26, v5
	v_fma_f32 v0, v42, v36, -v0
	v_fmac_f32_e32 v1, v43, v36
	v_add_f32_e32 v24, v4, v0
	v_add_f32_e32 v26, v5, v1
	v_mul_f32_e32 v0, v43, v39
	v_mul_f32_e32 v1, v42, v39
	v_fma_f32 v0, v42, v38, -v0
	v_fmac_f32_e32 v1, v43, v38
	s_addc_u32 s5, s5, 0
	v_add_f32_e32 v20, v6, v0
	v_add_f32_e32 v22, v7, v1
	v_mov_b64_e32 v[0:1], s[4:5]
	v_cmp_gt_i64_e32 vcc, s[26:27], v[0:1]
	s_barrier
	s_cbranch_vccz .LBB539_18
.LBB539_8:                              ; =>This Inner Loop Header: Depth=1
	s_mov_b64 s[18:19], s[2:3]
	s_mov_b64 s[8:9], 0
	s_and_saveexec_b64 s[10:11], s[0:1]
	s_cbranch_execnz .LBB539_16
; %bb.9:                                ;   in Loop: Header=BB539_8 Depth=1
	s_or_b64 exec, exec, s[10:11]
	s_and_saveexec_b64 s[10:11], s[18:19]
	s_xor_b64 s[10:11], exec, s[10:11]
	s_cbranch_execnz .LBB539_17
.LBB539_10:                             ;   in Loop: Header=BB539_8 Depth=1
	s_or_b64 exec, exec, s[10:11]
	v_mov_b32_e32 v0, 0
	s_and_saveexec_b64 s[10:11], s[8:9]
	s_cbranch_execz .LBB539_12
.LBB539_11:                             ;   in Loop: Header=BB539_8 Depth=1
	v_lshl_add_u64 v[0:1], v[18:19], 3, v[12:13]
	flat_load_dwordx2 v[2:3], v[0:1]
	s_waitcnt vmcnt(0) lgkmcnt(0)
	v_xor_b32_e32 v0, 0x80000000, v3
	ds_write_b32 v21, v2
.LBB539_12:                             ;   in Loop: Header=BB539_8 Depth=1
	s_or_b64 exec, exec, s[10:11]
	v_add_u32_e32 v16, s4, v8
	v_cmp_le_u64_e32 vcc, s[26:27], v[16:17]
	s_or_b64 s[8:9], vcc, s[6:7]
	ds_write_b32 v21, v0 offset:4
	s_and_saveexec_b64 s[10:11], s[8:9]
	s_xor_b64 s[8:9], exec, s[10:11]
; %bb.13:                               ;   in Loop: Header=BB539_8 Depth=1
	ds_write_b32 v23, v17
; %bb.14:                               ;   in Loop: Header=BB539_8 Depth=1
	s_or_saveexec_b64 s[8:9], s[8:9]
	v_mov_b32_e32 v0, 0
	s_xor_b64 exec, exec, s[8:9]
	s_cbranch_execz .LBB539_7
; %bb.15:                               ;   in Loop: Header=BB539_8 Depth=1
	v_mad_u64_u32 v[0:1], s[10:11], s16, v16, 0
	v_mov_b32_e32 v2, v1
	v_mad_u64_u32 v[2:3], s[10:11], s17, v16, v[2:3]
	v_mov_b32_e32 v1, v2
	v_lshl_add_u64 v[0:1], v[0:1], 3, v[14:15]
	flat_load_dwordx2 v[2:3], v[0:1]
	s_waitcnt vmcnt(0) lgkmcnt(0)
	v_xor_b32_e32 v0, 0x80000000, v3
	ds_write_b32 v23, v2
	s_branch .LBB539_7
.LBB539_16:                             ;   in Loop: Header=BB539_8 Depth=1
	v_add_u32_e32 v16, s4, v10
	v_cmp_le_u64_e32 vcc, s[26:27], v[16:17]
	s_andn2_b64 s[18:19], s[2:3], exec
	s_and_b64 s[30:31], vcc, exec
	s_mov_b64 s[8:9], exec
	s_or_b64 s[18:19], s[18:19], s[30:31]
	v_mov_b64_e32 v[18:19], v[16:17]
	s_or_b64 exec, exec, s[10:11]
	s_and_saveexec_b64 s[10:11], s[18:19]
	s_xor_b64 s[10:11], exec, s[10:11]
	s_cbranch_execz .LBB539_10
.LBB539_17:                             ;   in Loop: Header=BB539_8 Depth=1
	ds_write_b32 v21, v17
	s_andn2_b64 s[8:9], s[8:9], exec
	s_or_b64 exec, exec, s[10:11]
	v_mov_b32_e32 v0, 0
	s_and_saveexec_b64 s[10:11], s[8:9]
	s_cbranch_execnz .LBB539_11
	s_branch .LBB539_12
.LBB539_18:
	s_lshl_b64 s[0:1], s[28:29], 3
	v_add_u32_e32 v10, s35, v11
	s_waitcnt lgkmcnt(0)
	s_add_u32 s6, s12, s0
	v_ashrrev_i32_e32 v1, 31, v10
	s_addc_u32 s7, s13, s1
	v_cmp_neq_f32_e64 s[0:1], s20, 0
	s_xor_b64 s[4:5], s[24:25], -1
	v_mul_lo_u32 v1, s14, v1
	v_mul_lo_u32 v4, s15, v10
	v_mad_u64_u32 v[2:3], s[2:3], s14, v10, 0
	v_add_u32_e32 v0, s34, v9
	v_add3_u32 v3, v3, v1, v4
	s_or_b64 s[0:1], s[0:1], s[4:5]
	v_lshl_add_u64 v[4:5], v[2:3], 3, s[6:7]
	v_cmp_le_i32_e32 vcc, v10, v0
	v_cmp_gt_i32_e64 s[2:3], s33, v0
	v_cndmask_b32_e64 v2, 0, 1, s[0:1]
	s_and_b64 s[8:9], vcc, s[2:3]
	v_ashrrev_i32_e32 v1, 31, v0
	v_cmp_ne_u32_e64 s[0:1], 1, v2
	s_and_saveexec_b64 s[4:5], s[8:9]
	s_cbranch_execz .LBB539_22
; %bb.19:
	v_pk_mul_f32 v[6:7], v[34:35], s[22:23] op_sel:[0,1] op_sel_hi:[0,0]
	v_pk_fma_f32 v[2:3], v[32:33], s[22:23], v[6:7] op_sel_hi:[0,1,1] neg_lo:[0,0,1] neg_hi:[0,0,1]
	v_pk_fma_f32 v[8:9], v[32:33], s[22:23], v[6:7] op_sel_hi:[0,1,1]
	s_and_b64 vcc, exec, s[0:1]
	v_lshl_add_u64 v[6:7], v[0:1], 3, v[4:5]
	s_cbranch_vccnz .LBB539_21
; %bb.20:
	flat_load_dwordx2 v[12:13], v[6:7]
	s_mov_b32 s8, s21
	v_mov_b32_e32 v3, v9
	s_waitcnt vmcnt(0) lgkmcnt(0)
	v_pk_mul_f32 v[8:9], v[12:13], s[8:9] op_sel:[1,0] op_sel_hi:[0,0]
	v_pk_fma_f32 v[14:15], v[12:13], s[20:21], v[8:9] neg_lo:[0,0,1] neg_hi:[0,0,1]
	v_pk_fma_f32 v[8:9], v[12:13], s[20:21], v[8:9] op_sel_hi:[1,0,1]
	s_nop 0
	v_mov_b32_e32 v15, v9
	v_pk_add_f32 v[2:3], v[2:3], v[14:15]
	s_nop 0
	v_mov_b32_e32 v9, v3
.LBB539_21:
	v_mov_b32_e32 v3, v9
	flat_store_dwordx2 v[6:7], v[2:3]
.LBB539_22:
	s_or_b64 exec, exec, s[4:5]
	v_add_u32_e32 v2, 16, v0
	v_cmp_le_i32_e32 vcc, v10, v2
	v_cmp_gt_i32_e64 s[4:5], s33, v2
	s_and_b64 s[10:11], vcc, s[4:5]
	v_ashrrev_i32_e32 v3, 31, v2
	s_and_saveexec_b64 s[8:9], s[10:11]
	s_cbranch_execz .LBB539_26
; %bb.23:
	v_pk_mul_f32 v[8:9], v[30:31], s[22:23] op_sel:[0,1] op_sel_hi:[0,0]
	v_pk_fma_f32 v[6:7], v[28:29], s[22:23], v[8:9] op_sel_hi:[0,1,1] neg_lo:[0,0,1] neg_hi:[0,0,1]
	v_pk_fma_f32 v[8:9], v[28:29], s[22:23], v[8:9] op_sel_hi:[0,1,1]
	s_and_b64 vcc, exec, s[0:1]
	v_lshl_add_u64 v[4:5], v[2:3], 3, v[4:5]
	s_cbranch_vccnz .LBB539_25
; %bb.24:
	flat_load_dwordx2 v[12:13], v[4:5]
	s_mov_b32 s10, s21
	v_mov_b32_e32 v7, v9
	s_waitcnt vmcnt(0) lgkmcnt(0)
	v_pk_mul_f32 v[8:9], v[12:13], s[10:11] op_sel:[1,0] op_sel_hi:[0,0]
	v_pk_fma_f32 v[14:15], v[12:13], s[20:21], v[8:9] neg_lo:[0,0,1] neg_hi:[0,0,1]
	v_pk_fma_f32 v[8:9], v[12:13], s[20:21], v[8:9] op_sel_hi:[1,0,1]
	s_nop 0
	v_mov_b32_e32 v15, v9
	v_pk_add_f32 v[6:7], v[6:7], v[14:15]
	s_nop 0
	v_mov_b32_e32 v9, v7
.LBB539_25:
	v_mov_b32_e32 v7, v9
	flat_store_dwordx2 v[4:5], v[6:7]
.LBB539_26:
	s_or_b64 exec, exec, s[8:9]
	v_add_u32_e32 v10, 16, v10
	v_ashrrev_i32_e32 v4, 31, v10
	v_mul_lo_u32 v6, s14, v4
	v_mul_lo_u32 v7, s15, v10
	v_mad_u64_u32 v[4:5], s[8:9], s14, v10, 0
	v_add3_u32 v5, v5, v6, v7
	v_cmp_le_i32_e32 vcc, v10, v0
	v_lshl_add_u64 v[4:5], v[4:5], 3, s[6:7]
	s_and_b64 s[6:7], vcc, s[2:3]
	s_and_saveexec_b64 s[2:3], s[6:7]
	s_cbranch_execz .LBB539_30
; %bb.27:
	v_pk_mul_f32 v[8:9], v[26:27], s[22:23] op_sel:[0,1] op_sel_hi:[0,0]
	v_pk_fma_f32 v[6:7], v[24:25], s[22:23], v[8:9] op_sel_hi:[0,1,1] neg_lo:[0,0,1] neg_hi:[0,0,1]
	v_pk_fma_f32 v[8:9], v[24:25], s[22:23], v[8:9] op_sel_hi:[0,1,1]
	s_and_b64 vcc, exec, s[0:1]
	v_lshl_add_u64 v[0:1], v[0:1], 3, v[4:5]
	s_cbranch_vccnz .LBB539_29
; %bb.28:
	flat_load_dwordx2 v[12:13], v[0:1]
	s_mov_b32 s6, s21
	v_mov_b32_e32 v7, v9
	s_waitcnt vmcnt(0) lgkmcnt(0)
	v_pk_mul_f32 v[8:9], v[12:13], s[6:7] op_sel:[1,0] op_sel_hi:[0,0]
	v_pk_fma_f32 v[14:15], v[12:13], s[20:21], v[8:9] neg_lo:[0,0,1] neg_hi:[0,0,1]
	v_pk_fma_f32 v[8:9], v[12:13], s[20:21], v[8:9] op_sel_hi:[1,0,1]
	s_nop 0
	v_mov_b32_e32 v15, v9
	v_pk_add_f32 v[6:7], v[6:7], v[14:15]
	s_nop 0
	v_mov_b32_e32 v9, v7
.LBB539_29:
	v_mov_b32_e32 v7, v9
	flat_store_dwordx2 v[0:1], v[6:7]
.LBB539_30:
	s_or_b64 exec, exec, s[2:3]
	v_cmp_le_i32_e32 vcc, v10, v2
	s_and_b64 s[2:3], vcc, s[4:5]
	s_and_saveexec_b64 s[4:5], s[2:3]
	s_cbranch_execz .LBB539_34
; %bb.31:
	v_pk_mul_f32 v[6:7], v[22:23], s[22:23] op_sel:[0,1] op_sel_hi:[0,0]
	v_pk_fma_f32 v[0:1], v[20:21], s[22:23], v[6:7] op_sel_hi:[0,1,1] neg_lo:[0,0,1] neg_hi:[0,0,1]
	v_pk_fma_f32 v[6:7], v[20:21], s[22:23], v[6:7] op_sel_hi:[0,1,1]
	s_and_b64 vcc, exec, s[0:1]
	v_lshl_add_u64 v[2:3], v[2:3], 3, v[4:5]
	s_cbranch_vccnz .LBB539_33
; %bb.32:
	flat_load_dwordx2 v[4:5], v[2:3]
	s_mov_b32 s0, s21
	v_mov_b32_e32 v1, v7
	s_waitcnt vmcnt(0) lgkmcnt(0)
	v_pk_mul_f32 v[6:7], v[4:5], s[0:1] op_sel:[1,0] op_sel_hi:[0,0]
	v_pk_fma_f32 v[8:9], v[4:5], s[20:21], v[6:7] neg_lo:[0,0,1] neg_hi:[0,0,1]
	v_pk_fma_f32 v[4:5], v[4:5], s[20:21], v[6:7] op_sel_hi:[1,0,1]
	s_nop 0
	v_mov_b32_e32 v9, v5
	v_pk_add_f32 v[0:1], v[0:1], v[8:9]
	s_nop 0
	v_mov_b32_e32 v7, v1
.LBB539_33:
	v_mov_b32_e32 v1, v7
	flat_store_dwordx2 v[2:3], v[0:1]
.LBB539_34:
	s_endpgm
	.section	.rodata,"a",@progbits
	.p2align	6, 0x0
	.amdhsa_kernel _ZL29rocblas_internal_gemmt_kernelIlLi16ELi32ELi8ELc67ELc67ELc76ELb1ELb1E19rocblas_complex_numIfES1_PKPKS1_PKPS1_EviT_T9_T10_S9_lSB_S9_lSA_T11_S9_li
		.amdhsa_group_segment_fixed_size 4096
		.amdhsa_private_segment_fixed_size 0
		.amdhsa_kernarg_size 108
		.amdhsa_user_sgpr_count 2
		.amdhsa_user_sgpr_dispatch_ptr 0
		.amdhsa_user_sgpr_queue_ptr 0
		.amdhsa_user_sgpr_kernarg_segment_ptr 1
		.amdhsa_user_sgpr_dispatch_id 0
		.amdhsa_user_sgpr_kernarg_preload_length 0
		.amdhsa_user_sgpr_kernarg_preload_offset 0
		.amdhsa_user_sgpr_private_segment_size 0
		.amdhsa_uses_dynamic_stack 0
		.amdhsa_enable_private_segment 0
		.amdhsa_system_sgpr_workgroup_id_x 1
		.amdhsa_system_sgpr_workgroup_id_y 1
		.amdhsa_system_sgpr_workgroup_id_z 1
		.amdhsa_system_sgpr_workgroup_info 0
		.amdhsa_system_vgpr_workitem_id 1
		.amdhsa_next_free_vgpr 53
		.amdhsa_next_free_sgpr 36
		.amdhsa_accum_offset 56
		.amdhsa_reserve_vcc 1
		.amdhsa_float_round_mode_32 0
		.amdhsa_float_round_mode_16_64 0
		.amdhsa_float_denorm_mode_32 3
		.amdhsa_float_denorm_mode_16_64 3
		.amdhsa_dx10_clamp 1
		.amdhsa_ieee_mode 1
		.amdhsa_fp16_overflow 0
		.amdhsa_tg_split 0
		.amdhsa_exception_fp_ieee_invalid_op 0
		.amdhsa_exception_fp_denorm_src 0
		.amdhsa_exception_fp_ieee_div_zero 0
		.amdhsa_exception_fp_ieee_overflow 0
		.amdhsa_exception_fp_ieee_underflow 0
		.amdhsa_exception_fp_ieee_inexact 0
		.amdhsa_exception_int_div_zero 0
	.end_amdhsa_kernel
	.section	.text._ZL29rocblas_internal_gemmt_kernelIlLi16ELi32ELi8ELc67ELc67ELc76ELb1ELb1E19rocblas_complex_numIfES1_PKPKS1_PKPS1_EviT_T9_T10_S9_lSB_S9_lSA_T11_S9_li,"axG",@progbits,_ZL29rocblas_internal_gemmt_kernelIlLi16ELi32ELi8ELc67ELc67ELc76ELb1ELb1E19rocblas_complex_numIfES1_PKPKS1_PKPS1_EviT_T9_T10_S9_lSB_S9_lSA_T11_S9_li,comdat
.Lfunc_end539:
	.size	_ZL29rocblas_internal_gemmt_kernelIlLi16ELi32ELi8ELc67ELc67ELc76ELb1ELb1E19rocblas_complex_numIfES1_PKPKS1_PKPS1_EviT_T9_T10_S9_lSB_S9_lSA_T11_S9_li, .Lfunc_end539-_ZL29rocblas_internal_gemmt_kernelIlLi16ELi32ELi8ELc67ELc67ELc76ELb1ELb1E19rocblas_complex_numIfES1_PKPKS1_PKPS1_EviT_T9_T10_S9_lSB_S9_lSA_T11_S9_li
                                        ; -- End function
	.set _ZL29rocblas_internal_gemmt_kernelIlLi16ELi32ELi8ELc67ELc67ELc76ELb1ELb1E19rocblas_complex_numIfES1_PKPKS1_PKPS1_EviT_T9_T10_S9_lSB_S9_lSA_T11_S9_li.num_vgpr, 53
	.set _ZL29rocblas_internal_gemmt_kernelIlLi16ELi32ELi8ELc67ELc67ELc76ELb1ELb1E19rocblas_complex_numIfES1_PKPKS1_PKPS1_EviT_T9_T10_S9_lSB_S9_lSA_T11_S9_li.num_agpr, 0
	.set _ZL29rocblas_internal_gemmt_kernelIlLi16ELi32ELi8ELc67ELc67ELc76ELb1ELb1E19rocblas_complex_numIfES1_PKPKS1_PKPS1_EviT_T9_T10_S9_lSB_S9_lSA_T11_S9_li.numbered_sgpr, 36
	.set _ZL29rocblas_internal_gemmt_kernelIlLi16ELi32ELi8ELc67ELc67ELc76ELb1ELb1E19rocblas_complex_numIfES1_PKPKS1_PKPS1_EviT_T9_T10_S9_lSB_S9_lSA_T11_S9_li.num_named_barrier, 0
	.set _ZL29rocblas_internal_gemmt_kernelIlLi16ELi32ELi8ELc67ELc67ELc76ELb1ELb1E19rocblas_complex_numIfES1_PKPKS1_PKPS1_EviT_T9_T10_S9_lSB_S9_lSA_T11_S9_li.private_seg_size, 0
	.set _ZL29rocblas_internal_gemmt_kernelIlLi16ELi32ELi8ELc67ELc67ELc76ELb1ELb1E19rocblas_complex_numIfES1_PKPKS1_PKPS1_EviT_T9_T10_S9_lSB_S9_lSA_T11_S9_li.uses_vcc, 1
	.set _ZL29rocblas_internal_gemmt_kernelIlLi16ELi32ELi8ELc67ELc67ELc76ELb1ELb1E19rocblas_complex_numIfES1_PKPKS1_PKPS1_EviT_T9_T10_S9_lSB_S9_lSA_T11_S9_li.uses_flat_scratch, 0
	.set _ZL29rocblas_internal_gemmt_kernelIlLi16ELi32ELi8ELc67ELc67ELc76ELb1ELb1E19rocblas_complex_numIfES1_PKPKS1_PKPS1_EviT_T9_T10_S9_lSB_S9_lSA_T11_S9_li.has_dyn_sized_stack, 0
	.set _ZL29rocblas_internal_gemmt_kernelIlLi16ELi32ELi8ELc67ELc67ELc76ELb1ELb1E19rocblas_complex_numIfES1_PKPKS1_PKPS1_EviT_T9_T10_S9_lSB_S9_lSA_T11_S9_li.has_recursion, 0
	.set _ZL29rocblas_internal_gemmt_kernelIlLi16ELi32ELi8ELc67ELc67ELc76ELb1ELb1E19rocblas_complex_numIfES1_PKPKS1_PKPS1_EviT_T9_T10_S9_lSB_S9_lSA_T11_S9_li.has_indirect_call, 0
	.section	.AMDGPU.csdata,"",@progbits
; Kernel info:
; codeLenInByte = 2692
; TotalNumSgprs: 42
; NumVgprs: 53
; NumAgprs: 0
; TotalNumVgprs: 53
; ScratchSize: 0
; MemoryBound: 0
; FloatMode: 240
; IeeeMode: 1
; LDSByteSize: 4096 bytes/workgroup (compile time only)
; SGPRBlocks: 5
; VGPRBlocks: 6
; NumSGPRsForWavesPerEU: 42
; NumVGPRsForWavesPerEU: 53
; AccumOffset: 56
; Occupancy: 8
; WaveLimiterHint : 1
; COMPUTE_PGM_RSRC2:SCRATCH_EN: 0
; COMPUTE_PGM_RSRC2:USER_SGPR: 2
; COMPUTE_PGM_RSRC2:TRAP_HANDLER: 0
; COMPUTE_PGM_RSRC2:TGID_X_EN: 1
; COMPUTE_PGM_RSRC2:TGID_Y_EN: 1
; COMPUTE_PGM_RSRC2:TGID_Z_EN: 1
; COMPUTE_PGM_RSRC2:TIDIG_COMP_CNT: 1
; COMPUTE_PGM_RSRC3_GFX90A:ACCUM_OFFSET: 13
; COMPUTE_PGM_RSRC3_GFX90A:TG_SPLIT: 0
	.section	.text._ZL29rocblas_internal_gemmt_kernelIlLi16ELi32ELi8ELc78ELc78ELc85ELb0ELb0E19rocblas_complex_numIdEPKS1_PKS3_PKPS1_EviT_T9_T10_S9_lSB_S9_lSA_T11_S9_li,"axG",@progbits,_ZL29rocblas_internal_gemmt_kernelIlLi16ELi32ELi8ELc78ELc78ELc85ELb0ELb0E19rocblas_complex_numIdEPKS1_PKS3_PKPS1_EviT_T9_T10_S9_lSB_S9_lSA_T11_S9_li,comdat
	.globl	_ZL29rocblas_internal_gemmt_kernelIlLi16ELi32ELi8ELc78ELc78ELc85ELb0ELb0E19rocblas_complex_numIdEPKS1_PKS3_PKPS1_EviT_T9_T10_S9_lSB_S9_lSA_T11_S9_li ; -- Begin function _ZL29rocblas_internal_gemmt_kernelIlLi16ELi32ELi8ELc78ELc78ELc85ELb0ELb0E19rocblas_complex_numIdEPKS1_PKS3_PKPS1_EviT_T9_T10_S9_lSB_S9_lSA_T11_S9_li
	.p2align	8
	.type	_ZL29rocblas_internal_gemmt_kernelIlLi16ELi32ELi8ELc78ELc78ELc85ELb0ELb0E19rocblas_complex_numIdEPKS1_PKS3_PKPS1_EviT_T9_T10_S9_lSB_S9_lSA_T11_S9_li,@function
_ZL29rocblas_internal_gemmt_kernelIlLi16ELi32ELi8ELc78ELc78ELc85ELb0ELb0E19rocblas_complex_numIdEPKS1_PKS3_PKPS1_EviT_T9_T10_S9_lSB_S9_lSA_T11_S9_li: ; @_ZL29rocblas_internal_gemmt_kernelIlLi16ELi32ELi8ELc78ELc78ELc85ELb0ELb0E19rocblas_complex_numIdEPKS1_PKS3_PKPS1_EviT_T9_T10_S9_lSB_S9_lSA_T11_S9_li
; %bb.0:
	s_load_dwordx8 s[24:31], s[0:1], 0x48
	s_load_dwordx16 s[8:23], s[0:1], 0x8
	s_waitcnt lgkmcnt(0)
	s_load_dwordx4 s[36:39], s[24:25], 0x0
	s_load_dwordx4 s[40:43], s[10:11], 0x0
	s_mov_b64 s[24:25], 0
	s_waitcnt lgkmcnt(0)
	v_cmp_eq_f64_e64 s[10:11], s[36:37], 1.0
	v_cmp_eq_f64_e64 s[6:7], s[38:39], 0
	s_and_b64 s[10:11], s[10:11], s[6:7]
	s_andn2_b64 vcc, exec, s[10:11]
	s_mov_b64 s[10:11], -1
	s_cbranch_vccnz .LBB540_4
; %bb.1:
	s_cmp_lg_u64 s[8:9], 0
	s_cbranch_scc0 .LBB540_3
; %bb.2:
	v_cmp_neq_f64_e64 s[10:11], s[40:41], 0
	v_cmp_neq_f64_e64 s[24:25], s[42:43], 0
	s_or_b64 s[24:25], s[10:11], s[24:25]
.LBB540_3:
	s_mov_b64 s[10:11], s[24:25]
.LBB540_4:
	s_and_b64 vcc, exec, s[10:11]
	s_cbranch_vccz .LBB540_34
; %bb.5:
	s_mov_b32 s5, 0
	s_load_dword s24, s[0:1], 0x0
	s_lshl_b64 s[0:1], s[4:5], 3
	s_add_u32 s4, s26, s0
	s_addc_u32 s5, s27, s1
	s_load_dwordx2 s[4:5], s[4:5], 0x0
	s_lshl_b32 s25, s2, 5
	s_lshl_b32 s26, s3, 5
	v_cmp_eq_f64_e64 s[2:3], s[40:41], 0
	v_cmp_eq_f64_e64 s[10:11], s[42:43], 0
	s_and_b64 s[2:3], s[2:3], s[10:11]
	v_cmp_lt_i64_e64 s[10:11], s[8:9], 1
	s_or_b64 s[2:3], s[2:3], s[10:11]
	v_and_b32_e32 v1, 0x3ff, v0
	v_bfe_u32 v3, v0, 10, 10
	v_mov_b64_e32 v[24:25], 0
	s_and_b64 vcc, exec, s[2:3]
	v_mov_b64_e32 v[26:27], 0
	v_mov_b64_e32 v[20:21], 0
	;; [unrolled: 1-line block ×7, first 2 shown]
	s_cbranch_vccnz .LBB540_18
; %bb.6:
	s_add_u32 s2, s18, s0
	s_addc_u32 s3, s19, s1
	s_load_dwordx2 s[2:3], s[2:3], 0x0
	s_lshl_b64 s[10:11], s[22:23], 4
	v_lshl_add_u32 v4, v3, 4, v1
	v_and_b32_e32 v0, 7, v1
	v_lshrrev_b32_e32 v6, 3, v4
	s_waitcnt lgkmcnt(0)
	s_add_u32 s10, s2, s10
	s_addc_u32 s11, s3, s11
	s_add_u32 s0, s12, s0
	s_addc_u32 s1, s13, s1
	s_load_dwordx2 s[0:1], s[0:1], 0x0
	v_and_b32_e32 v5, 31, v4
	s_lshl_b64 s[2:3], s[16:17], 4
	v_lshlrev_b32_e32 v8, 4, v0
	v_lshrrev_b32_e32 v2, 5, v4
	v_add_u32_e32 v7, s26, v6
	v_or_b32_e32 v4, s25, v5
	s_waitcnt lgkmcnt(0)
	s_add_u32 s12, s0, s2
	v_lshlrev_b32_e32 v5, 4, v5
	v_lshl_or_b32 v6, v6, 7, v8
	s_addc_u32 s13, s1, s3
	v_lshl_or_b32 v28, v2, 9, v5
	v_ashrrev_i32_e32 v5, 31, v4
	v_add_u32_e32 v29, 0x1000, v6
	v_ashrrev_i32_e32 v6, 31, v7
	v_cmp_gt_i32_e64 s[0:1], s24, v4
	v_cmp_le_i32_e64 s[2:3], s24, v4
	v_lshl_add_u64 v[4:5], v[4:5], 4, s[12:13]
	v_cmp_gt_i32_e32 vcc, s24, v7
	v_mul_lo_u32 v8, s20, v6
	v_mul_lo_u32 v9, s21, v7
	v_mad_u64_u32 v[6:7], s[12:13], s20, v7, 0
	v_add3_u32 v7, v7, v8, v9
	v_mov_b32_e32 v8, 0x1000
	v_mov_b32_e32 v9, 0
	v_lshl_add_u64 v[6:7], v[6:7], 4, s[10:11]
	v_lshlrev_b32_e32 v30, 4, v1
	v_lshl_add_u32 v31, v3, 7, v8
	v_mov_b64_e32 v[12:13], 0
	s_mov_b64 s[10:11], 0
	s_xor_b64 s[12:13], vcc, -1
	v_mov_b32_e32 v32, v9
	v_mov_b32_e32 v33, v9
	;; [unrolled: 1-line block ×4, first 2 shown]
	v_mov_b64_e32 v[14:15], 0
	v_mov_b64_e32 v[18:19], 0
	;; [unrolled: 1-line block ×7, first 2 shown]
                                        ; implicit-def: $vgpr10_vgpr11
	s_branch .LBB540_8
.LBB540_7:                              ;   in Loop: Header=BB540_8 Depth=1
	s_or_b64 exec, exec, s[16:17]
	s_waitcnt lgkmcnt(0)
	s_barrier
	ds_read_b128 v[36:39], v30
	ds_read_b128 v[40:43], v31
	ds_read_b128 v[44:47], v31 offset:16
	ds_read_b128 v[48:51], v31 offset:32
	;; [unrolled: 1-line block ×4, first 2 shown]
	s_waitcnt lgkmcnt(4)
	v_mul_f64 v[60:61], v[42:43], v[38:39]
	v_fma_f64 v[60:61], v[40:41], v[36:37], -v[60:61]
	v_mul_f64 v[62:63], v[40:41], v[38:39]
	v_fmac_f64_e32 v[62:63], v[42:43], v[36:37]
	v_add_f64 v[60:61], v[24:25], v[60:61]
	s_waitcnt lgkmcnt(0)
	v_mul_f64 v[24:25], v[42:43], v[58:59]
	v_add_f64 v[62:63], v[62:63], v[26:27]
	v_fma_f64 v[64:65], v[40:41], v[56:57], -v[24:25]
	ds_read_b128 v[24:27], v31 offset:2048
	v_mul_f64 v[40:41], v[40:41], v[58:59]
	v_fmac_f64_e32 v[40:41], v[42:43], v[56:57]
	v_add_f64 v[42:43], v[20:21], v[64:65]
	v_add_f64 v[40:41], v[40:41], v[22:23]
	ds_read_b128 v[20:23], v31 offset:2064
	s_waitcnt lgkmcnt(1)
	v_mul_f64 v[64:65], v[26:27], v[38:39]
	v_fma_f64 v[64:65], v[24:25], v[36:37], -v[64:65]
	v_mul_f64 v[38:39], v[24:25], v[38:39]
	v_fmac_f64_e32 v[38:39], v[26:27], v[36:37]
	v_add_f64 v[36:37], v[16:17], v[64:65]
	v_mul_f64 v[16:17], v[26:27], v[58:59]
	v_add_f64 v[38:39], v[38:39], v[18:19]
	v_fma_f64 v[64:65], v[24:25], v[56:57], -v[16:17]
	v_mul_f64 v[24:25], v[24:25], v[58:59]
	ds_read_b128 v[16:19], v30 offset:512
	v_fmac_f64_e32 v[24:25], v[26:27], v[56:57]
	v_add_f64 v[26:27], v[14:15], v[64:65]
	v_add_f64 v[24:25], v[24:25], v[12:13]
	ds_read_b128 v[12:15], v30 offset:768
	s_waitcnt lgkmcnt(1)
	v_mul_f64 v[56:57], v[46:47], v[18:19]
	v_fma_f64 v[56:57], v[44:45], v[16:17], -v[56:57]
	v_add_f64 v[56:57], v[60:61], v[56:57]
	v_mul_f64 v[58:59], v[44:45], v[18:19]
	s_waitcnt lgkmcnt(0)
	v_mul_f64 v[60:61], v[46:47], v[14:15]
	v_fma_f64 v[60:61], v[44:45], v[12:13], -v[60:61]
	v_mul_f64 v[44:45], v[44:45], v[14:15]
	v_fmac_f64_e32 v[44:45], v[46:47], v[12:13]
	v_add_f64 v[40:41], v[44:45], v[40:41]
	v_mul_f64 v[44:45], v[22:23], v[18:19]
	v_mul_f64 v[18:19], v[20:21], v[18:19]
	v_fmac_f64_e32 v[58:59], v[46:47], v[16:17]
	v_fma_f64 v[44:45], v[20:21], v[16:17], -v[44:45]
	v_fmac_f64_e32 v[18:19], v[22:23], v[16:17]
	v_mul_f64 v[16:17], v[22:23], v[14:15]
	v_add_f64 v[46:47], v[18:19], v[38:39]
	v_fma_f64 v[18:19], v[20:21], v[12:13], -v[16:17]
	v_mul_f64 v[20:21], v[20:21], v[14:15]
	ds_read_b128 v[14:17], v30 offset:1024
	v_fmac_f64_e32 v[20:21], v[22:23], v[12:13]
	v_add_f64 v[42:43], v[42:43], v[60:61]
	v_add_f64 v[26:27], v[26:27], v[18:19]
	;; [unrolled: 1-line block ×3, first 2 shown]
	ds_read_b128 v[18:21], v30 offset:1280
	s_waitcnt lgkmcnt(1)
	v_mul_f64 v[22:23], v[48:49], v[16:17]
	v_add_f64 v[58:59], v[58:59], v[62:63]
	v_fmac_f64_e32 v[22:23], v[50:51], v[14:15]
	v_add_f64 v[58:59], v[22:23], v[58:59]
	ds_read_b128 v[22:25], v31 offset:2080
	v_mul_f64 v[12:13], v[50:51], v[16:17]
	v_fma_f64 v[12:13], v[48:49], v[14:15], -v[12:13]
	v_add_f64 v[44:45], v[36:37], v[44:45]
	v_add_f64 v[56:57], v[56:57], v[12:13]
	s_waitcnt lgkmcnt(1)
	v_mul_f64 v[12:13], v[50:51], v[20:21]
	v_mul_f64 v[36:37], v[48:49], v[20:21]
	v_fma_f64 v[12:13], v[48:49], v[18:19], -v[12:13]
	v_fmac_f64_e32 v[36:37], v[50:51], v[18:19]
	v_add_f64 v[42:43], v[42:43], v[12:13]
	v_add_f64 v[40:41], v[36:37], v[40:41]
	ds_read_b128 v[36:39], v31 offset:2096
	s_waitcnt lgkmcnt(1)
	v_mul_f64 v[12:13], v[24:25], v[16:17]
	v_fma_f64 v[12:13], v[22:23], v[14:15], -v[12:13]
	v_mul_f64 v[16:17], v[22:23], v[16:17]
	v_fmac_f64_e32 v[16:17], v[24:25], v[14:15]
	v_add_f64 v[44:45], v[44:45], v[12:13]
	v_mul_f64 v[12:13], v[24:25], v[20:21]
	v_add_f64 v[46:47], v[16:17], v[46:47]
	v_fma_f64 v[16:17], v[22:23], v[18:19], -v[12:13]
	ds_read_b128 v[12:15], v30 offset:1536
	v_mul_f64 v[20:21], v[22:23], v[20:21]
	v_fmac_f64_e32 v[20:21], v[24:25], v[18:19]
	v_add_f64 v[22:23], v[26:27], v[16:17]
	ds_read_b128 v[16:19], v30 offset:1792
	s_waitcnt lgkmcnt(1)
	v_mul_f64 v[24:25], v[54:55], v[14:15]
	v_fma_f64 v[24:25], v[52:53], v[12:13], -v[24:25]
	v_mul_f64 v[26:27], v[52:53], v[14:15]
	v_fmac_f64_e32 v[26:27], v[54:55], v[12:13]
	v_add_f64 v[48:49], v[56:57], v[24:25]
	s_waitcnt lgkmcnt(0)
	v_mul_f64 v[24:25], v[54:55], v[18:19]
	v_add_f64 v[50:51], v[26:27], v[58:59]
	v_fma_f64 v[24:25], v[52:53], v[16:17], -v[24:25]
	v_mul_f64 v[26:27], v[52:53], v[18:19]
	v_fmac_f64_e32 v[26:27], v[54:55], v[16:17]
	v_add_f64 v[42:43], v[42:43], v[24:25]
	v_mul_f64 v[24:25], v[38:39], v[14:15]
	v_mul_f64 v[14:15], v[36:37], v[14:15]
	v_add_f64 v[40:41], v[26:27], v[40:41]
	v_fma_f64 v[24:25], v[36:37], v[12:13], -v[24:25]
	v_fmac_f64_e32 v[14:15], v[38:39], v[12:13]
	v_mul_f64 v[12:13], v[38:39], v[18:19]
	v_mul_f64 v[26:27], v[36:37], v[18:19]
	v_add_f64 v[44:45], v[44:45], v[24:25]
	v_add_f64 v[46:47], v[14:15], v[46:47]
	v_fma_f64 v[24:25], v[36:37], v[16:17], -v[12:13]
	v_fmac_f64_e32 v[26:27], v[38:39], v[16:17]
	ds_read_b128 v[12:15], v31 offset:64
	ds_read_b128 v[16:19], v30 offset:2048
	v_add_f64 v[20:21], v[20:21], v[60:61]
	v_add_f64 v[52:53], v[22:23], v[24:25]
	v_add_f64 v[54:55], v[26:27], v[20:21]
	ds_read_b128 v[20:23], v30 offset:2304
	ds_read_b128 v[24:27], v31 offset:80
	s_waitcnt lgkmcnt(2)
	v_mul_f64 v[36:37], v[14:15], v[18:19]
	v_fma_f64 v[36:37], v[12:13], v[16:17], -v[36:37]
	v_mul_f64 v[38:39], v[12:13], v[18:19]
	v_fmac_f64_e32 v[38:39], v[14:15], v[16:17]
	v_add_f64 v[48:49], v[48:49], v[36:37]
	s_waitcnt lgkmcnt(1)
	v_mul_f64 v[36:37], v[14:15], v[22:23]
	v_add_f64 v[50:51], v[38:39], v[50:51]
	v_fma_f64 v[56:57], v[12:13], v[20:21], -v[36:37]
	ds_read_b128 v[36:39], v31 offset:2112
	v_mul_f64 v[12:13], v[12:13], v[22:23]
	v_fmac_f64_e32 v[12:13], v[14:15], v[20:21]
	v_add_f64 v[42:43], v[42:43], v[56:57]
	v_add_f64 v[40:41], v[12:13], v[40:41]
	ds_read_b128 v[12:15], v31 offset:2128
	s_waitcnt lgkmcnt(1)
	v_mul_f64 v[56:57], v[38:39], v[18:19]
	v_mul_f64 v[18:19], v[36:37], v[18:19]
	v_fma_f64 v[56:57], v[36:37], v[16:17], -v[56:57]
	v_fmac_f64_e32 v[18:19], v[38:39], v[16:17]
	v_mul_f64 v[16:17], v[38:39], v[22:23]
	v_add_f64 v[44:45], v[44:45], v[56:57]
	v_add_f64 v[46:47], v[18:19], v[46:47]
	v_fma_f64 v[56:57], v[36:37], v[20:21], -v[16:17]
	v_mul_f64 v[22:23], v[36:37], v[22:23]
	ds_read_b128 v[16:19], v30 offset:2560
	v_fmac_f64_e32 v[22:23], v[38:39], v[20:21]
	v_add_f64 v[38:39], v[22:23], v[54:55]
	ds_read_b128 v[20:23], v30 offset:2816
	v_add_f64 v[36:37], v[52:53], v[56:57]
	s_waitcnt lgkmcnt(1)
	v_mul_f64 v[52:53], v[26:27], v[18:19]
	v_fma_f64 v[52:53], v[24:25], v[16:17], -v[52:53]
	v_add_f64 v[48:49], v[48:49], v[52:53]
	s_waitcnt lgkmcnt(0)
	v_mul_f64 v[52:53], v[26:27], v[22:23]
	v_mul_f64 v[54:55], v[24:25], v[18:19]
	v_fma_f64 v[52:53], v[24:25], v[20:21], -v[52:53]
	v_mul_f64 v[24:25], v[24:25], v[22:23]
	v_fmac_f64_e32 v[24:25], v[26:27], v[20:21]
	v_add_f64 v[40:41], v[24:25], v[40:41]
	v_mul_f64 v[24:25], v[14:15], v[18:19]
	v_mul_f64 v[18:19], v[12:13], v[18:19]
	v_fmac_f64_e32 v[54:55], v[26:27], v[16:17]
	v_fma_f64 v[24:25], v[12:13], v[16:17], -v[24:25]
	v_fmac_f64_e32 v[18:19], v[14:15], v[16:17]
	v_mul_f64 v[16:17], v[14:15], v[22:23]
	v_mul_f64 v[22:23], v[12:13], v[22:23]
	v_add_f64 v[44:45], v[44:45], v[24:25]
	v_add_f64 v[46:47], v[18:19], v[46:47]
	v_fma_f64 v[24:25], v[12:13], v[20:21], -v[16:17]
	v_fmac_f64_e32 v[22:23], v[14:15], v[20:21]
	ds_read_b128 v[12:15], v31 offset:96
	ds_read_b128 v[16:19], v30 offset:3072
	v_add_f64 v[50:51], v[54:55], v[50:51]
	v_add_f64 v[42:43], v[42:43], v[52:53]
	;; [unrolled: 1-line block ×4, first 2 shown]
	ds_read_b128 v[20:23], v30 offset:3328
	ds_read_b128 v[36:39], v31 offset:112
	s_waitcnt lgkmcnt(2)
	v_mul_f64 v[24:25], v[14:15], v[18:19]
	v_fma_f64 v[24:25], v[12:13], v[16:17], -v[24:25]
	v_mul_f64 v[26:27], v[12:13], v[18:19]
	v_fmac_f64_e32 v[26:27], v[14:15], v[16:17]
	v_add_f64 v[48:49], v[48:49], v[24:25]
	s_waitcnt lgkmcnt(1)
	v_mul_f64 v[24:25], v[14:15], v[22:23]
	v_add_f64 v[50:51], v[26:27], v[50:51]
	v_fma_f64 v[56:57], v[12:13], v[20:21], -v[24:25]
	ds_read_b128 v[24:27], v31 offset:2144
	v_mul_f64 v[12:13], v[12:13], v[22:23]
	v_fmac_f64_e32 v[12:13], v[14:15], v[20:21]
	v_add_f64 v[58:59], v[12:13], v[40:41]
	ds_read_b128 v[12:15], v31 offset:2160
	s_waitcnt lgkmcnt(1)
	v_mul_f64 v[40:41], v[26:27], v[18:19]
	v_mul_f64 v[18:19], v[24:25], v[18:19]
	v_fma_f64 v[40:41], v[24:25], v[16:17], -v[40:41]
	v_fmac_f64_e32 v[18:19], v[26:27], v[16:17]
	v_mul_f64 v[16:17], v[26:27], v[22:23]
	v_add_f64 v[44:45], v[44:45], v[40:41]
	v_add_f64 v[46:47], v[18:19], v[46:47]
	v_fma_f64 v[40:41], v[24:25], v[20:21], -v[16:17]
	ds_read_b128 v[16:19], v30 offset:3584
	v_add_f64 v[56:57], v[42:43], v[56:57]
	v_add_f64 v[52:53], v[52:53], v[40:41]
	ds_read_b128 v[40:43], v30 offset:3840
	v_mul_f64 v[22:23], v[24:25], v[22:23]
	v_fmac_f64_e32 v[22:23], v[26:27], v[20:21]
	s_waitcnt lgkmcnt(1)
	v_mul_f64 v[20:21], v[38:39], v[18:19]
	v_add_f64 v[54:55], v[22:23], v[54:55]
	v_fma_f64 v[20:21], v[36:37], v[16:17], -v[20:21]
	v_mul_f64 v[22:23], v[36:37], v[18:19]
	v_fmac_f64_e32 v[22:23], v[38:39], v[16:17]
	v_add_f64 v[24:25], v[48:49], v[20:21]
	s_waitcnt lgkmcnt(0)
	v_mul_f64 v[20:21], v[38:39], v[42:43]
	v_add_f64 v[26:27], v[22:23], v[50:51]
	v_fma_f64 v[20:21], v[36:37], v[40:41], -v[20:21]
	v_mul_f64 v[22:23], v[36:37], v[42:43]
	v_mul_f64 v[36:37], v[14:15], v[18:19]
	v_fma_f64 v[36:37], v[12:13], v[16:17], -v[36:37]
	v_mul_f64 v[18:19], v[12:13], v[18:19]
	v_fmac_f64_e32 v[18:19], v[14:15], v[16:17]
	v_add_f64 v[16:17], v[44:45], v[36:37]
	v_mul_f64 v[36:37], v[14:15], v[42:43]
	s_add_u32 s10, s10, 8
	v_fma_f64 v[36:37], v[12:13], v[40:41], -v[36:37]
	v_mul_f64 v[12:13], v[12:13], v[42:43]
	s_addc_u32 s11, s11, 0
	v_fmac_f64_e32 v[12:13], v[14:15], v[40:41]
	v_add_f64 v[14:15], v[52:53], v[36:37]
	v_mov_b64_e32 v[36:37], s[10:11]
	v_fmac_f64_e32 v[22:23], v[38:39], v[40:41]
	v_cmp_gt_i64_e32 vcc, s[8:9], v[36:37]
	v_add_f64 v[20:21], v[56:57], v[20:21]
	v_add_f64 v[22:23], v[22:23], v[58:59]
	;; [unrolled: 1-line block ×4, first 2 shown]
	s_barrier
	s_cbranch_vccz .LBB540_18
.LBB540_8:                              ; =>This Inner Loop Header: Depth=1
	s_mov_b64 s[20:21], s[2:3]
	s_mov_b64 s[16:17], 0
	s_and_saveexec_b64 s[18:19], s[0:1]
	s_cbranch_execnz .LBB540_16
; %bb.9:                                ;   in Loop: Header=BB540_8 Depth=1
	s_or_b64 exec, exec, s[18:19]
	s_and_saveexec_b64 s[18:19], s[20:21]
	s_xor_b64 s[18:19], exec, s[18:19]
	s_cbranch_execnz .LBB540_17
.LBB540_10:                             ;   in Loop: Header=BB540_8 Depth=1
	s_or_b64 exec, exec, s[18:19]
	s_and_saveexec_b64 s[18:19], s[16:17]
	s_cbranch_execz .LBB540_12
.LBB540_11:                             ;   in Loop: Header=BB540_8 Depth=1
	v_mul_lo_u32 v8, s15, v10
	v_mul_lo_u32 v38, s14, v11
	v_mad_u64_u32 v[36:37], s[16:17], s14, v10, 0
	v_add3_u32 v37, v37, v38, v8
	v_lshl_add_u64 v[36:37], v[36:37], 4, v[4:5]
	flat_load_dwordx4 v[36:39], v[36:37]
	s_waitcnt vmcnt(0) lgkmcnt(0)
	ds_write2_b64 v28, v[36:37], v[38:39] offset1:1
.LBB540_12:                             ;   in Loop: Header=BB540_8 Depth=1
	s_or_b64 exec, exec, s[18:19]
	v_add_u32_e32 v8, s10, v0
	v_cmp_le_u64_e32 vcc, s[8:9], v[8:9]
	s_or_b64 s[16:17], vcc, s[12:13]
	s_and_saveexec_b64 s[18:19], s[16:17]
	s_xor_b64 s[16:17], exec, s[18:19]
; %bb.13:                               ;   in Loop: Header=BB540_8 Depth=1
	ds_write_b128 v29, v[32:35]
; %bb.14:                               ;   in Loop: Header=BB540_8 Depth=1
	s_andn2_saveexec_b64 s[16:17], s[16:17]
	s_cbranch_execz .LBB540_7
; %bb.15:                               ;   in Loop: Header=BB540_8 Depth=1
	v_lshl_add_u64 v[36:37], v[8:9], 4, v[6:7]
	flat_load_dwordx4 v[36:39], v[36:37]
	s_waitcnt vmcnt(0) lgkmcnt(0)
	ds_write2_b64 v29, v[36:37], v[38:39] offset1:1
	s_branch .LBB540_7
.LBB540_16:                             ;   in Loop: Header=BB540_8 Depth=1
	v_add_u32_e32 v8, s10, v2
	v_cmp_le_u64_e32 vcc, s[8:9], v[8:9]
	s_andn2_b64 s[20:21], s[2:3], exec
	s_and_b64 s[22:23], vcc, exec
	s_mov_b64 s[16:17], exec
	s_or_b64 s[20:21], s[20:21], s[22:23]
	v_mov_b64_e32 v[10:11], v[8:9]
	s_or_b64 exec, exec, s[18:19]
	s_and_saveexec_b64 s[18:19], s[20:21]
	s_xor_b64 s[18:19], exec, s[18:19]
	s_cbranch_execz .LBB540_10
.LBB540_17:                             ;   in Loop: Header=BB540_8 Depth=1
	ds_write_b128 v28, v[32:35]
	s_andn2_b64 s[16:17], s[16:17], exec
	s_or_b64 exec, exec, s[18:19]
	s_and_saveexec_b64 s[18:19], s[16:17]
	s_cbranch_execnz .LBB540_11
	s_branch .LBB540_12
.LBB540_18:
	s_lshl_b64 s[0:1], s[30:31], 4
	v_add_u32_e32 v10, s26, v3
	s_waitcnt lgkmcnt(0)
	s_add_u32 s4, s4, s0
	v_ashrrev_i32_e32 v0, 31, v10
	s_addc_u32 s5, s5, s1
	v_add_u32_e32 v4, s25, v1
	v_cmp_neq_f64_e64 s[0:1], s[36:37], 0
	s_xor_b64 s[6:7], s[6:7], -1
	v_mul_lo_u32 v2, s28, v0
	v_mul_lo_u32 v3, s29, v10
	v_mad_u64_u32 v[0:1], s[8:9], s28, v10, 0
	v_add3_u32 v1, v1, v2, v3
	s_or_b64 s[0:1], s[0:1], s[6:7]
	v_cmp_gt_i32_e64 s[2:3], s24, v10
	v_lshl_add_u64 v[8:9], v[0:1], 4, s[4:5]
	v_cmp_le_i32_e32 vcc, v4, v10
	v_cndmask_b32_e64 v0, 0, 1, s[0:1]
	s_and_b64 s[8:9], s[2:3], vcc
	v_ashrrev_i32_e32 v5, 31, v4
	v_cmp_ne_u32_e64 s[0:1], 1, v0
	s_and_saveexec_b64 s[6:7], s[8:9]
	s_cbranch_execz .LBB540_22
; %bb.19:
	v_mul_f64 v[0:1], s[42:43], v[26:27]
	v_mul_f64 v[2:3], s[40:41], v[26:27]
	v_fma_f64 v[0:1], s[40:41], v[24:25], -v[0:1]
	v_fmac_f64_e32 v[2:3], s[42:43], v[24:25]
	s_and_b64 vcc, exec, s[0:1]
	v_lshl_add_u64 v[6:7], v[4:5], 4, v[8:9]
	s_cbranch_vccnz .LBB540_21
; %bb.20:
	flat_load_dwordx4 v[24:27], v[6:7]
	s_waitcnt vmcnt(0) lgkmcnt(0)
	v_mul_f64 v[28:29], s[38:39], v[26:27]
	v_mul_f64 v[26:27], s[36:37], v[26:27]
	v_fma_f64 v[28:29], s[36:37], v[24:25], -v[28:29]
	v_fmac_f64_e32 v[26:27], s[38:39], v[24:25]
	v_add_f64 v[0:1], v[0:1], v[28:29]
	v_add_f64 v[2:3], v[2:3], v[26:27]
.LBB540_21:
	flat_store_dwordx4 v[6:7], v[0:3]
.LBB540_22:
	s_or_b64 exec, exec, s[6:7]
	v_add_u32_e32 v6, 16, v4
	v_cmp_le_i32_e32 vcc, v6, v10
	s_and_b64 s[6:7], s[2:3], vcc
	v_ashrrev_i32_e32 v7, 31, v6
	s_and_saveexec_b64 s[2:3], s[6:7]
	s_cbranch_execz .LBB540_26
; %bb.23:
	v_mul_f64 v[0:1], s[42:43], v[22:23]
	v_mul_f64 v[2:3], s[40:41], v[22:23]
	v_fma_f64 v[0:1], s[40:41], v[20:21], -v[0:1]
	v_fmac_f64_e32 v[2:3], s[42:43], v[20:21]
	s_and_b64 vcc, exec, s[0:1]
	v_lshl_add_u64 v[8:9], v[6:7], 4, v[8:9]
	s_cbranch_vccnz .LBB540_25
; %bb.24:
	flat_load_dwordx4 v[20:23], v[8:9]
	s_waitcnt vmcnt(0) lgkmcnt(0)
	v_mul_f64 v[24:25], s[38:39], v[22:23]
	v_mul_f64 v[22:23], s[36:37], v[22:23]
	v_fma_f64 v[24:25], s[36:37], v[20:21], -v[24:25]
	v_fmac_f64_e32 v[22:23], s[38:39], v[20:21]
	v_add_f64 v[0:1], v[0:1], v[24:25]
	v_add_f64 v[2:3], v[2:3], v[22:23]
.LBB540_25:
	flat_store_dwordx4 v[8:9], v[0:3]
.LBB540_26:
	s_or_b64 exec, exec, s[2:3]
	v_add_u32_e32 v10, 16, v10
	v_ashrrev_i32_e32 v0, 31, v10
	v_mul_lo_u32 v2, s28, v0
	v_mul_lo_u32 v3, s29, v10
	v_mad_u64_u32 v[0:1], s[6:7], s28, v10, 0
	v_cmp_gt_i32_e64 s[2:3], s24, v10
	v_add3_u32 v1, v1, v2, v3
	v_cmp_le_i32_e32 vcc, v4, v10
	v_lshl_add_u64 v[8:9], v[0:1], 4, s[4:5]
	s_and_b64 s[6:7], s[2:3], vcc
	s_and_saveexec_b64 s[4:5], s[6:7]
	s_cbranch_execz .LBB540_30
; %bb.27:
	v_mul_f64 v[0:1], s[42:43], v[18:19]
	v_mul_f64 v[2:3], s[40:41], v[18:19]
	v_fma_f64 v[0:1], s[40:41], v[16:17], -v[0:1]
	v_fmac_f64_e32 v[2:3], s[42:43], v[16:17]
	s_and_b64 vcc, exec, s[0:1]
	v_lshl_add_u64 v[4:5], v[4:5], 4, v[8:9]
	s_cbranch_vccnz .LBB540_29
; %bb.28:
	flat_load_dwordx4 v[16:19], v[4:5]
	s_waitcnt vmcnt(0) lgkmcnt(0)
	v_mul_f64 v[20:21], s[38:39], v[18:19]
	v_mul_f64 v[18:19], s[36:37], v[18:19]
	v_fma_f64 v[20:21], s[36:37], v[16:17], -v[20:21]
	v_fmac_f64_e32 v[18:19], s[38:39], v[16:17]
	v_add_f64 v[0:1], v[0:1], v[20:21]
	v_add_f64 v[2:3], v[2:3], v[18:19]
.LBB540_29:
	flat_store_dwordx4 v[4:5], v[0:3]
.LBB540_30:
	s_or_b64 exec, exec, s[4:5]
	v_cmp_le_i32_e32 vcc, v6, v10
	s_and_b64 s[2:3], s[2:3], vcc
	s_and_saveexec_b64 s[4:5], s[2:3]
	s_cbranch_execz .LBB540_34
; %bb.31:
	v_mul_f64 v[0:1], s[42:43], v[12:13]
	v_mul_f64 v[2:3], s[40:41], v[12:13]
	v_fma_f64 v[0:1], s[40:41], v[14:15], -v[0:1]
	v_fmac_f64_e32 v[2:3], s[42:43], v[14:15]
	s_and_b64 vcc, exec, s[0:1]
	v_lshl_add_u64 v[4:5], v[6:7], 4, v[8:9]
	s_cbranch_vccnz .LBB540_33
; %bb.32:
	flat_load_dwordx4 v[6:9], v[4:5]
	s_waitcnt vmcnt(0) lgkmcnt(0)
	v_mul_f64 v[10:11], s[38:39], v[8:9]
	v_mul_f64 v[8:9], s[36:37], v[8:9]
	v_fma_f64 v[10:11], s[36:37], v[6:7], -v[10:11]
	v_fmac_f64_e32 v[8:9], s[38:39], v[6:7]
	v_add_f64 v[0:1], v[0:1], v[10:11]
	v_add_f64 v[2:3], v[2:3], v[8:9]
.LBB540_33:
	flat_store_dwordx4 v[4:5], v[0:3]
.LBB540_34:
	s_endpgm
	.section	.rodata,"a",@progbits
	.p2align	6, 0x0
	.amdhsa_kernel _ZL29rocblas_internal_gemmt_kernelIlLi16ELi32ELi8ELc78ELc78ELc85ELb0ELb0E19rocblas_complex_numIdEPKS1_PKS3_PKPS1_EviT_T9_T10_S9_lSB_S9_lSA_T11_S9_li
		.amdhsa_group_segment_fixed_size 8192
		.amdhsa_private_segment_fixed_size 0
		.amdhsa_kernarg_size 108
		.amdhsa_user_sgpr_count 2
		.amdhsa_user_sgpr_dispatch_ptr 0
		.amdhsa_user_sgpr_queue_ptr 0
		.amdhsa_user_sgpr_kernarg_segment_ptr 1
		.amdhsa_user_sgpr_dispatch_id 0
		.amdhsa_user_sgpr_kernarg_preload_length 0
		.amdhsa_user_sgpr_kernarg_preload_offset 0
		.amdhsa_user_sgpr_private_segment_size 0
		.amdhsa_uses_dynamic_stack 0
		.amdhsa_enable_private_segment 0
		.amdhsa_system_sgpr_workgroup_id_x 1
		.amdhsa_system_sgpr_workgroup_id_y 1
		.amdhsa_system_sgpr_workgroup_id_z 1
		.amdhsa_system_sgpr_workgroup_info 0
		.amdhsa_system_vgpr_workitem_id 1
		.amdhsa_next_free_vgpr 66
		.amdhsa_next_free_sgpr 44
		.amdhsa_accum_offset 68
		.amdhsa_reserve_vcc 1
		.amdhsa_float_round_mode_32 0
		.amdhsa_float_round_mode_16_64 0
		.amdhsa_float_denorm_mode_32 3
		.amdhsa_float_denorm_mode_16_64 3
		.amdhsa_dx10_clamp 1
		.amdhsa_ieee_mode 1
		.amdhsa_fp16_overflow 0
		.amdhsa_tg_split 0
		.amdhsa_exception_fp_ieee_invalid_op 0
		.amdhsa_exception_fp_denorm_src 0
		.amdhsa_exception_fp_ieee_div_zero 0
		.amdhsa_exception_fp_ieee_overflow 0
		.amdhsa_exception_fp_ieee_underflow 0
		.amdhsa_exception_fp_ieee_inexact 0
		.amdhsa_exception_int_div_zero 0
	.end_amdhsa_kernel
	.section	.text._ZL29rocblas_internal_gemmt_kernelIlLi16ELi32ELi8ELc78ELc78ELc85ELb0ELb0E19rocblas_complex_numIdEPKS1_PKS3_PKPS1_EviT_T9_T10_S9_lSB_S9_lSA_T11_S9_li,"axG",@progbits,_ZL29rocblas_internal_gemmt_kernelIlLi16ELi32ELi8ELc78ELc78ELc85ELb0ELb0E19rocblas_complex_numIdEPKS1_PKS3_PKPS1_EviT_T9_T10_S9_lSB_S9_lSA_T11_S9_li,comdat
.Lfunc_end540:
	.size	_ZL29rocblas_internal_gemmt_kernelIlLi16ELi32ELi8ELc78ELc78ELc85ELb0ELb0E19rocblas_complex_numIdEPKS1_PKS3_PKPS1_EviT_T9_T10_S9_lSB_S9_lSA_T11_S9_li, .Lfunc_end540-_ZL29rocblas_internal_gemmt_kernelIlLi16ELi32ELi8ELc78ELc78ELc85ELb0ELb0E19rocblas_complex_numIdEPKS1_PKS3_PKPS1_EviT_T9_T10_S9_lSB_S9_lSA_T11_S9_li
                                        ; -- End function
	.set _ZL29rocblas_internal_gemmt_kernelIlLi16ELi32ELi8ELc78ELc78ELc85ELb0ELb0E19rocblas_complex_numIdEPKS1_PKS3_PKPS1_EviT_T9_T10_S9_lSB_S9_lSA_T11_S9_li.num_vgpr, 66
	.set _ZL29rocblas_internal_gemmt_kernelIlLi16ELi32ELi8ELc78ELc78ELc85ELb0ELb0E19rocblas_complex_numIdEPKS1_PKS3_PKPS1_EviT_T9_T10_S9_lSB_S9_lSA_T11_S9_li.num_agpr, 0
	.set _ZL29rocblas_internal_gemmt_kernelIlLi16ELi32ELi8ELc78ELc78ELc85ELb0ELb0E19rocblas_complex_numIdEPKS1_PKS3_PKPS1_EviT_T9_T10_S9_lSB_S9_lSA_T11_S9_li.numbered_sgpr, 44
	.set _ZL29rocblas_internal_gemmt_kernelIlLi16ELi32ELi8ELc78ELc78ELc85ELb0ELb0E19rocblas_complex_numIdEPKS1_PKS3_PKPS1_EviT_T9_T10_S9_lSB_S9_lSA_T11_S9_li.num_named_barrier, 0
	.set _ZL29rocblas_internal_gemmt_kernelIlLi16ELi32ELi8ELc78ELc78ELc85ELb0ELb0E19rocblas_complex_numIdEPKS1_PKS3_PKPS1_EviT_T9_T10_S9_lSB_S9_lSA_T11_S9_li.private_seg_size, 0
	.set _ZL29rocblas_internal_gemmt_kernelIlLi16ELi32ELi8ELc78ELc78ELc85ELb0ELb0E19rocblas_complex_numIdEPKS1_PKS3_PKPS1_EviT_T9_T10_S9_lSB_S9_lSA_T11_S9_li.uses_vcc, 1
	.set _ZL29rocblas_internal_gemmt_kernelIlLi16ELi32ELi8ELc78ELc78ELc85ELb0ELb0E19rocblas_complex_numIdEPKS1_PKS3_PKPS1_EviT_T9_T10_S9_lSB_S9_lSA_T11_S9_li.uses_flat_scratch, 0
	.set _ZL29rocblas_internal_gemmt_kernelIlLi16ELi32ELi8ELc78ELc78ELc85ELb0ELb0E19rocblas_complex_numIdEPKS1_PKS3_PKPS1_EviT_T9_T10_S9_lSB_S9_lSA_T11_S9_li.has_dyn_sized_stack, 0
	.set _ZL29rocblas_internal_gemmt_kernelIlLi16ELi32ELi8ELc78ELc78ELc85ELb0ELb0E19rocblas_complex_numIdEPKS1_PKS3_PKPS1_EviT_T9_T10_S9_lSB_S9_lSA_T11_S9_li.has_recursion, 0
	.set _ZL29rocblas_internal_gemmt_kernelIlLi16ELi32ELi8ELc78ELc78ELc85ELb0ELb0E19rocblas_complex_numIdEPKS1_PKS3_PKPS1_EviT_T9_T10_S9_lSB_S9_lSA_T11_S9_li.has_indirect_call, 0
	.section	.AMDGPU.csdata,"",@progbits
; Kernel info:
; codeLenInByte = 3248
; TotalNumSgprs: 50
; NumVgprs: 66
; NumAgprs: 0
; TotalNumVgprs: 66
; ScratchSize: 0
; MemoryBound: 0
; FloatMode: 240
; IeeeMode: 1
; LDSByteSize: 8192 bytes/workgroup (compile time only)
; SGPRBlocks: 6
; VGPRBlocks: 8
; NumSGPRsForWavesPerEU: 50
; NumVGPRsForWavesPerEU: 66
; AccumOffset: 68
; Occupancy: 7
; WaveLimiterHint : 1
; COMPUTE_PGM_RSRC2:SCRATCH_EN: 0
; COMPUTE_PGM_RSRC2:USER_SGPR: 2
; COMPUTE_PGM_RSRC2:TRAP_HANDLER: 0
; COMPUTE_PGM_RSRC2:TGID_X_EN: 1
; COMPUTE_PGM_RSRC2:TGID_Y_EN: 1
; COMPUTE_PGM_RSRC2:TGID_Z_EN: 1
; COMPUTE_PGM_RSRC2:TIDIG_COMP_CNT: 1
; COMPUTE_PGM_RSRC3_GFX90A:ACCUM_OFFSET: 16
; COMPUTE_PGM_RSRC3_GFX90A:TG_SPLIT: 0
	.section	.text._ZL29rocblas_internal_gemmt_kernelIlLi16ELi32ELi8ELc78ELc84ELc85ELb0ELb0E19rocblas_complex_numIdEPKS1_PKS3_PKPS1_EviT_T9_T10_S9_lSB_S9_lSA_T11_S9_li,"axG",@progbits,_ZL29rocblas_internal_gemmt_kernelIlLi16ELi32ELi8ELc78ELc84ELc85ELb0ELb0E19rocblas_complex_numIdEPKS1_PKS3_PKPS1_EviT_T9_T10_S9_lSB_S9_lSA_T11_S9_li,comdat
	.globl	_ZL29rocblas_internal_gemmt_kernelIlLi16ELi32ELi8ELc78ELc84ELc85ELb0ELb0E19rocblas_complex_numIdEPKS1_PKS3_PKPS1_EviT_T9_T10_S9_lSB_S9_lSA_T11_S9_li ; -- Begin function _ZL29rocblas_internal_gemmt_kernelIlLi16ELi32ELi8ELc78ELc84ELc85ELb0ELb0E19rocblas_complex_numIdEPKS1_PKS3_PKPS1_EviT_T9_T10_S9_lSB_S9_lSA_T11_S9_li
	.p2align	8
	.type	_ZL29rocblas_internal_gemmt_kernelIlLi16ELi32ELi8ELc78ELc84ELc85ELb0ELb0E19rocblas_complex_numIdEPKS1_PKS3_PKPS1_EviT_T9_T10_S9_lSB_S9_lSA_T11_S9_li,@function
_ZL29rocblas_internal_gemmt_kernelIlLi16ELi32ELi8ELc78ELc84ELc85ELb0ELb0E19rocblas_complex_numIdEPKS1_PKS3_PKPS1_EviT_T9_T10_S9_lSB_S9_lSA_T11_S9_li: ; @_ZL29rocblas_internal_gemmt_kernelIlLi16ELi32ELi8ELc78ELc84ELc85ELb0ELb0E19rocblas_complex_numIdEPKS1_PKS3_PKPS1_EviT_T9_T10_S9_lSB_S9_lSA_T11_S9_li
; %bb.0:
	s_load_dwordx8 s[24:31], s[0:1], 0x48
	s_load_dwordx16 s[8:23], s[0:1], 0x8
	s_waitcnt lgkmcnt(0)
	s_load_dwordx4 s[36:39], s[24:25], 0x0
	s_load_dwordx4 s[40:43], s[10:11], 0x0
	s_mov_b64 s[24:25], 0
	s_waitcnt lgkmcnt(0)
	v_cmp_eq_f64_e64 s[10:11], s[36:37], 1.0
	v_cmp_eq_f64_e64 s[6:7], s[38:39], 0
	s_and_b64 s[10:11], s[10:11], s[6:7]
	s_andn2_b64 vcc, exec, s[10:11]
	s_mov_b64 s[10:11], -1
	s_cbranch_vccnz .LBB541_4
; %bb.1:
	s_cmp_lg_u64 s[8:9], 0
	s_cbranch_scc0 .LBB541_3
; %bb.2:
	v_cmp_neq_f64_e64 s[10:11], s[40:41], 0
	v_cmp_neq_f64_e64 s[24:25], s[42:43], 0
	s_or_b64 s[24:25], s[10:11], s[24:25]
.LBB541_3:
	s_mov_b64 s[10:11], s[24:25]
.LBB541_4:
	s_and_b64 vcc, exec, s[10:11]
	s_cbranch_vccz .LBB541_34
; %bb.5:
	s_mov_b32 s5, 0
	s_load_dword s24, s[0:1], 0x0
	s_lshl_b64 s[0:1], s[4:5], 3
	s_add_u32 s4, s26, s0
	s_addc_u32 s5, s27, s1
	s_load_dwordx2 s[4:5], s[4:5], 0x0
	s_lshl_b32 s25, s2, 5
	s_lshl_b32 s26, s3, 5
	v_cmp_eq_f64_e64 s[2:3], s[40:41], 0
	v_cmp_eq_f64_e64 s[10:11], s[42:43], 0
	s_and_b64 s[2:3], s[2:3], s[10:11]
	v_cmp_lt_i64_e64 s[10:11], s[8:9], 1
	s_or_b64 s[2:3], s[2:3], s[10:11]
	v_and_b32_e32 v1, 0x3ff, v0
	v_bfe_u32 v3, v0, 10, 10
	v_mov_b64_e32 v[24:25], 0
	s_and_b64 vcc, exec, s[2:3]
	v_mov_b64_e32 v[26:27], 0
	v_mov_b64_e32 v[20:21], 0
	v_mov_b64_e32 v[22:23], 0
	v_mov_b64_e32 v[16:17], 0
	v_mov_b64_e32 v[18:19], 0
	v_mov_b64_e32 v[14:15], 0
	v_mov_b64_e32 v[12:13], 0
	s_cbranch_vccnz .LBB541_18
; %bb.6:
	s_add_u32 s2, s18, s0
	s_addc_u32 s3, s19, s1
	s_load_dwordx2 s[2:3], s[2:3], 0x0
	s_lshl_b64 s[10:11], s[22:23], 4
	v_lshl_add_u32 v4, v3, 4, v1
	v_and_b32_e32 v0, 7, v1
	v_lshrrev_b32_e32 v7, 3, v4
	s_waitcnt lgkmcnt(0)
	s_add_u32 s10, s2, s10
	s_addc_u32 s11, s3, s11
	s_add_u32 s0, s12, s0
	s_addc_u32 s1, s13, s1
	s_load_dwordx2 s[0:1], s[0:1], 0x0
	v_and_b32_e32 v5, 31, v4
	s_lshl_b64 s[2:3], s[16:17], 4
	v_lshlrev_b32_e32 v8, 4, v0
	v_lshrrev_b32_e32 v2, 5, v4
	v_add_u32_e32 v6, s26, v7
	v_or_b32_e32 v4, s25, v5
	s_waitcnt lgkmcnt(0)
	s_add_u32 s12, s0, s2
	v_lshlrev_b32_e32 v5, 4, v5
	v_lshl_or_b32 v7, v7, 7, v8
	s_addc_u32 s13, s1, s3
	v_lshl_or_b32 v28, v2, 9, v5
	v_ashrrev_i32_e32 v5, 31, v4
	v_cmp_gt_i32_e32 vcc, s24, v6
	v_add_u32_e32 v29, 0x1000, v7
	v_ashrrev_i32_e32 v7, 31, v6
	v_mov_b32_e32 v8, 0x1000
	v_mov_b32_e32 v9, 0
	v_cmp_gt_i32_e64 s[0:1], s24, v4
	v_cmp_le_i32_e64 s[2:3], s24, v4
	v_lshl_add_u64 v[4:5], v[4:5], 4, s[12:13]
	v_lshl_add_u64 v[6:7], v[6:7], 4, s[10:11]
	v_lshlrev_b32_e32 v30, 4, v1
	v_lshl_add_u32 v31, v3, 7, v8
	v_mov_b64_e32 v[12:13], 0
	s_mov_b64 s[10:11], 0
	s_xor_b64 s[12:13], vcc, -1
	v_mov_b32_e32 v32, v9
	v_mov_b32_e32 v33, v9
	;; [unrolled: 1-line block ×4, first 2 shown]
	v_mov_b64_e32 v[14:15], 0
	v_mov_b64_e32 v[18:19], 0
	;; [unrolled: 1-line block ×7, first 2 shown]
                                        ; implicit-def: $vgpr10_vgpr11
	s_branch .LBB541_8
.LBB541_7:                              ;   in Loop: Header=BB541_8 Depth=1
	s_or_b64 exec, exec, s[16:17]
	s_waitcnt lgkmcnt(0)
	s_barrier
	ds_read_b128 v[36:39], v30
	ds_read_b128 v[40:43], v31
	ds_read_b128 v[44:47], v31 offset:16
	ds_read_b128 v[48:51], v31 offset:32
	;; [unrolled: 1-line block ×4, first 2 shown]
	s_waitcnt lgkmcnt(4)
	v_mul_f64 v[60:61], v[42:43], v[38:39]
	v_fma_f64 v[60:61], v[40:41], v[36:37], -v[60:61]
	v_mul_f64 v[62:63], v[40:41], v[38:39]
	v_fmac_f64_e32 v[62:63], v[42:43], v[36:37]
	v_add_f64 v[60:61], v[24:25], v[60:61]
	s_waitcnt lgkmcnt(0)
	v_mul_f64 v[24:25], v[42:43], v[58:59]
	v_add_f64 v[62:63], v[62:63], v[26:27]
	v_fma_f64 v[64:65], v[40:41], v[56:57], -v[24:25]
	ds_read_b128 v[24:27], v31 offset:2048
	v_mul_f64 v[40:41], v[40:41], v[58:59]
	v_fmac_f64_e32 v[40:41], v[42:43], v[56:57]
	v_add_f64 v[42:43], v[20:21], v[64:65]
	v_add_f64 v[40:41], v[40:41], v[22:23]
	ds_read_b128 v[20:23], v31 offset:2064
	s_waitcnt lgkmcnt(1)
	v_mul_f64 v[64:65], v[26:27], v[38:39]
	v_fma_f64 v[64:65], v[24:25], v[36:37], -v[64:65]
	v_mul_f64 v[38:39], v[24:25], v[38:39]
	v_fmac_f64_e32 v[38:39], v[26:27], v[36:37]
	v_add_f64 v[36:37], v[16:17], v[64:65]
	v_mul_f64 v[16:17], v[26:27], v[58:59]
	v_add_f64 v[38:39], v[38:39], v[18:19]
	v_fma_f64 v[64:65], v[24:25], v[56:57], -v[16:17]
	v_mul_f64 v[24:25], v[24:25], v[58:59]
	ds_read_b128 v[16:19], v30 offset:512
	v_fmac_f64_e32 v[24:25], v[26:27], v[56:57]
	v_add_f64 v[26:27], v[14:15], v[64:65]
	v_add_f64 v[24:25], v[24:25], v[12:13]
	ds_read_b128 v[12:15], v30 offset:768
	s_waitcnt lgkmcnt(1)
	v_mul_f64 v[56:57], v[46:47], v[18:19]
	v_fma_f64 v[56:57], v[44:45], v[16:17], -v[56:57]
	v_add_f64 v[56:57], v[60:61], v[56:57]
	v_mul_f64 v[58:59], v[44:45], v[18:19]
	s_waitcnt lgkmcnt(0)
	v_mul_f64 v[60:61], v[46:47], v[14:15]
	v_fma_f64 v[60:61], v[44:45], v[12:13], -v[60:61]
	v_mul_f64 v[44:45], v[44:45], v[14:15]
	v_fmac_f64_e32 v[44:45], v[46:47], v[12:13]
	v_add_f64 v[40:41], v[44:45], v[40:41]
	v_mul_f64 v[44:45], v[22:23], v[18:19]
	v_mul_f64 v[18:19], v[20:21], v[18:19]
	v_fmac_f64_e32 v[58:59], v[46:47], v[16:17]
	v_fma_f64 v[44:45], v[20:21], v[16:17], -v[44:45]
	v_fmac_f64_e32 v[18:19], v[22:23], v[16:17]
	v_mul_f64 v[16:17], v[22:23], v[14:15]
	v_add_f64 v[46:47], v[18:19], v[38:39]
	v_fma_f64 v[18:19], v[20:21], v[12:13], -v[16:17]
	v_mul_f64 v[20:21], v[20:21], v[14:15]
	ds_read_b128 v[14:17], v30 offset:1024
	v_fmac_f64_e32 v[20:21], v[22:23], v[12:13]
	v_add_f64 v[42:43], v[42:43], v[60:61]
	v_add_f64 v[26:27], v[26:27], v[18:19]
	;; [unrolled: 1-line block ×3, first 2 shown]
	ds_read_b128 v[18:21], v30 offset:1280
	s_waitcnt lgkmcnt(1)
	v_mul_f64 v[22:23], v[48:49], v[16:17]
	v_add_f64 v[58:59], v[58:59], v[62:63]
	v_fmac_f64_e32 v[22:23], v[50:51], v[14:15]
	v_add_f64 v[58:59], v[22:23], v[58:59]
	ds_read_b128 v[22:25], v31 offset:2080
	v_mul_f64 v[12:13], v[50:51], v[16:17]
	v_fma_f64 v[12:13], v[48:49], v[14:15], -v[12:13]
	v_add_f64 v[44:45], v[36:37], v[44:45]
	v_add_f64 v[56:57], v[56:57], v[12:13]
	s_waitcnt lgkmcnt(1)
	v_mul_f64 v[12:13], v[50:51], v[20:21]
	v_mul_f64 v[36:37], v[48:49], v[20:21]
	v_fma_f64 v[12:13], v[48:49], v[18:19], -v[12:13]
	v_fmac_f64_e32 v[36:37], v[50:51], v[18:19]
	v_add_f64 v[42:43], v[42:43], v[12:13]
	v_add_f64 v[40:41], v[36:37], v[40:41]
	ds_read_b128 v[36:39], v31 offset:2096
	s_waitcnt lgkmcnt(1)
	v_mul_f64 v[12:13], v[24:25], v[16:17]
	v_fma_f64 v[12:13], v[22:23], v[14:15], -v[12:13]
	v_mul_f64 v[16:17], v[22:23], v[16:17]
	v_fmac_f64_e32 v[16:17], v[24:25], v[14:15]
	v_add_f64 v[44:45], v[44:45], v[12:13]
	v_mul_f64 v[12:13], v[24:25], v[20:21]
	v_add_f64 v[46:47], v[16:17], v[46:47]
	v_fma_f64 v[16:17], v[22:23], v[18:19], -v[12:13]
	ds_read_b128 v[12:15], v30 offset:1536
	v_mul_f64 v[20:21], v[22:23], v[20:21]
	v_fmac_f64_e32 v[20:21], v[24:25], v[18:19]
	v_add_f64 v[22:23], v[26:27], v[16:17]
	ds_read_b128 v[16:19], v30 offset:1792
	s_waitcnt lgkmcnt(1)
	v_mul_f64 v[24:25], v[54:55], v[14:15]
	v_fma_f64 v[24:25], v[52:53], v[12:13], -v[24:25]
	v_mul_f64 v[26:27], v[52:53], v[14:15]
	v_fmac_f64_e32 v[26:27], v[54:55], v[12:13]
	v_add_f64 v[48:49], v[56:57], v[24:25]
	s_waitcnt lgkmcnt(0)
	v_mul_f64 v[24:25], v[54:55], v[18:19]
	v_add_f64 v[50:51], v[26:27], v[58:59]
	v_fma_f64 v[24:25], v[52:53], v[16:17], -v[24:25]
	v_mul_f64 v[26:27], v[52:53], v[18:19]
	v_fmac_f64_e32 v[26:27], v[54:55], v[16:17]
	v_add_f64 v[42:43], v[42:43], v[24:25]
	v_mul_f64 v[24:25], v[38:39], v[14:15]
	v_mul_f64 v[14:15], v[36:37], v[14:15]
	v_add_f64 v[40:41], v[26:27], v[40:41]
	v_fma_f64 v[24:25], v[36:37], v[12:13], -v[24:25]
	v_fmac_f64_e32 v[14:15], v[38:39], v[12:13]
	v_mul_f64 v[12:13], v[38:39], v[18:19]
	v_mul_f64 v[26:27], v[36:37], v[18:19]
	v_add_f64 v[44:45], v[44:45], v[24:25]
	v_add_f64 v[46:47], v[14:15], v[46:47]
	v_fma_f64 v[24:25], v[36:37], v[16:17], -v[12:13]
	v_fmac_f64_e32 v[26:27], v[38:39], v[16:17]
	ds_read_b128 v[12:15], v31 offset:64
	ds_read_b128 v[16:19], v30 offset:2048
	v_add_f64 v[20:21], v[20:21], v[60:61]
	v_add_f64 v[52:53], v[22:23], v[24:25]
	;; [unrolled: 1-line block ×3, first 2 shown]
	ds_read_b128 v[20:23], v30 offset:2304
	ds_read_b128 v[24:27], v31 offset:80
	s_waitcnt lgkmcnt(2)
	v_mul_f64 v[36:37], v[14:15], v[18:19]
	v_fma_f64 v[36:37], v[12:13], v[16:17], -v[36:37]
	v_mul_f64 v[38:39], v[12:13], v[18:19]
	v_fmac_f64_e32 v[38:39], v[14:15], v[16:17]
	v_add_f64 v[48:49], v[48:49], v[36:37]
	s_waitcnt lgkmcnt(1)
	v_mul_f64 v[36:37], v[14:15], v[22:23]
	v_add_f64 v[50:51], v[38:39], v[50:51]
	v_fma_f64 v[56:57], v[12:13], v[20:21], -v[36:37]
	ds_read_b128 v[36:39], v31 offset:2112
	v_mul_f64 v[12:13], v[12:13], v[22:23]
	v_fmac_f64_e32 v[12:13], v[14:15], v[20:21]
	v_add_f64 v[42:43], v[42:43], v[56:57]
	v_add_f64 v[40:41], v[12:13], v[40:41]
	ds_read_b128 v[12:15], v31 offset:2128
	s_waitcnt lgkmcnt(1)
	v_mul_f64 v[56:57], v[38:39], v[18:19]
	v_mul_f64 v[18:19], v[36:37], v[18:19]
	v_fma_f64 v[56:57], v[36:37], v[16:17], -v[56:57]
	v_fmac_f64_e32 v[18:19], v[38:39], v[16:17]
	v_mul_f64 v[16:17], v[38:39], v[22:23]
	v_add_f64 v[44:45], v[44:45], v[56:57]
	v_add_f64 v[46:47], v[18:19], v[46:47]
	v_fma_f64 v[56:57], v[36:37], v[20:21], -v[16:17]
	v_mul_f64 v[22:23], v[36:37], v[22:23]
	ds_read_b128 v[16:19], v30 offset:2560
	v_fmac_f64_e32 v[22:23], v[38:39], v[20:21]
	v_add_f64 v[38:39], v[22:23], v[54:55]
	ds_read_b128 v[20:23], v30 offset:2816
	v_add_f64 v[36:37], v[52:53], v[56:57]
	s_waitcnt lgkmcnt(1)
	v_mul_f64 v[52:53], v[26:27], v[18:19]
	v_fma_f64 v[52:53], v[24:25], v[16:17], -v[52:53]
	v_add_f64 v[48:49], v[48:49], v[52:53]
	s_waitcnt lgkmcnt(0)
	v_mul_f64 v[52:53], v[26:27], v[22:23]
	v_mul_f64 v[54:55], v[24:25], v[18:19]
	v_fma_f64 v[52:53], v[24:25], v[20:21], -v[52:53]
	v_mul_f64 v[24:25], v[24:25], v[22:23]
	v_fmac_f64_e32 v[24:25], v[26:27], v[20:21]
	v_add_f64 v[40:41], v[24:25], v[40:41]
	v_mul_f64 v[24:25], v[14:15], v[18:19]
	v_mul_f64 v[18:19], v[12:13], v[18:19]
	v_fmac_f64_e32 v[54:55], v[26:27], v[16:17]
	v_fma_f64 v[24:25], v[12:13], v[16:17], -v[24:25]
	v_fmac_f64_e32 v[18:19], v[14:15], v[16:17]
	v_mul_f64 v[16:17], v[14:15], v[22:23]
	v_mul_f64 v[22:23], v[12:13], v[22:23]
	v_add_f64 v[44:45], v[44:45], v[24:25]
	v_add_f64 v[46:47], v[18:19], v[46:47]
	v_fma_f64 v[24:25], v[12:13], v[20:21], -v[16:17]
	v_fmac_f64_e32 v[22:23], v[14:15], v[20:21]
	ds_read_b128 v[12:15], v31 offset:96
	ds_read_b128 v[16:19], v30 offset:3072
	v_add_f64 v[50:51], v[54:55], v[50:51]
	v_add_f64 v[42:43], v[42:43], v[52:53]
	;; [unrolled: 1-line block ×4, first 2 shown]
	ds_read_b128 v[20:23], v30 offset:3328
	ds_read_b128 v[36:39], v31 offset:112
	s_waitcnt lgkmcnt(2)
	v_mul_f64 v[24:25], v[14:15], v[18:19]
	v_fma_f64 v[24:25], v[12:13], v[16:17], -v[24:25]
	v_mul_f64 v[26:27], v[12:13], v[18:19]
	v_fmac_f64_e32 v[26:27], v[14:15], v[16:17]
	v_add_f64 v[48:49], v[48:49], v[24:25]
	s_waitcnt lgkmcnt(1)
	v_mul_f64 v[24:25], v[14:15], v[22:23]
	v_add_f64 v[50:51], v[26:27], v[50:51]
	v_fma_f64 v[56:57], v[12:13], v[20:21], -v[24:25]
	ds_read_b128 v[24:27], v31 offset:2144
	v_mul_f64 v[12:13], v[12:13], v[22:23]
	v_fmac_f64_e32 v[12:13], v[14:15], v[20:21]
	v_add_f64 v[58:59], v[12:13], v[40:41]
	ds_read_b128 v[12:15], v31 offset:2160
	s_waitcnt lgkmcnt(1)
	v_mul_f64 v[40:41], v[26:27], v[18:19]
	v_mul_f64 v[18:19], v[24:25], v[18:19]
	v_fma_f64 v[40:41], v[24:25], v[16:17], -v[40:41]
	v_fmac_f64_e32 v[18:19], v[26:27], v[16:17]
	v_mul_f64 v[16:17], v[26:27], v[22:23]
	v_add_f64 v[44:45], v[44:45], v[40:41]
	v_add_f64 v[46:47], v[18:19], v[46:47]
	v_fma_f64 v[40:41], v[24:25], v[20:21], -v[16:17]
	ds_read_b128 v[16:19], v30 offset:3584
	v_add_f64 v[56:57], v[42:43], v[56:57]
	v_add_f64 v[52:53], v[52:53], v[40:41]
	ds_read_b128 v[40:43], v30 offset:3840
	v_mul_f64 v[22:23], v[24:25], v[22:23]
	v_fmac_f64_e32 v[22:23], v[26:27], v[20:21]
	s_waitcnt lgkmcnt(1)
	v_mul_f64 v[20:21], v[38:39], v[18:19]
	v_add_f64 v[54:55], v[22:23], v[54:55]
	v_fma_f64 v[20:21], v[36:37], v[16:17], -v[20:21]
	v_mul_f64 v[22:23], v[36:37], v[18:19]
	v_fmac_f64_e32 v[22:23], v[38:39], v[16:17]
	v_add_f64 v[24:25], v[48:49], v[20:21]
	s_waitcnt lgkmcnt(0)
	v_mul_f64 v[20:21], v[38:39], v[42:43]
	v_add_f64 v[26:27], v[22:23], v[50:51]
	v_fma_f64 v[20:21], v[36:37], v[40:41], -v[20:21]
	v_mul_f64 v[22:23], v[36:37], v[42:43]
	v_mul_f64 v[36:37], v[14:15], v[18:19]
	v_fma_f64 v[36:37], v[12:13], v[16:17], -v[36:37]
	v_mul_f64 v[18:19], v[12:13], v[18:19]
	v_fmac_f64_e32 v[18:19], v[14:15], v[16:17]
	v_add_f64 v[16:17], v[44:45], v[36:37]
	v_mul_f64 v[36:37], v[14:15], v[42:43]
	s_add_u32 s10, s10, 8
	v_fma_f64 v[36:37], v[12:13], v[40:41], -v[36:37]
	v_mul_f64 v[12:13], v[12:13], v[42:43]
	s_addc_u32 s11, s11, 0
	v_fmac_f64_e32 v[12:13], v[14:15], v[40:41]
	v_add_f64 v[14:15], v[52:53], v[36:37]
	v_mov_b64_e32 v[36:37], s[10:11]
	v_fmac_f64_e32 v[22:23], v[38:39], v[40:41]
	v_cmp_gt_i64_e32 vcc, s[8:9], v[36:37]
	v_add_f64 v[20:21], v[56:57], v[20:21]
	v_add_f64 v[22:23], v[22:23], v[58:59]
	;; [unrolled: 1-line block ×4, first 2 shown]
	s_barrier
	s_cbranch_vccz .LBB541_18
.LBB541_8:                              ; =>This Inner Loop Header: Depth=1
	s_mov_b64 s[22:23], s[2:3]
	s_mov_b64 s[16:17], 0
	s_and_saveexec_b64 s[18:19], s[0:1]
	s_cbranch_execnz .LBB541_16
; %bb.9:                                ;   in Loop: Header=BB541_8 Depth=1
	s_or_b64 exec, exec, s[18:19]
	s_and_saveexec_b64 s[18:19], s[22:23]
	s_xor_b64 s[18:19], exec, s[18:19]
	s_cbranch_execnz .LBB541_17
.LBB541_10:                             ;   in Loop: Header=BB541_8 Depth=1
	s_or_b64 exec, exec, s[18:19]
	s_and_saveexec_b64 s[18:19], s[16:17]
	s_cbranch_execz .LBB541_12
.LBB541_11:                             ;   in Loop: Header=BB541_8 Depth=1
	v_mul_lo_u32 v8, s15, v10
	v_mul_lo_u32 v38, s14, v11
	v_mad_u64_u32 v[36:37], s[16:17], s14, v10, 0
	v_add3_u32 v37, v37, v38, v8
	v_lshl_add_u64 v[36:37], v[36:37], 4, v[4:5]
	flat_load_dwordx4 v[36:39], v[36:37]
	s_waitcnt vmcnt(0) lgkmcnt(0)
	ds_write2_b64 v28, v[36:37], v[38:39] offset1:1
.LBB541_12:                             ;   in Loop: Header=BB541_8 Depth=1
	s_or_b64 exec, exec, s[18:19]
	v_add_u32_e32 v8, s10, v0
	v_cmp_le_u64_e32 vcc, s[8:9], v[8:9]
	s_or_b64 s[16:17], vcc, s[12:13]
	s_and_saveexec_b64 s[18:19], s[16:17]
	s_xor_b64 s[16:17], exec, s[18:19]
; %bb.13:                               ;   in Loop: Header=BB541_8 Depth=1
	ds_write_b128 v29, v[32:35]
; %bb.14:                               ;   in Loop: Header=BB541_8 Depth=1
	s_andn2_saveexec_b64 s[16:17], s[16:17]
	s_cbranch_execz .LBB541_7
; %bb.15:                               ;   in Loop: Header=BB541_8 Depth=1
	v_mad_u64_u32 v[36:37], s[18:19], s20, v8, 0
	v_mov_b32_e32 v38, v37
	v_mad_u64_u32 v[38:39], s[18:19], s21, v8, v[38:39]
	v_mov_b32_e32 v37, v38
	v_lshl_add_u64 v[36:37], v[36:37], 4, v[6:7]
	flat_load_dwordx4 v[36:39], v[36:37]
	s_waitcnt vmcnt(0) lgkmcnt(0)
	ds_write2_b64 v29, v[36:37], v[38:39] offset1:1
	s_branch .LBB541_7
.LBB541_16:                             ;   in Loop: Header=BB541_8 Depth=1
	v_add_u32_e32 v8, s10, v2
	v_cmp_le_u64_e32 vcc, s[8:9], v[8:9]
	s_andn2_b64 s[22:23], s[2:3], exec
	s_and_b64 s[34:35], vcc, exec
	s_mov_b64 s[16:17], exec
	s_or_b64 s[22:23], s[22:23], s[34:35]
	v_mov_b64_e32 v[10:11], v[8:9]
	s_or_b64 exec, exec, s[18:19]
	s_and_saveexec_b64 s[18:19], s[22:23]
	s_xor_b64 s[18:19], exec, s[18:19]
	s_cbranch_execz .LBB541_10
.LBB541_17:                             ;   in Loop: Header=BB541_8 Depth=1
	ds_write_b128 v28, v[32:35]
	s_andn2_b64 s[16:17], s[16:17], exec
	s_or_b64 exec, exec, s[18:19]
	s_and_saveexec_b64 s[18:19], s[16:17]
	s_cbranch_execnz .LBB541_11
	s_branch .LBB541_12
.LBB541_18:
	s_lshl_b64 s[0:1], s[30:31], 4
	v_add_u32_e32 v10, s26, v3
	s_waitcnt lgkmcnt(0)
	s_add_u32 s4, s4, s0
	v_ashrrev_i32_e32 v0, 31, v10
	s_addc_u32 s5, s5, s1
	v_add_u32_e32 v4, s25, v1
	v_cmp_neq_f64_e64 s[0:1], s[36:37], 0
	s_xor_b64 s[6:7], s[6:7], -1
	v_mul_lo_u32 v2, s28, v0
	v_mul_lo_u32 v3, s29, v10
	v_mad_u64_u32 v[0:1], s[8:9], s28, v10, 0
	v_add3_u32 v1, v1, v2, v3
	s_or_b64 s[0:1], s[0:1], s[6:7]
	v_cmp_gt_i32_e64 s[2:3], s24, v10
	v_lshl_add_u64 v[8:9], v[0:1], 4, s[4:5]
	v_cmp_le_i32_e32 vcc, v4, v10
	v_cndmask_b32_e64 v0, 0, 1, s[0:1]
	s_and_b64 s[8:9], s[2:3], vcc
	v_ashrrev_i32_e32 v5, 31, v4
	v_cmp_ne_u32_e64 s[0:1], 1, v0
	s_and_saveexec_b64 s[6:7], s[8:9]
	s_cbranch_execz .LBB541_22
; %bb.19:
	v_mul_f64 v[0:1], s[42:43], v[26:27]
	v_mul_f64 v[2:3], s[40:41], v[26:27]
	v_fma_f64 v[0:1], s[40:41], v[24:25], -v[0:1]
	v_fmac_f64_e32 v[2:3], s[42:43], v[24:25]
	s_and_b64 vcc, exec, s[0:1]
	v_lshl_add_u64 v[6:7], v[4:5], 4, v[8:9]
	s_cbranch_vccnz .LBB541_21
; %bb.20:
	flat_load_dwordx4 v[24:27], v[6:7]
	s_waitcnt vmcnt(0) lgkmcnt(0)
	v_mul_f64 v[28:29], s[38:39], v[26:27]
	v_mul_f64 v[26:27], s[36:37], v[26:27]
	v_fma_f64 v[28:29], s[36:37], v[24:25], -v[28:29]
	v_fmac_f64_e32 v[26:27], s[38:39], v[24:25]
	v_add_f64 v[0:1], v[0:1], v[28:29]
	v_add_f64 v[2:3], v[2:3], v[26:27]
.LBB541_21:
	flat_store_dwordx4 v[6:7], v[0:3]
.LBB541_22:
	s_or_b64 exec, exec, s[6:7]
	v_add_u32_e32 v6, 16, v4
	v_cmp_le_i32_e32 vcc, v6, v10
	s_and_b64 s[6:7], s[2:3], vcc
	v_ashrrev_i32_e32 v7, 31, v6
	s_and_saveexec_b64 s[2:3], s[6:7]
	s_cbranch_execz .LBB541_26
; %bb.23:
	v_mul_f64 v[0:1], s[42:43], v[22:23]
	v_mul_f64 v[2:3], s[40:41], v[22:23]
	v_fma_f64 v[0:1], s[40:41], v[20:21], -v[0:1]
	v_fmac_f64_e32 v[2:3], s[42:43], v[20:21]
	s_and_b64 vcc, exec, s[0:1]
	v_lshl_add_u64 v[8:9], v[6:7], 4, v[8:9]
	s_cbranch_vccnz .LBB541_25
; %bb.24:
	flat_load_dwordx4 v[20:23], v[8:9]
	s_waitcnt vmcnt(0) lgkmcnt(0)
	v_mul_f64 v[24:25], s[38:39], v[22:23]
	v_mul_f64 v[22:23], s[36:37], v[22:23]
	v_fma_f64 v[24:25], s[36:37], v[20:21], -v[24:25]
	v_fmac_f64_e32 v[22:23], s[38:39], v[20:21]
	v_add_f64 v[0:1], v[0:1], v[24:25]
	v_add_f64 v[2:3], v[2:3], v[22:23]
.LBB541_25:
	flat_store_dwordx4 v[8:9], v[0:3]
.LBB541_26:
	s_or_b64 exec, exec, s[2:3]
	v_add_u32_e32 v10, 16, v10
	v_ashrrev_i32_e32 v0, 31, v10
	v_mul_lo_u32 v2, s28, v0
	v_mul_lo_u32 v3, s29, v10
	v_mad_u64_u32 v[0:1], s[6:7], s28, v10, 0
	v_cmp_gt_i32_e64 s[2:3], s24, v10
	v_add3_u32 v1, v1, v2, v3
	v_cmp_le_i32_e32 vcc, v4, v10
	v_lshl_add_u64 v[8:9], v[0:1], 4, s[4:5]
	s_and_b64 s[6:7], s[2:3], vcc
	s_and_saveexec_b64 s[4:5], s[6:7]
	s_cbranch_execz .LBB541_30
; %bb.27:
	v_mul_f64 v[0:1], s[42:43], v[18:19]
	v_mul_f64 v[2:3], s[40:41], v[18:19]
	v_fma_f64 v[0:1], s[40:41], v[16:17], -v[0:1]
	v_fmac_f64_e32 v[2:3], s[42:43], v[16:17]
	s_and_b64 vcc, exec, s[0:1]
	v_lshl_add_u64 v[4:5], v[4:5], 4, v[8:9]
	s_cbranch_vccnz .LBB541_29
; %bb.28:
	flat_load_dwordx4 v[16:19], v[4:5]
	s_waitcnt vmcnt(0) lgkmcnt(0)
	v_mul_f64 v[20:21], s[38:39], v[18:19]
	v_mul_f64 v[18:19], s[36:37], v[18:19]
	v_fma_f64 v[20:21], s[36:37], v[16:17], -v[20:21]
	v_fmac_f64_e32 v[18:19], s[38:39], v[16:17]
	v_add_f64 v[0:1], v[0:1], v[20:21]
	v_add_f64 v[2:3], v[2:3], v[18:19]
.LBB541_29:
	flat_store_dwordx4 v[4:5], v[0:3]
.LBB541_30:
	s_or_b64 exec, exec, s[4:5]
	v_cmp_le_i32_e32 vcc, v6, v10
	s_and_b64 s[2:3], s[2:3], vcc
	s_and_saveexec_b64 s[4:5], s[2:3]
	s_cbranch_execz .LBB541_34
; %bb.31:
	v_mul_f64 v[0:1], s[42:43], v[12:13]
	v_mul_f64 v[2:3], s[40:41], v[12:13]
	v_fma_f64 v[0:1], s[40:41], v[14:15], -v[0:1]
	v_fmac_f64_e32 v[2:3], s[42:43], v[14:15]
	s_and_b64 vcc, exec, s[0:1]
	v_lshl_add_u64 v[4:5], v[6:7], 4, v[8:9]
	s_cbranch_vccnz .LBB541_33
; %bb.32:
	flat_load_dwordx4 v[6:9], v[4:5]
	s_waitcnt vmcnt(0) lgkmcnt(0)
	v_mul_f64 v[10:11], s[38:39], v[8:9]
	v_mul_f64 v[8:9], s[36:37], v[8:9]
	v_fma_f64 v[10:11], s[36:37], v[6:7], -v[10:11]
	v_fmac_f64_e32 v[8:9], s[38:39], v[6:7]
	v_add_f64 v[0:1], v[0:1], v[10:11]
	v_add_f64 v[2:3], v[2:3], v[8:9]
.LBB541_33:
	flat_store_dwordx4 v[4:5], v[0:3]
.LBB541_34:
	s_endpgm
	.section	.rodata,"a",@progbits
	.p2align	6, 0x0
	.amdhsa_kernel _ZL29rocblas_internal_gemmt_kernelIlLi16ELi32ELi8ELc78ELc84ELc85ELb0ELb0E19rocblas_complex_numIdEPKS1_PKS3_PKPS1_EviT_T9_T10_S9_lSB_S9_lSA_T11_S9_li
		.amdhsa_group_segment_fixed_size 8192
		.amdhsa_private_segment_fixed_size 0
		.amdhsa_kernarg_size 108
		.amdhsa_user_sgpr_count 2
		.amdhsa_user_sgpr_dispatch_ptr 0
		.amdhsa_user_sgpr_queue_ptr 0
		.amdhsa_user_sgpr_kernarg_segment_ptr 1
		.amdhsa_user_sgpr_dispatch_id 0
		.amdhsa_user_sgpr_kernarg_preload_length 0
		.amdhsa_user_sgpr_kernarg_preload_offset 0
		.amdhsa_user_sgpr_private_segment_size 0
		.amdhsa_uses_dynamic_stack 0
		.amdhsa_enable_private_segment 0
		.amdhsa_system_sgpr_workgroup_id_x 1
		.amdhsa_system_sgpr_workgroup_id_y 1
		.amdhsa_system_sgpr_workgroup_id_z 1
		.amdhsa_system_sgpr_workgroup_info 0
		.amdhsa_system_vgpr_workitem_id 1
		.amdhsa_next_free_vgpr 66
		.amdhsa_next_free_sgpr 44
		.amdhsa_accum_offset 68
		.amdhsa_reserve_vcc 1
		.amdhsa_float_round_mode_32 0
		.amdhsa_float_round_mode_16_64 0
		.amdhsa_float_denorm_mode_32 3
		.amdhsa_float_denorm_mode_16_64 3
		.amdhsa_dx10_clamp 1
		.amdhsa_ieee_mode 1
		.amdhsa_fp16_overflow 0
		.amdhsa_tg_split 0
		.amdhsa_exception_fp_ieee_invalid_op 0
		.amdhsa_exception_fp_denorm_src 0
		.amdhsa_exception_fp_ieee_div_zero 0
		.amdhsa_exception_fp_ieee_overflow 0
		.amdhsa_exception_fp_ieee_underflow 0
		.amdhsa_exception_fp_ieee_inexact 0
		.amdhsa_exception_int_div_zero 0
	.end_amdhsa_kernel
	.section	.text._ZL29rocblas_internal_gemmt_kernelIlLi16ELi32ELi8ELc78ELc84ELc85ELb0ELb0E19rocblas_complex_numIdEPKS1_PKS3_PKPS1_EviT_T9_T10_S9_lSB_S9_lSA_T11_S9_li,"axG",@progbits,_ZL29rocblas_internal_gemmt_kernelIlLi16ELi32ELi8ELc78ELc84ELc85ELb0ELb0E19rocblas_complex_numIdEPKS1_PKS3_PKPS1_EviT_T9_T10_S9_lSB_S9_lSA_T11_S9_li,comdat
.Lfunc_end541:
	.size	_ZL29rocblas_internal_gemmt_kernelIlLi16ELi32ELi8ELc78ELc84ELc85ELb0ELb0E19rocblas_complex_numIdEPKS1_PKS3_PKPS1_EviT_T9_T10_S9_lSB_S9_lSA_T11_S9_li, .Lfunc_end541-_ZL29rocblas_internal_gemmt_kernelIlLi16ELi32ELi8ELc78ELc84ELc85ELb0ELb0E19rocblas_complex_numIdEPKS1_PKS3_PKPS1_EviT_T9_T10_S9_lSB_S9_lSA_T11_S9_li
                                        ; -- End function
	.set _ZL29rocblas_internal_gemmt_kernelIlLi16ELi32ELi8ELc78ELc84ELc85ELb0ELb0E19rocblas_complex_numIdEPKS1_PKS3_PKPS1_EviT_T9_T10_S9_lSB_S9_lSA_T11_S9_li.num_vgpr, 66
	.set _ZL29rocblas_internal_gemmt_kernelIlLi16ELi32ELi8ELc78ELc84ELc85ELb0ELb0E19rocblas_complex_numIdEPKS1_PKS3_PKPS1_EviT_T9_T10_S9_lSB_S9_lSA_T11_S9_li.num_agpr, 0
	.set _ZL29rocblas_internal_gemmt_kernelIlLi16ELi32ELi8ELc78ELc84ELc85ELb0ELb0E19rocblas_complex_numIdEPKS1_PKS3_PKPS1_EviT_T9_T10_S9_lSB_S9_lSA_T11_S9_li.numbered_sgpr, 44
	.set _ZL29rocblas_internal_gemmt_kernelIlLi16ELi32ELi8ELc78ELc84ELc85ELb0ELb0E19rocblas_complex_numIdEPKS1_PKS3_PKPS1_EviT_T9_T10_S9_lSB_S9_lSA_T11_S9_li.num_named_barrier, 0
	.set _ZL29rocblas_internal_gemmt_kernelIlLi16ELi32ELi8ELc78ELc84ELc85ELb0ELb0E19rocblas_complex_numIdEPKS1_PKS3_PKPS1_EviT_T9_T10_S9_lSB_S9_lSA_T11_S9_li.private_seg_size, 0
	.set _ZL29rocblas_internal_gemmt_kernelIlLi16ELi32ELi8ELc78ELc84ELc85ELb0ELb0E19rocblas_complex_numIdEPKS1_PKS3_PKPS1_EviT_T9_T10_S9_lSB_S9_lSA_T11_S9_li.uses_vcc, 1
	.set _ZL29rocblas_internal_gemmt_kernelIlLi16ELi32ELi8ELc78ELc84ELc85ELb0ELb0E19rocblas_complex_numIdEPKS1_PKS3_PKPS1_EviT_T9_T10_S9_lSB_S9_lSA_T11_S9_li.uses_flat_scratch, 0
	.set _ZL29rocblas_internal_gemmt_kernelIlLi16ELi32ELi8ELc78ELc84ELc85ELb0ELb0E19rocblas_complex_numIdEPKS1_PKS3_PKPS1_EviT_T9_T10_S9_lSB_S9_lSA_T11_S9_li.has_dyn_sized_stack, 0
	.set _ZL29rocblas_internal_gemmt_kernelIlLi16ELi32ELi8ELc78ELc84ELc85ELb0ELb0E19rocblas_complex_numIdEPKS1_PKS3_PKPS1_EviT_T9_T10_S9_lSB_S9_lSA_T11_S9_li.has_recursion, 0
	.set _ZL29rocblas_internal_gemmt_kernelIlLi16ELi32ELi8ELc78ELc84ELc85ELb0ELb0E19rocblas_complex_numIdEPKS1_PKS3_PKPS1_EviT_T9_T10_S9_lSB_S9_lSA_T11_S9_li.has_indirect_call, 0
	.section	.AMDGPU.csdata,"",@progbits
; Kernel info:
; codeLenInByte = 3240
; TotalNumSgprs: 50
; NumVgprs: 66
; NumAgprs: 0
; TotalNumVgprs: 66
; ScratchSize: 0
; MemoryBound: 0
; FloatMode: 240
; IeeeMode: 1
; LDSByteSize: 8192 bytes/workgroup (compile time only)
; SGPRBlocks: 6
; VGPRBlocks: 8
; NumSGPRsForWavesPerEU: 50
; NumVGPRsForWavesPerEU: 66
; AccumOffset: 68
; Occupancy: 7
; WaveLimiterHint : 1
; COMPUTE_PGM_RSRC2:SCRATCH_EN: 0
; COMPUTE_PGM_RSRC2:USER_SGPR: 2
; COMPUTE_PGM_RSRC2:TRAP_HANDLER: 0
; COMPUTE_PGM_RSRC2:TGID_X_EN: 1
; COMPUTE_PGM_RSRC2:TGID_Y_EN: 1
; COMPUTE_PGM_RSRC2:TGID_Z_EN: 1
; COMPUTE_PGM_RSRC2:TIDIG_COMP_CNT: 1
; COMPUTE_PGM_RSRC3_GFX90A:ACCUM_OFFSET: 16
; COMPUTE_PGM_RSRC3_GFX90A:TG_SPLIT: 0
	.section	.text._ZL29rocblas_internal_gemmt_kernelIlLi16ELi32ELi8ELc78ELc67ELc85ELb0ELb1E19rocblas_complex_numIdEPKS1_PKS3_PKPS1_EviT_T9_T10_S9_lSB_S9_lSA_T11_S9_li,"axG",@progbits,_ZL29rocblas_internal_gemmt_kernelIlLi16ELi32ELi8ELc78ELc67ELc85ELb0ELb1E19rocblas_complex_numIdEPKS1_PKS3_PKPS1_EviT_T9_T10_S9_lSB_S9_lSA_T11_S9_li,comdat
	.globl	_ZL29rocblas_internal_gemmt_kernelIlLi16ELi32ELi8ELc78ELc67ELc85ELb0ELb1E19rocblas_complex_numIdEPKS1_PKS3_PKPS1_EviT_T9_T10_S9_lSB_S9_lSA_T11_S9_li ; -- Begin function _ZL29rocblas_internal_gemmt_kernelIlLi16ELi32ELi8ELc78ELc67ELc85ELb0ELb1E19rocblas_complex_numIdEPKS1_PKS3_PKPS1_EviT_T9_T10_S9_lSB_S9_lSA_T11_S9_li
	.p2align	8
	.type	_ZL29rocblas_internal_gemmt_kernelIlLi16ELi32ELi8ELc78ELc67ELc85ELb0ELb1E19rocblas_complex_numIdEPKS1_PKS3_PKPS1_EviT_T9_T10_S9_lSB_S9_lSA_T11_S9_li,@function
_ZL29rocblas_internal_gemmt_kernelIlLi16ELi32ELi8ELc78ELc67ELc85ELb0ELb1E19rocblas_complex_numIdEPKS1_PKS3_PKPS1_EviT_T9_T10_S9_lSB_S9_lSA_T11_S9_li: ; @_ZL29rocblas_internal_gemmt_kernelIlLi16ELi32ELi8ELc78ELc67ELc85ELb0ELb1E19rocblas_complex_numIdEPKS1_PKS3_PKPS1_EviT_T9_T10_S9_lSB_S9_lSA_T11_S9_li
; %bb.0:
	s_load_dwordx8 s[24:31], s[0:1], 0x48
	s_load_dwordx16 s[8:23], s[0:1], 0x8
	s_waitcnt lgkmcnt(0)
	s_load_dwordx4 s[36:39], s[24:25], 0x0
	s_load_dwordx4 s[40:43], s[10:11], 0x0
	s_mov_b64 s[24:25], 0
	s_waitcnt lgkmcnt(0)
	v_cmp_eq_f64_e64 s[10:11], s[36:37], 1.0
	v_cmp_eq_f64_e64 s[6:7], s[38:39], 0
	s_and_b64 s[10:11], s[10:11], s[6:7]
	s_andn2_b64 vcc, exec, s[10:11]
	s_mov_b64 s[10:11], -1
	s_cbranch_vccnz .LBB542_4
; %bb.1:
	s_cmp_lg_u64 s[8:9], 0
	s_cbranch_scc0 .LBB542_3
; %bb.2:
	v_cmp_neq_f64_e64 s[10:11], s[40:41], 0
	v_cmp_neq_f64_e64 s[24:25], s[42:43], 0
	s_or_b64 s[24:25], s[10:11], s[24:25]
.LBB542_3:
	s_mov_b64 s[10:11], s[24:25]
.LBB542_4:
	s_and_b64 vcc, exec, s[10:11]
	s_cbranch_vccz .LBB542_32
; %bb.5:
	s_mov_b32 s5, 0
	s_load_dword s24, s[0:1], 0x0
	s_lshl_b64 s[0:1], s[4:5], 3
	s_add_u32 s4, s26, s0
	s_addc_u32 s5, s27, s1
	s_load_dwordx2 s[4:5], s[4:5], 0x0
	s_lshl_b32 s25, s2, 5
	s_lshl_b32 s26, s3, 5
	v_cmp_eq_f64_e64 s[2:3], s[40:41], 0
	v_cmp_eq_f64_e64 s[10:11], s[42:43], 0
	s_and_b64 s[2:3], s[2:3], s[10:11]
	v_cmp_lt_i64_e64 s[10:11], s[8:9], 1
	s_or_b64 s[2:3], s[2:3], s[10:11]
	v_and_b32_e32 v5, 0x3ff, v0
	v_bfe_u32 v7, v0, 10, 10
	v_mov_b64_e32 v[28:29], 0
	s_and_b64 vcc, exec, s[2:3]
	v_mov_b64_e32 v[30:31], 0
	v_mov_b64_e32 v[24:25], 0
	;; [unrolled: 1-line block ×7, first 2 shown]
	s_cbranch_vccnz .LBB542_16
; %bb.6:
	s_add_u32 s2, s18, s0
	s_addc_u32 s3, s19, s1
	s_load_dwordx2 s[2:3], s[2:3], 0x0
	s_lshl_b64 s[10:11], s[22:23], 4
	v_lshl_add_u32 v1, v7, 4, v5
	v_lshrrev_b32_e32 v6, 5, v1
	v_lshrrev_b32_e32 v10, 3, v1
	s_waitcnt lgkmcnt(0)
	s_add_u32 s18, s2, s10
	s_addc_u32 s19, s3, s11
	s_add_u32 s0, s12, s0
	s_addc_u32 s1, s13, s1
	s_load_dwordx2 s[0:1], s[0:1], 0x0
	v_and_b32_e32 v1, 31, v1
	v_and_b32_e32 v4, 7, v5
	v_or_b32_e32 v2, s25, v1
	v_lshlrev_b32_e32 v1, 4, v1
	s_lshl_b64 s[2:3], s[16:17], 4
	v_lshl_or_b32 v32, v6, 9, v1
	v_lshlrev_b32_e32 v1, 4, v4
	v_add_u32_e32 v0, s26, v10
	s_waitcnt lgkmcnt(0)
	s_add_u32 s2, s0, s2
	v_lshl_or_b32 v1, v10, 7, v1
	s_addc_u32 s3, s1, s3
	v_ashrrev_i32_e32 v3, 31, v2
	v_add_u32_e32 v33, 0x1000, v1
	v_ashrrev_i32_e32 v1, 31, v0
	v_lshl_add_u64 v[8:9], v[2:3], 4, s[2:3]
	v_cmp_gt_i32_e64 s[2:3], s24, v0
	v_lshl_add_u64 v[10:11], v[0:1], 4, s[18:19]
	v_mov_b32_e32 v0, 0x1000
	v_mov_b32_e32 v13, 0
	v_cmp_gt_i32_e64 s[0:1], s24, v2
	v_cmp_le_i32_e64 s[10:11], s24, v2
	v_lshlrev_b32_e32 v34, 4, v5
	v_lshl_add_u32 v35, v7, 7, v0
	v_mov_b64_e32 v[16:17], 0
	s_mov_b64 s[12:13], 0
	v_mov_b32_e32 v36, v13
	v_mov_b32_e32 v37, v13
	;; [unrolled: 1-line block ×4, first 2 shown]
	v_mov_b64_e32 v[18:19], 0
	v_mov_b64_e32 v[22:23], 0
	;; [unrolled: 1-line block ×7, first 2 shown]
                                        ; implicit-def: $vgpr14_vgpr15
	s_branch .LBB542_8
.LBB542_7:                              ;   in Loop: Header=BB542_8 Depth=1
	s_or_b64 exec, exec, s[16:17]
	ds_write_b128 v33, v[0:3]
	s_waitcnt lgkmcnt(0)
	s_barrier
	ds_read_b128 v[0:3], v34
	ds_read_b128 v[40:43], v35
	ds_read_b128 v[44:47], v35 offset:16
	ds_read_b128 v[48:51], v35 offset:32
	;; [unrolled: 1-line block ×4, first 2 shown]
	s_waitcnt lgkmcnt(4)
	v_mul_f64 v[60:61], v[42:43], v[2:3]
	v_fma_f64 v[60:61], v[40:41], v[0:1], -v[60:61]
	v_mul_f64 v[62:63], v[40:41], v[2:3]
	v_fmac_f64_e32 v[62:63], v[42:43], v[0:1]
	v_add_f64 v[60:61], v[28:29], v[60:61]
	s_waitcnt lgkmcnt(0)
	v_mul_f64 v[28:29], v[42:43], v[58:59]
	v_add_f64 v[62:63], v[62:63], v[30:31]
	v_fma_f64 v[64:65], v[40:41], v[56:57], -v[28:29]
	ds_read_b128 v[28:31], v35 offset:2048
	v_mul_f64 v[40:41], v[40:41], v[58:59]
	v_fmac_f64_e32 v[40:41], v[42:43], v[56:57]
	v_add_f64 v[42:43], v[24:25], v[64:65]
	v_add_f64 v[40:41], v[40:41], v[26:27]
	ds_read_b128 v[24:27], v35 offset:2064
	s_waitcnt lgkmcnt(1)
	v_mul_f64 v[64:65], v[30:31], v[2:3]
	v_mul_f64 v[2:3], v[28:29], v[2:3]
	v_fma_f64 v[64:65], v[28:29], v[0:1], -v[64:65]
	v_fmac_f64_e32 v[2:3], v[30:31], v[0:1]
	v_mul_f64 v[0:1], v[30:31], v[58:59]
	v_add_f64 v[20:21], v[20:21], v[64:65]
	v_add_f64 v[22:23], v[2:3], v[22:23]
	v_fma_f64 v[64:65], v[28:29], v[56:57], -v[0:1]
	v_mul_f64 v[28:29], v[28:29], v[58:59]
	ds_read_b128 v[0:3], v34 offset:512
	v_fmac_f64_e32 v[28:29], v[30:31], v[56:57]
	v_add_f64 v[30:31], v[18:19], v[64:65]
	v_add_f64 v[28:29], v[28:29], v[16:17]
	ds_read_b128 v[16:19], v34 offset:768
	s_waitcnt lgkmcnt(1)
	v_mul_f64 v[56:57], v[46:47], v[2:3]
	v_fma_f64 v[56:57], v[44:45], v[0:1], -v[56:57]
	v_add_f64 v[56:57], v[60:61], v[56:57]
	v_mul_f64 v[58:59], v[44:45], v[2:3]
	s_waitcnt lgkmcnt(0)
	v_mul_f64 v[60:61], v[46:47], v[18:19]
	v_fma_f64 v[60:61], v[44:45], v[16:17], -v[60:61]
	v_mul_f64 v[44:45], v[44:45], v[18:19]
	v_fmac_f64_e32 v[44:45], v[46:47], v[16:17]
	v_add_f64 v[40:41], v[44:45], v[40:41]
	v_mul_f64 v[44:45], v[26:27], v[2:3]
	v_mul_f64 v[2:3], v[24:25], v[2:3]
	v_fmac_f64_e32 v[58:59], v[46:47], v[0:1]
	v_fma_f64 v[44:45], v[24:25], v[0:1], -v[44:45]
	v_fmac_f64_e32 v[2:3], v[26:27], v[0:1]
	v_mul_f64 v[0:1], v[26:27], v[18:19]
	v_add_f64 v[44:45], v[20:21], v[44:45]
	v_add_f64 v[46:47], v[2:3], v[22:23]
	v_fma_f64 v[20:21], v[24:25], v[16:17], -v[0:1]
	v_mul_f64 v[18:19], v[24:25], v[18:19]
	ds_read_b128 v[0:3], v34 offset:1024
	v_fmac_f64_e32 v[18:19], v[26:27], v[16:17]
	v_add_f64 v[28:29], v[18:19], v[28:29]
	ds_read_b128 v[16:19], v34 offset:1280
	v_add_f64 v[30:31], v[30:31], v[20:21]
	s_waitcnt lgkmcnt(1)
	v_mul_f64 v[20:21], v[50:51], v[2:3]
	v_fma_f64 v[20:21], v[48:49], v[0:1], -v[20:21]
	v_mul_f64 v[22:23], v[48:49], v[2:3]
	v_add_f64 v[58:59], v[58:59], v[62:63]
	v_fmac_f64_e32 v[22:23], v[50:51], v[0:1]
	v_add_f64 v[56:57], v[56:57], v[20:21]
	s_waitcnt lgkmcnt(0)
	v_mul_f64 v[20:21], v[50:51], v[18:19]
	v_add_f64 v[58:59], v[22:23], v[58:59]
	v_fma_f64 v[24:25], v[48:49], v[16:17], -v[20:21]
	ds_read_b128 v[20:23], v35 offset:2080
	v_mul_f64 v[26:27], v[48:49], v[18:19]
	v_add_f64 v[42:43], v[42:43], v[60:61]
	v_fmac_f64_e32 v[26:27], v[50:51], v[16:17]
	v_add_f64 v[42:43], v[42:43], v[24:25]
	v_add_f64 v[40:41], v[26:27], v[40:41]
	ds_read_b128 v[24:27], v35 offset:2096
	s_waitcnt lgkmcnt(1)
	v_mul_f64 v[48:49], v[22:23], v[2:3]
	v_mul_f64 v[2:3], v[20:21], v[2:3]
	v_fma_f64 v[48:49], v[20:21], v[0:1], -v[48:49]
	v_fmac_f64_e32 v[2:3], v[22:23], v[0:1]
	v_mul_f64 v[0:1], v[22:23], v[18:19]
	v_mul_f64 v[18:19], v[20:21], v[18:19]
	v_fmac_f64_e32 v[18:19], v[22:23], v[16:17]
	v_add_f64 v[44:45], v[44:45], v[48:49]
	v_add_f64 v[46:47], v[2:3], v[46:47]
	v_fma_f64 v[48:49], v[20:21], v[16:17], -v[0:1]
	ds_read_b128 v[0:3], v34 offset:1536
	v_add_f64 v[22:23], v[18:19], v[28:29]
	ds_read_b128 v[16:19], v34 offset:1792
	v_add_f64 v[20:21], v[30:31], v[48:49]
	s_add_u32 s12, s12, 8
	s_waitcnt lgkmcnt(1)
	v_mul_f64 v[28:29], v[54:55], v[2:3]
	v_mul_f64 v[30:31], v[52:53], v[2:3]
	s_waitcnt lgkmcnt(0)
	v_mul_f64 v[48:49], v[54:55], v[18:19]
	v_fma_f64 v[48:49], v[52:53], v[16:17], -v[48:49]
	v_add_f64 v[42:43], v[42:43], v[48:49]
	v_mul_f64 v[48:49], v[26:27], v[2:3]
	v_mul_f64 v[2:3], v[24:25], v[2:3]
	v_fma_f64 v[28:29], v[52:53], v[0:1], -v[28:29]
	v_fmac_f64_e32 v[30:31], v[54:55], v[0:1]
	v_fma_f64 v[48:49], v[24:25], v[0:1], -v[48:49]
	v_fmac_f64_e32 v[2:3], v[26:27], v[0:1]
	v_mul_f64 v[0:1], v[26:27], v[18:19]
	v_mul_f64 v[50:51], v[52:53], v[18:19]
	v_add_f64 v[44:45], v[44:45], v[48:49]
	v_fma_f64 v[48:49], v[24:25], v[16:17], -v[0:1]
	v_mul_f64 v[24:25], v[24:25], v[18:19]
	v_fmac_f64_e32 v[50:51], v[54:55], v[16:17]
	v_add_f64 v[46:47], v[2:3], v[46:47]
	v_fmac_f64_e32 v[24:25], v[26:27], v[16:17]
	ds_read_b128 v[0:3], v35 offset:64
	ds_read_b128 v[16:19], v34 offset:2048
	v_add_f64 v[40:41], v[50:51], v[40:41]
	v_add_f64 v[48:49], v[20:21], v[48:49]
	v_add_f64 v[50:51], v[24:25], v[22:23]
	ds_read_b128 v[20:23], v34 offset:2304
	ds_read_b128 v[24:27], v35 offset:80
	s_waitcnt lgkmcnt(2)
	v_mul_f64 v[52:53], v[2:3], v[18:19]
	v_add_f64 v[28:29], v[56:57], v[28:29]
	v_fma_f64 v[52:53], v[0:1], v[16:17], -v[52:53]
	v_mul_f64 v[54:55], v[0:1], v[18:19]
	v_add_f64 v[30:31], v[30:31], v[58:59]
	v_fmac_f64_e32 v[54:55], v[2:3], v[16:17]
	v_add_f64 v[52:53], v[28:29], v[52:53]
	s_waitcnt lgkmcnt(1)
	v_mul_f64 v[28:29], v[2:3], v[22:23]
	v_add_f64 v[54:55], v[54:55], v[30:31]
	v_fma_f64 v[56:57], v[0:1], v[20:21], -v[28:29]
	ds_read_b128 v[28:31], v35 offset:2112
	v_mul_f64 v[0:1], v[0:1], v[22:23]
	v_fmac_f64_e32 v[0:1], v[2:3], v[20:21]
	v_add_f64 v[42:43], v[42:43], v[56:57]
	v_add_f64 v[40:41], v[0:1], v[40:41]
	ds_read_b128 v[0:3], v35 offset:2128
	s_waitcnt lgkmcnt(1)
	v_mul_f64 v[56:57], v[30:31], v[18:19]
	v_mul_f64 v[18:19], v[28:29], v[18:19]
	v_fma_f64 v[56:57], v[28:29], v[16:17], -v[56:57]
	v_fmac_f64_e32 v[18:19], v[30:31], v[16:17]
	v_mul_f64 v[16:17], v[30:31], v[22:23]
	v_add_f64 v[44:45], v[44:45], v[56:57]
	v_add_f64 v[46:47], v[18:19], v[46:47]
	v_fma_f64 v[56:57], v[28:29], v[20:21], -v[16:17]
	v_mul_f64 v[22:23], v[28:29], v[22:23]
	ds_read_b128 v[16:19], v34 offset:2560
	v_fmac_f64_e32 v[22:23], v[30:31], v[20:21]
	v_add_f64 v[30:31], v[22:23], v[50:51]
	ds_read_b128 v[20:23], v34 offset:2816
	v_add_f64 v[28:29], v[48:49], v[56:57]
	s_waitcnt lgkmcnt(1)
	v_mul_f64 v[48:49], v[26:27], v[18:19]
	v_fma_f64 v[48:49], v[24:25], v[16:17], -v[48:49]
	v_add_f64 v[48:49], v[52:53], v[48:49]
	s_waitcnt lgkmcnt(0)
	v_mul_f64 v[52:53], v[26:27], v[22:23]
	v_mul_f64 v[50:51], v[24:25], v[18:19]
	v_fma_f64 v[52:53], v[24:25], v[20:21], -v[52:53]
	v_mul_f64 v[24:25], v[24:25], v[22:23]
	v_fmac_f64_e32 v[24:25], v[26:27], v[20:21]
	v_add_f64 v[40:41], v[24:25], v[40:41]
	v_mul_f64 v[24:25], v[2:3], v[18:19]
	v_mul_f64 v[18:19], v[0:1], v[18:19]
	v_fmac_f64_e32 v[50:51], v[26:27], v[16:17]
	v_fma_f64 v[24:25], v[0:1], v[16:17], -v[24:25]
	v_fmac_f64_e32 v[18:19], v[2:3], v[16:17]
	v_mul_f64 v[16:17], v[2:3], v[22:23]
	v_mul_f64 v[22:23], v[0:1], v[22:23]
	v_add_f64 v[44:45], v[44:45], v[24:25]
	v_add_f64 v[46:47], v[18:19], v[46:47]
	v_fma_f64 v[24:25], v[0:1], v[20:21], -v[16:17]
	v_fmac_f64_e32 v[22:23], v[2:3], v[20:21]
	ds_read_b128 v[0:3], v35 offset:96
	ds_read_b128 v[16:19], v34 offset:3072
	v_add_f64 v[50:51], v[50:51], v[54:55]
	v_add_f64 v[42:43], v[42:43], v[52:53]
	;; [unrolled: 1-line block ×4, first 2 shown]
	ds_read_b128 v[20:23], v34 offset:3328
	ds_read_b128 v[24:27], v35 offset:112
	s_waitcnt lgkmcnt(2)
	v_mul_f64 v[28:29], v[2:3], v[18:19]
	v_fma_f64 v[28:29], v[0:1], v[16:17], -v[28:29]
	v_mul_f64 v[30:31], v[0:1], v[18:19]
	v_fmac_f64_e32 v[30:31], v[2:3], v[16:17]
	v_add_f64 v[48:49], v[48:49], v[28:29]
	s_waitcnt lgkmcnt(1)
	v_mul_f64 v[28:29], v[2:3], v[22:23]
	v_add_f64 v[50:51], v[30:31], v[50:51]
	v_fma_f64 v[56:57], v[0:1], v[20:21], -v[28:29]
	ds_read_b128 v[28:31], v35 offset:2144
	v_mul_f64 v[0:1], v[0:1], v[22:23]
	v_fmac_f64_e32 v[0:1], v[2:3], v[20:21]
	v_add_f64 v[58:59], v[0:1], v[40:41]
	ds_read_b128 v[0:3], v35 offset:2160
	s_waitcnt lgkmcnt(1)
	v_mul_f64 v[40:41], v[30:31], v[18:19]
	v_mul_f64 v[18:19], v[28:29], v[18:19]
	v_fma_f64 v[40:41], v[28:29], v[16:17], -v[40:41]
	v_fmac_f64_e32 v[18:19], v[30:31], v[16:17]
	v_mul_f64 v[16:17], v[30:31], v[22:23]
	v_add_f64 v[44:45], v[44:45], v[40:41]
	v_add_f64 v[46:47], v[18:19], v[46:47]
	v_fma_f64 v[40:41], v[28:29], v[20:21], -v[16:17]
	ds_read_b128 v[16:19], v34 offset:3584
	v_add_f64 v[56:57], v[42:43], v[56:57]
	v_add_f64 v[52:53], v[52:53], v[40:41]
	ds_read_b128 v[40:43], v34 offset:3840
	v_mul_f64 v[22:23], v[28:29], v[22:23]
	v_fmac_f64_e32 v[22:23], v[30:31], v[20:21]
	s_waitcnt lgkmcnt(1)
	v_mul_f64 v[20:21], v[26:27], v[18:19]
	v_fma_f64 v[20:21], v[24:25], v[16:17], -v[20:21]
	v_add_f64 v[54:55], v[22:23], v[54:55]
	v_mul_f64 v[22:23], v[24:25], v[18:19]
	v_add_f64 v[28:29], v[48:49], v[20:21]
	s_waitcnt lgkmcnt(0)
	v_mul_f64 v[20:21], v[26:27], v[42:43]
	v_fmac_f64_e32 v[22:23], v[26:27], v[16:17]
	v_fma_f64 v[20:21], v[24:25], v[40:41], -v[20:21]
	v_add_f64 v[30:31], v[22:23], v[50:51]
	v_mul_f64 v[22:23], v[24:25], v[42:43]
	v_add_f64 v[24:25], v[56:57], v[20:21]
	v_mul_f64 v[20:21], v[2:3], v[18:19]
	v_mul_f64 v[18:19], v[0:1], v[18:19]
	v_fma_f64 v[20:21], v[0:1], v[16:17], -v[20:21]
	v_fmac_f64_e32 v[18:19], v[2:3], v[16:17]
	v_mul_f64 v[16:17], v[2:3], v[42:43]
	v_fma_f64 v[16:17], v[0:1], v[40:41], -v[16:17]
	v_mul_f64 v[0:1], v[0:1], v[42:43]
	v_fmac_f64_e32 v[22:23], v[26:27], v[40:41]
	v_fmac_f64_e32 v[0:1], v[2:3], v[40:41]
	s_addc_u32 s13, s13, 0
	v_add_f64 v[26:27], v[22:23], v[58:59]
	v_add_f64 v[22:23], v[18:19], v[46:47]
	;; [unrolled: 1-line block ×4, first 2 shown]
	v_mov_b64_e32 v[0:1], s[12:13]
	v_cmp_gt_i64_e32 vcc, s[8:9], v[0:1]
	v_add_f64 v[20:21], v[44:45], v[20:21]
	s_barrier
	s_cbranch_vccz .LBB542_16
.LBB542_8:                              ; =>This Inner Loop Header: Depth=1
	s_mov_b64 s[22:23], s[10:11]
	s_mov_b64 s[16:17], 0
	s_and_saveexec_b64 s[18:19], s[0:1]
	s_cbranch_execnz .LBB542_14
; %bb.9:                                ;   in Loop: Header=BB542_8 Depth=1
	s_or_b64 exec, exec, s[18:19]
	s_and_saveexec_b64 s[18:19], s[22:23]
	s_xor_b64 s[18:19], exec, s[18:19]
	s_cbranch_execnz .LBB542_15
.LBB542_10:                             ;   in Loop: Header=BB542_8 Depth=1
	s_or_b64 exec, exec, s[18:19]
	s_and_saveexec_b64 s[18:19], s[16:17]
	s_cbranch_execz .LBB542_12
.LBB542_11:                             ;   in Loop: Header=BB542_8 Depth=1
	v_mul_lo_u32 v2, s15, v14
	v_mul_lo_u32 v3, s14, v15
	v_mad_u64_u32 v[0:1], s[16:17], s14, v14, 0
	v_add3_u32 v1, v1, v3, v2
	v_lshl_add_u64 v[0:1], v[0:1], 4, v[8:9]
	flat_load_dwordx4 v[0:3], v[0:1]
	s_waitcnt vmcnt(0) lgkmcnt(0)
	ds_write2_b64 v32, v[0:1], v[2:3] offset1:1
.LBB542_12:                             ;   in Loop: Header=BB542_8 Depth=1
	s_or_b64 exec, exec, s[18:19]
	v_add_u32_e32 v12, s12, v4
	v_cmp_gt_u64_e32 vcc, s[8:9], v[12:13]
	s_and_b64 s[18:19], vcc, s[2:3]
	v_mov_b64_e32 v[0:1], 0
	v_mov_b64_e32 v[2:3], 0
	s_and_saveexec_b64 s[16:17], s[18:19]
	s_cbranch_execz .LBB542_7
; %bb.13:                               ;   in Loop: Header=BB542_8 Depth=1
	v_mad_u64_u32 v[0:1], s[18:19], s20, v12, 0
	v_mov_b32_e32 v2, v1
	v_mad_u64_u32 v[2:3], s[18:19], s21, v12, v[2:3]
	v_mov_b32_e32 v1, v2
	v_lshl_add_u64 v[0:1], v[0:1], 4, v[10:11]
	flat_load_dwordx4 v[0:3], v[0:1]
	s_waitcnt vmcnt(0) lgkmcnt(0)
	v_xor_b32_e32 v3, 0x80000000, v3
	s_branch .LBB542_7
.LBB542_14:                             ;   in Loop: Header=BB542_8 Depth=1
	v_add_u32_e32 v12, s12, v6
	v_cmp_le_u64_e32 vcc, s[8:9], v[12:13]
	s_andn2_b64 s[22:23], s[10:11], exec
	s_and_b64 s[34:35], vcc, exec
	s_mov_b64 s[16:17], exec
	s_or_b64 s[22:23], s[22:23], s[34:35]
	v_mov_b64_e32 v[14:15], v[12:13]
	s_or_b64 exec, exec, s[18:19]
	s_and_saveexec_b64 s[18:19], s[22:23]
	s_xor_b64 s[18:19], exec, s[18:19]
	s_cbranch_execz .LBB542_10
.LBB542_15:                             ;   in Loop: Header=BB542_8 Depth=1
	ds_write_b128 v32, v[36:39]
	s_andn2_b64 s[16:17], s[16:17], exec
	s_or_b64 exec, exec, s[18:19]
	s_and_saveexec_b64 s[18:19], s[16:17]
	s_cbranch_execnz .LBB542_11
	s_branch .LBB542_12
.LBB542_16:
	s_lshl_b64 s[0:1], s[30:31], 4
	v_add_u32_e32 v10, s26, v7
	s_waitcnt lgkmcnt(0)
	s_add_u32 s4, s4, s0
	v_ashrrev_i32_e32 v0, 31, v10
	s_addc_u32 s5, s5, s1
	v_cmp_neq_f64_e64 s[0:1], s[36:37], 0
	s_xor_b64 s[6:7], s[6:7], -1
	v_mul_lo_u32 v2, s28, v0
	v_mul_lo_u32 v3, s29, v10
	v_mad_u64_u32 v[0:1], s[8:9], s28, v10, 0
	v_add_u32_e32 v4, s25, v5
	v_add3_u32 v1, v1, v2, v3
	s_or_b64 s[0:1], s[0:1], s[6:7]
	v_cmp_gt_i32_e64 s[2:3], s24, v10
	v_lshl_add_u64 v[8:9], v[0:1], 4, s[4:5]
	v_cmp_le_i32_e32 vcc, v4, v10
	v_cndmask_b32_e64 v0, 0, 1, s[0:1]
	s_and_b64 s[8:9], s[2:3], vcc
	v_ashrrev_i32_e32 v5, 31, v4
	v_cmp_ne_u32_e64 s[0:1], 1, v0
	s_and_saveexec_b64 s[6:7], s[8:9]
	s_cbranch_execz .LBB542_20
; %bb.17:
	v_mul_f64 v[0:1], s[42:43], v[30:31]
	v_mul_f64 v[2:3], s[40:41], v[30:31]
	v_fma_f64 v[0:1], s[40:41], v[28:29], -v[0:1]
	v_fmac_f64_e32 v[2:3], s[42:43], v[28:29]
	s_and_b64 vcc, exec, s[0:1]
	v_lshl_add_u64 v[6:7], v[4:5], 4, v[8:9]
	s_cbranch_vccnz .LBB542_19
; %bb.18:
	flat_load_dwordx4 v[12:15], v[6:7]
	s_waitcnt vmcnt(0) lgkmcnt(0)
	v_mul_f64 v[28:29], s[38:39], v[14:15]
	v_mul_f64 v[14:15], s[36:37], v[14:15]
	v_fma_f64 v[28:29], s[36:37], v[12:13], -v[28:29]
	v_fmac_f64_e32 v[14:15], s[38:39], v[12:13]
	v_add_f64 v[0:1], v[0:1], v[28:29]
	v_add_f64 v[2:3], v[2:3], v[14:15]
.LBB542_19:
	flat_store_dwordx4 v[6:7], v[0:3]
.LBB542_20:
	s_or_b64 exec, exec, s[6:7]
	v_add_u32_e32 v6, 16, v4
	v_cmp_le_i32_e32 vcc, v6, v10
	s_and_b64 s[6:7], s[2:3], vcc
	v_ashrrev_i32_e32 v7, 31, v6
	s_and_saveexec_b64 s[2:3], s[6:7]
	s_cbranch_execz .LBB542_24
; %bb.21:
	v_mul_f64 v[0:1], s[42:43], v[26:27]
	v_mul_f64 v[2:3], s[40:41], v[26:27]
	v_fma_f64 v[0:1], s[40:41], v[24:25], -v[0:1]
	v_fmac_f64_e32 v[2:3], s[42:43], v[24:25]
	s_and_b64 vcc, exec, s[0:1]
	v_lshl_add_u64 v[8:9], v[6:7], 4, v[8:9]
	s_cbranch_vccnz .LBB542_23
; %bb.22:
	flat_load_dwordx4 v[12:15], v[8:9]
	s_waitcnt vmcnt(0) lgkmcnt(0)
	v_mul_f64 v[24:25], s[38:39], v[14:15]
	v_mul_f64 v[14:15], s[36:37], v[14:15]
	v_fma_f64 v[24:25], s[36:37], v[12:13], -v[24:25]
	v_fmac_f64_e32 v[14:15], s[38:39], v[12:13]
	v_add_f64 v[0:1], v[0:1], v[24:25]
	v_add_f64 v[2:3], v[2:3], v[14:15]
.LBB542_23:
	flat_store_dwordx4 v[8:9], v[0:3]
.LBB542_24:
	s_or_b64 exec, exec, s[2:3]
	v_add_u32_e32 v10, 16, v10
	v_ashrrev_i32_e32 v0, 31, v10
	v_mul_lo_u32 v2, s28, v0
	v_mul_lo_u32 v3, s29, v10
	v_mad_u64_u32 v[0:1], s[6:7], s28, v10, 0
	v_cmp_gt_i32_e64 s[2:3], s24, v10
	v_add3_u32 v1, v1, v2, v3
	v_cmp_le_i32_e32 vcc, v4, v10
	v_lshl_add_u64 v[8:9], v[0:1], 4, s[4:5]
	s_and_b64 s[6:7], s[2:3], vcc
	s_and_saveexec_b64 s[4:5], s[6:7]
	s_cbranch_execz .LBB542_28
; %bb.25:
	v_mul_f64 v[0:1], s[42:43], v[22:23]
	v_mul_f64 v[2:3], s[40:41], v[22:23]
	v_fma_f64 v[0:1], s[40:41], v[20:21], -v[0:1]
	v_fmac_f64_e32 v[2:3], s[42:43], v[20:21]
	s_and_b64 vcc, exec, s[0:1]
	v_lshl_add_u64 v[4:5], v[4:5], 4, v[8:9]
	s_cbranch_vccnz .LBB542_27
; %bb.26:
	flat_load_dwordx4 v[12:15], v[4:5]
	s_waitcnt vmcnt(0) lgkmcnt(0)
	v_mul_f64 v[20:21], s[38:39], v[14:15]
	v_mul_f64 v[14:15], s[36:37], v[14:15]
	v_fma_f64 v[20:21], s[36:37], v[12:13], -v[20:21]
	v_fmac_f64_e32 v[14:15], s[38:39], v[12:13]
	v_add_f64 v[0:1], v[0:1], v[20:21]
	v_add_f64 v[2:3], v[2:3], v[14:15]
.LBB542_27:
	flat_store_dwordx4 v[4:5], v[0:3]
.LBB542_28:
	s_or_b64 exec, exec, s[4:5]
	v_cmp_le_i32_e32 vcc, v6, v10
	s_and_b64 s[2:3], s[2:3], vcc
	s_and_saveexec_b64 s[4:5], s[2:3]
	s_cbranch_execz .LBB542_32
; %bb.29:
	v_mul_f64 v[0:1], s[42:43], v[16:17]
	v_mul_f64 v[2:3], s[40:41], v[16:17]
	v_fma_f64 v[0:1], s[40:41], v[18:19], -v[0:1]
	v_fmac_f64_e32 v[2:3], s[42:43], v[18:19]
	s_and_b64 vcc, exec, s[0:1]
	v_lshl_add_u64 v[4:5], v[6:7], 4, v[8:9]
	s_cbranch_vccnz .LBB542_31
; %bb.30:
	flat_load_dwordx4 v[6:9], v[4:5]
	s_waitcnt vmcnt(0) lgkmcnt(0)
	v_mul_f64 v[10:11], s[38:39], v[8:9]
	v_mul_f64 v[8:9], s[36:37], v[8:9]
	v_fma_f64 v[10:11], s[36:37], v[6:7], -v[10:11]
	v_fmac_f64_e32 v[8:9], s[38:39], v[6:7]
	v_add_f64 v[0:1], v[0:1], v[10:11]
	v_add_f64 v[2:3], v[2:3], v[8:9]
.LBB542_31:
	flat_store_dwordx4 v[4:5], v[0:3]
.LBB542_32:
	s_endpgm
	.section	.rodata,"a",@progbits
	.p2align	6, 0x0
	.amdhsa_kernel _ZL29rocblas_internal_gemmt_kernelIlLi16ELi32ELi8ELc78ELc67ELc85ELb0ELb1E19rocblas_complex_numIdEPKS1_PKS3_PKPS1_EviT_T9_T10_S9_lSB_S9_lSA_T11_S9_li
		.amdhsa_group_segment_fixed_size 8192
		.amdhsa_private_segment_fixed_size 0
		.amdhsa_kernarg_size 108
		.amdhsa_user_sgpr_count 2
		.amdhsa_user_sgpr_dispatch_ptr 0
		.amdhsa_user_sgpr_queue_ptr 0
		.amdhsa_user_sgpr_kernarg_segment_ptr 1
		.amdhsa_user_sgpr_dispatch_id 0
		.amdhsa_user_sgpr_kernarg_preload_length 0
		.amdhsa_user_sgpr_kernarg_preload_offset 0
		.amdhsa_user_sgpr_private_segment_size 0
		.amdhsa_uses_dynamic_stack 0
		.amdhsa_enable_private_segment 0
		.amdhsa_system_sgpr_workgroup_id_x 1
		.amdhsa_system_sgpr_workgroup_id_y 1
		.amdhsa_system_sgpr_workgroup_id_z 1
		.amdhsa_system_sgpr_workgroup_info 0
		.amdhsa_system_vgpr_workitem_id 1
		.amdhsa_next_free_vgpr 66
		.amdhsa_next_free_sgpr 44
		.amdhsa_accum_offset 68
		.amdhsa_reserve_vcc 1
		.amdhsa_float_round_mode_32 0
		.amdhsa_float_round_mode_16_64 0
		.amdhsa_float_denorm_mode_32 3
		.amdhsa_float_denorm_mode_16_64 3
		.amdhsa_dx10_clamp 1
		.amdhsa_ieee_mode 1
		.amdhsa_fp16_overflow 0
		.amdhsa_tg_split 0
		.amdhsa_exception_fp_ieee_invalid_op 0
		.amdhsa_exception_fp_denorm_src 0
		.amdhsa_exception_fp_ieee_div_zero 0
		.amdhsa_exception_fp_ieee_overflow 0
		.amdhsa_exception_fp_ieee_underflow 0
		.amdhsa_exception_fp_ieee_inexact 0
		.amdhsa_exception_int_div_zero 0
	.end_amdhsa_kernel
	.section	.text._ZL29rocblas_internal_gemmt_kernelIlLi16ELi32ELi8ELc78ELc67ELc85ELb0ELb1E19rocblas_complex_numIdEPKS1_PKS3_PKPS1_EviT_T9_T10_S9_lSB_S9_lSA_T11_S9_li,"axG",@progbits,_ZL29rocblas_internal_gemmt_kernelIlLi16ELi32ELi8ELc78ELc67ELc85ELb0ELb1E19rocblas_complex_numIdEPKS1_PKS3_PKPS1_EviT_T9_T10_S9_lSB_S9_lSA_T11_S9_li,comdat
.Lfunc_end542:
	.size	_ZL29rocblas_internal_gemmt_kernelIlLi16ELi32ELi8ELc78ELc67ELc85ELb0ELb1E19rocblas_complex_numIdEPKS1_PKS3_PKPS1_EviT_T9_T10_S9_lSB_S9_lSA_T11_S9_li, .Lfunc_end542-_ZL29rocblas_internal_gemmt_kernelIlLi16ELi32ELi8ELc78ELc67ELc85ELb0ELb1E19rocblas_complex_numIdEPKS1_PKS3_PKPS1_EviT_T9_T10_S9_lSB_S9_lSA_T11_S9_li
                                        ; -- End function
	.set _ZL29rocblas_internal_gemmt_kernelIlLi16ELi32ELi8ELc78ELc67ELc85ELb0ELb1E19rocblas_complex_numIdEPKS1_PKS3_PKPS1_EviT_T9_T10_S9_lSB_S9_lSA_T11_S9_li.num_vgpr, 66
	.set _ZL29rocblas_internal_gemmt_kernelIlLi16ELi32ELi8ELc78ELc67ELc85ELb0ELb1E19rocblas_complex_numIdEPKS1_PKS3_PKPS1_EviT_T9_T10_S9_lSB_S9_lSA_T11_S9_li.num_agpr, 0
	.set _ZL29rocblas_internal_gemmt_kernelIlLi16ELi32ELi8ELc78ELc67ELc85ELb0ELb1E19rocblas_complex_numIdEPKS1_PKS3_PKPS1_EviT_T9_T10_S9_lSB_S9_lSA_T11_S9_li.numbered_sgpr, 44
	.set _ZL29rocblas_internal_gemmt_kernelIlLi16ELi32ELi8ELc78ELc67ELc85ELb0ELb1E19rocblas_complex_numIdEPKS1_PKS3_PKPS1_EviT_T9_T10_S9_lSB_S9_lSA_T11_S9_li.num_named_barrier, 0
	.set _ZL29rocblas_internal_gemmt_kernelIlLi16ELi32ELi8ELc78ELc67ELc85ELb0ELb1E19rocblas_complex_numIdEPKS1_PKS3_PKPS1_EviT_T9_T10_S9_lSB_S9_lSA_T11_S9_li.private_seg_size, 0
	.set _ZL29rocblas_internal_gemmt_kernelIlLi16ELi32ELi8ELc78ELc67ELc85ELb0ELb1E19rocblas_complex_numIdEPKS1_PKS3_PKPS1_EviT_T9_T10_S9_lSB_S9_lSA_T11_S9_li.uses_vcc, 1
	.set _ZL29rocblas_internal_gemmt_kernelIlLi16ELi32ELi8ELc78ELc67ELc85ELb0ELb1E19rocblas_complex_numIdEPKS1_PKS3_PKPS1_EviT_T9_T10_S9_lSB_S9_lSA_T11_S9_li.uses_flat_scratch, 0
	.set _ZL29rocblas_internal_gemmt_kernelIlLi16ELi32ELi8ELc78ELc67ELc85ELb0ELb1E19rocblas_complex_numIdEPKS1_PKS3_PKPS1_EviT_T9_T10_S9_lSB_S9_lSA_T11_S9_li.has_dyn_sized_stack, 0
	.set _ZL29rocblas_internal_gemmt_kernelIlLi16ELi32ELi8ELc78ELc67ELc85ELb0ELb1E19rocblas_complex_numIdEPKS1_PKS3_PKPS1_EviT_T9_T10_S9_lSB_S9_lSA_T11_S9_li.has_recursion, 0
	.set _ZL29rocblas_internal_gemmt_kernelIlLi16ELi32ELi8ELc78ELc67ELc85ELb0ELb1E19rocblas_complex_numIdEPKS1_PKS3_PKPS1_EviT_T9_T10_S9_lSB_S9_lSA_T11_S9_li.has_indirect_call, 0
	.section	.AMDGPU.csdata,"",@progbits
; Kernel info:
; codeLenInByte = 3240
; TotalNumSgprs: 50
; NumVgprs: 66
; NumAgprs: 0
; TotalNumVgprs: 66
; ScratchSize: 0
; MemoryBound: 1
; FloatMode: 240
; IeeeMode: 1
; LDSByteSize: 8192 bytes/workgroup (compile time only)
; SGPRBlocks: 6
; VGPRBlocks: 8
; NumSGPRsForWavesPerEU: 50
; NumVGPRsForWavesPerEU: 66
; AccumOffset: 68
; Occupancy: 7
; WaveLimiterHint : 1
; COMPUTE_PGM_RSRC2:SCRATCH_EN: 0
; COMPUTE_PGM_RSRC2:USER_SGPR: 2
; COMPUTE_PGM_RSRC2:TRAP_HANDLER: 0
; COMPUTE_PGM_RSRC2:TGID_X_EN: 1
; COMPUTE_PGM_RSRC2:TGID_Y_EN: 1
; COMPUTE_PGM_RSRC2:TGID_Z_EN: 1
; COMPUTE_PGM_RSRC2:TIDIG_COMP_CNT: 1
; COMPUTE_PGM_RSRC3_GFX90A:ACCUM_OFFSET: 16
; COMPUTE_PGM_RSRC3_GFX90A:TG_SPLIT: 0
	.section	.text._ZL29rocblas_internal_gemmt_kernelIlLi16ELi32ELi8ELc84ELc78ELc85ELb0ELb0E19rocblas_complex_numIdEPKS1_PKS3_PKPS1_EviT_T9_T10_S9_lSB_S9_lSA_T11_S9_li,"axG",@progbits,_ZL29rocblas_internal_gemmt_kernelIlLi16ELi32ELi8ELc84ELc78ELc85ELb0ELb0E19rocblas_complex_numIdEPKS1_PKS3_PKPS1_EviT_T9_T10_S9_lSB_S9_lSA_T11_S9_li,comdat
	.globl	_ZL29rocblas_internal_gemmt_kernelIlLi16ELi32ELi8ELc84ELc78ELc85ELb0ELb0E19rocblas_complex_numIdEPKS1_PKS3_PKPS1_EviT_T9_T10_S9_lSB_S9_lSA_T11_S9_li ; -- Begin function _ZL29rocblas_internal_gemmt_kernelIlLi16ELi32ELi8ELc84ELc78ELc85ELb0ELb0E19rocblas_complex_numIdEPKS1_PKS3_PKPS1_EviT_T9_T10_S9_lSB_S9_lSA_T11_S9_li
	.p2align	8
	.type	_ZL29rocblas_internal_gemmt_kernelIlLi16ELi32ELi8ELc84ELc78ELc85ELb0ELb0E19rocblas_complex_numIdEPKS1_PKS3_PKPS1_EviT_T9_T10_S9_lSB_S9_lSA_T11_S9_li,@function
_ZL29rocblas_internal_gemmt_kernelIlLi16ELi32ELi8ELc84ELc78ELc85ELb0ELb0E19rocblas_complex_numIdEPKS1_PKS3_PKPS1_EviT_T9_T10_S9_lSB_S9_lSA_T11_S9_li: ; @_ZL29rocblas_internal_gemmt_kernelIlLi16ELi32ELi8ELc84ELc78ELc85ELb0ELb0E19rocblas_complex_numIdEPKS1_PKS3_PKPS1_EviT_T9_T10_S9_lSB_S9_lSA_T11_S9_li
; %bb.0:
	s_load_dwordx8 s[24:31], s[0:1], 0x48
	s_load_dwordx16 s[8:23], s[0:1], 0x8
	s_waitcnt lgkmcnt(0)
	s_load_dwordx4 s[36:39], s[24:25], 0x0
	s_load_dwordx4 s[40:43], s[10:11], 0x0
	s_mov_b64 s[24:25], 0
	s_waitcnt lgkmcnt(0)
	v_cmp_eq_f64_e64 s[10:11], s[36:37], 1.0
	v_cmp_eq_f64_e64 s[6:7], s[38:39], 0
	s_and_b64 s[10:11], s[10:11], s[6:7]
	s_andn2_b64 vcc, exec, s[10:11]
	s_mov_b64 s[10:11], -1
	s_cbranch_vccnz .LBB543_4
; %bb.1:
	s_cmp_lg_u64 s[8:9], 0
	s_cbranch_scc0 .LBB543_3
; %bb.2:
	v_cmp_neq_f64_e64 s[10:11], s[40:41], 0
	v_cmp_neq_f64_e64 s[24:25], s[42:43], 0
	s_or_b64 s[24:25], s[10:11], s[24:25]
.LBB543_3:
	s_mov_b64 s[10:11], s[24:25]
.LBB543_4:
	s_and_b64 vcc, exec, s[10:11]
	s_cbranch_vccz .LBB543_34
; %bb.5:
	s_mov_b32 s5, 0
	s_load_dword s24, s[0:1], 0x0
	s_lshl_b64 s[0:1], s[4:5], 3
	s_add_u32 s4, s26, s0
	s_addc_u32 s5, s27, s1
	s_load_dwordx2 s[4:5], s[4:5], 0x0
	s_lshl_b32 s25, s2, 5
	s_lshl_b32 s26, s3, 5
	v_cmp_eq_f64_e64 s[2:3], s[40:41], 0
	v_cmp_eq_f64_e64 s[10:11], s[42:43], 0
	s_and_b64 s[2:3], s[2:3], s[10:11]
	v_cmp_lt_i64_e64 s[10:11], s[8:9], 1
	s_or_b64 s[2:3], s[2:3], s[10:11]
	v_and_b32_e32 v1, 0x3ff, v0
	v_bfe_u32 v3, v0, 10, 10
	v_mov_b64_e32 v[24:25], 0
	s_and_b64 vcc, exec, s[2:3]
	v_mov_b64_e32 v[26:27], 0
	v_mov_b64_e32 v[20:21], 0
	;; [unrolled: 1-line block ×7, first 2 shown]
	s_cbranch_vccnz .LBB543_18
; %bb.6:
	s_add_u32 s2, s18, s0
	s_addc_u32 s3, s19, s1
	s_load_dwordx2 s[2:3], s[2:3], 0x0
	s_lshl_b64 s[10:11], s[22:23], 4
	v_lshl_add_u32 v4, v3, 4, v1
	v_lshrrev_b32_e32 v2, 5, v4
	v_lshrrev_b32_e32 v6, 3, v4
	s_waitcnt lgkmcnt(0)
	s_add_u32 s10, s2, s10
	s_addc_u32 s11, s3, s11
	s_add_u32 s0, s12, s0
	s_addc_u32 s1, s13, s1
	s_load_dwordx2 s[0:1], s[0:1], 0x0
	s_lshl_b64 s[2:3], s[16:17], 4
	v_and_b32_e32 v4, 31, v4
	v_or_b32_e32 v5, s25, v4
	v_lshlrev_b32_e32 v4, 4, v4
	s_waitcnt lgkmcnt(0)
	s_add_u32 s12, s0, s2
	s_addc_u32 s13, s1, s3
	s_ashr_i32 s18, s25, 31
	v_and_b32_e32 v0, 7, v1
	v_cmp_gt_i32_e64 s[0:1], s24, v5
	v_cmp_le_i32_e64 s[2:3], s24, v5
	v_lshl_or_b32 v28, v2, 9, v4
	v_mul_lo_u32 v8, s15, v5
	v_mad_u64_u32 v[4:5], s[16:17], s14, v5, 0
	s_mul_i32 s14, s14, s18
	v_add3_u32 v5, v5, s14, v8
	v_lshlrev_b32_e32 v8, 4, v0
	v_add_u32_e32 v7, s26, v6
	v_lshl_or_b32 v6, v6, 7, v8
	v_add_u32_e32 v29, 0x1000, v6
	v_ashrrev_i32_e32 v6, 31, v7
	v_lshl_add_u64 v[4:5], v[4:5], 4, s[12:13]
	v_cmp_gt_i32_e32 vcc, s24, v7
	v_mul_lo_u32 v8, s20, v6
	v_mul_lo_u32 v9, s21, v7
	v_mad_u64_u32 v[6:7], s[12:13], s20, v7, 0
	v_add3_u32 v7, v7, v8, v9
	v_mov_b32_e32 v8, 0x1000
	v_mov_b32_e32 v9, 0
	v_lshl_add_u64 v[6:7], v[6:7], 4, s[10:11]
	v_lshlrev_b32_e32 v30, 4, v1
	v_lshl_add_u32 v31, v3, 7, v8
	v_mov_b64_e32 v[12:13], 0
	s_mov_b64 s[10:11], 0
	s_xor_b64 s[12:13], vcc, -1
	v_mov_b32_e32 v32, v9
	v_mov_b32_e32 v33, v9
	;; [unrolled: 1-line block ×4, first 2 shown]
	v_mov_b64_e32 v[14:15], 0
	v_mov_b64_e32 v[18:19], 0
	;; [unrolled: 1-line block ×7, first 2 shown]
                                        ; implicit-def: $vgpr10_vgpr11
	s_branch .LBB543_8
.LBB543_7:                              ;   in Loop: Header=BB543_8 Depth=1
	s_or_b64 exec, exec, s[14:15]
	s_waitcnt lgkmcnt(0)
	s_barrier
	ds_read_b128 v[36:39], v30
	ds_read_b128 v[40:43], v31
	ds_read_b128 v[44:47], v31 offset:16
	ds_read_b128 v[48:51], v31 offset:32
	;; [unrolled: 1-line block ×4, first 2 shown]
	s_waitcnt lgkmcnt(4)
	v_mul_f64 v[60:61], v[42:43], v[38:39]
	v_fma_f64 v[60:61], v[40:41], v[36:37], -v[60:61]
	v_mul_f64 v[62:63], v[40:41], v[38:39]
	v_fmac_f64_e32 v[62:63], v[42:43], v[36:37]
	v_add_f64 v[60:61], v[24:25], v[60:61]
	s_waitcnt lgkmcnt(0)
	v_mul_f64 v[24:25], v[42:43], v[58:59]
	v_add_f64 v[62:63], v[62:63], v[26:27]
	v_fma_f64 v[64:65], v[40:41], v[56:57], -v[24:25]
	ds_read_b128 v[24:27], v31 offset:2048
	v_mul_f64 v[40:41], v[40:41], v[58:59]
	v_fmac_f64_e32 v[40:41], v[42:43], v[56:57]
	v_add_f64 v[42:43], v[20:21], v[64:65]
	v_add_f64 v[40:41], v[40:41], v[22:23]
	ds_read_b128 v[20:23], v31 offset:2064
	s_waitcnt lgkmcnt(1)
	v_mul_f64 v[64:65], v[26:27], v[38:39]
	v_fma_f64 v[64:65], v[24:25], v[36:37], -v[64:65]
	v_mul_f64 v[38:39], v[24:25], v[38:39]
	v_fmac_f64_e32 v[38:39], v[26:27], v[36:37]
	v_add_f64 v[36:37], v[16:17], v[64:65]
	v_mul_f64 v[16:17], v[26:27], v[58:59]
	v_add_f64 v[38:39], v[38:39], v[18:19]
	v_fma_f64 v[64:65], v[24:25], v[56:57], -v[16:17]
	v_mul_f64 v[24:25], v[24:25], v[58:59]
	ds_read_b128 v[16:19], v30 offset:512
	v_fmac_f64_e32 v[24:25], v[26:27], v[56:57]
	v_add_f64 v[26:27], v[14:15], v[64:65]
	v_add_f64 v[24:25], v[24:25], v[12:13]
	ds_read_b128 v[12:15], v30 offset:768
	s_waitcnt lgkmcnt(1)
	v_mul_f64 v[56:57], v[46:47], v[18:19]
	v_fma_f64 v[56:57], v[44:45], v[16:17], -v[56:57]
	v_add_f64 v[56:57], v[60:61], v[56:57]
	v_mul_f64 v[58:59], v[44:45], v[18:19]
	s_waitcnt lgkmcnt(0)
	v_mul_f64 v[60:61], v[46:47], v[14:15]
	v_fma_f64 v[60:61], v[44:45], v[12:13], -v[60:61]
	v_mul_f64 v[44:45], v[44:45], v[14:15]
	v_fmac_f64_e32 v[44:45], v[46:47], v[12:13]
	v_add_f64 v[40:41], v[44:45], v[40:41]
	v_mul_f64 v[44:45], v[22:23], v[18:19]
	v_mul_f64 v[18:19], v[20:21], v[18:19]
	v_fmac_f64_e32 v[58:59], v[46:47], v[16:17]
	v_fma_f64 v[44:45], v[20:21], v[16:17], -v[44:45]
	v_fmac_f64_e32 v[18:19], v[22:23], v[16:17]
	v_mul_f64 v[16:17], v[22:23], v[14:15]
	v_add_f64 v[46:47], v[18:19], v[38:39]
	v_fma_f64 v[18:19], v[20:21], v[12:13], -v[16:17]
	v_mul_f64 v[20:21], v[20:21], v[14:15]
	ds_read_b128 v[14:17], v30 offset:1024
	v_fmac_f64_e32 v[20:21], v[22:23], v[12:13]
	v_add_f64 v[42:43], v[42:43], v[60:61]
	v_add_f64 v[26:27], v[26:27], v[18:19]
	;; [unrolled: 1-line block ×3, first 2 shown]
	ds_read_b128 v[18:21], v30 offset:1280
	s_waitcnt lgkmcnt(1)
	v_mul_f64 v[22:23], v[48:49], v[16:17]
	v_add_f64 v[58:59], v[58:59], v[62:63]
	v_fmac_f64_e32 v[22:23], v[50:51], v[14:15]
	v_add_f64 v[58:59], v[22:23], v[58:59]
	ds_read_b128 v[22:25], v31 offset:2080
	v_mul_f64 v[12:13], v[50:51], v[16:17]
	v_fma_f64 v[12:13], v[48:49], v[14:15], -v[12:13]
	v_add_f64 v[44:45], v[36:37], v[44:45]
	v_add_f64 v[56:57], v[56:57], v[12:13]
	s_waitcnt lgkmcnt(1)
	v_mul_f64 v[12:13], v[50:51], v[20:21]
	v_mul_f64 v[36:37], v[48:49], v[20:21]
	v_fma_f64 v[12:13], v[48:49], v[18:19], -v[12:13]
	v_fmac_f64_e32 v[36:37], v[50:51], v[18:19]
	v_add_f64 v[42:43], v[42:43], v[12:13]
	v_add_f64 v[40:41], v[36:37], v[40:41]
	ds_read_b128 v[36:39], v31 offset:2096
	s_waitcnt lgkmcnt(1)
	v_mul_f64 v[12:13], v[24:25], v[16:17]
	v_fma_f64 v[12:13], v[22:23], v[14:15], -v[12:13]
	v_mul_f64 v[16:17], v[22:23], v[16:17]
	v_fmac_f64_e32 v[16:17], v[24:25], v[14:15]
	v_add_f64 v[44:45], v[44:45], v[12:13]
	v_mul_f64 v[12:13], v[24:25], v[20:21]
	v_add_f64 v[46:47], v[16:17], v[46:47]
	v_fma_f64 v[16:17], v[22:23], v[18:19], -v[12:13]
	ds_read_b128 v[12:15], v30 offset:1536
	v_mul_f64 v[20:21], v[22:23], v[20:21]
	v_fmac_f64_e32 v[20:21], v[24:25], v[18:19]
	v_add_f64 v[22:23], v[26:27], v[16:17]
	ds_read_b128 v[16:19], v30 offset:1792
	s_waitcnt lgkmcnt(1)
	v_mul_f64 v[24:25], v[54:55], v[14:15]
	v_fma_f64 v[24:25], v[52:53], v[12:13], -v[24:25]
	v_mul_f64 v[26:27], v[52:53], v[14:15]
	v_fmac_f64_e32 v[26:27], v[54:55], v[12:13]
	v_add_f64 v[48:49], v[56:57], v[24:25]
	s_waitcnt lgkmcnt(0)
	v_mul_f64 v[24:25], v[54:55], v[18:19]
	v_add_f64 v[50:51], v[26:27], v[58:59]
	v_fma_f64 v[24:25], v[52:53], v[16:17], -v[24:25]
	v_mul_f64 v[26:27], v[52:53], v[18:19]
	v_fmac_f64_e32 v[26:27], v[54:55], v[16:17]
	v_add_f64 v[42:43], v[42:43], v[24:25]
	v_mul_f64 v[24:25], v[38:39], v[14:15]
	v_mul_f64 v[14:15], v[36:37], v[14:15]
	v_add_f64 v[40:41], v[26:27], v[40:41]
	v_fma_f64 v[24:25], v[36:37], v[12:13], -v[24:25]
	v_fmac_f64_e32 v[14:15], v[38:39], v[12:13]
	v_mul_f64 v[12:13], v[38:39], v[18:19]
	v_mul_f64 v[26:27], v[36:37], v[18:19]
	v_add_f64 v[44:45], v[44:45], v[24:25]
	v_add_f64 v[46:47], v[14:15], v[46:47]
	v_fma_f64 v[24:25], v[36:37], v[16:17], -v[12:13]
	v_fmac_f64_e32 v[26:27], v[38:39], v[16:17]
	ds_read_b128 v[12:15], v31 offset:64
	ds_read_b128 v[16:19], v30 offset:2048
	v_add_f64 v[20:21], v[20:21], v[60:61]
	v_add_f64 v[52:53], v[22:23], v[24:25]
	;; [unrolled: 1-line block ×3, first 2 shown]
	ds_read_b128 v[20:23], v30 offset:2304
	ds_read_b128 v[24:27], v31 offset:80
	s_waitcnt lgkmcnt(2)
	v_mul_f64 v[36:37], v[14:15], v[18:19]
	v_fma_f64 v[36:37], v[12:13], v[16:17], -v[36:37]
	v_mul_f64 v[38:39], v[12:13], v[18:19]
	v_fmac_f64_e32 v[38:39], v[14:15], v[16:17]
	v_add_f64 v[48:49], v[48:49], v[36:37]
	s_waitcnt lgkmcnt(1)
	v_mul_f64 v[36:37], v[14:15], v[22:23]
	v_add_f64 v[50:51], v[38:39], v[50:51]
	v_fma_f64 v[56:57], v[12:13], v[20:21], -v[36:37]
	ds_read_b128 v[36:39], v31 offset:2112
	v_mul_f64 v[12:13], v[12:13], v[22:23]
	v_fmac_f64_e32 v[12:13], v[14:15], v[20:21]
	v_add_f64 v[42:43], v[42:43], v[56:57]
	v_add_f64 v[40:41], v[12:13], v[40:41]
	ds_read_b128 v[12:15], v31 offset:2128
	s_waitcnt lgkmcnt(1)
	v_mul_f64 v[56:57], v[38:39], v[18:19]
	v_mul_f64 v[18:19], v[36:37], v[18:19]
	v_fma_f64 v[56:57], v[36:37], v[16:17], -v[56:57]
	v_fmac_f64_e32 v[18:19], v[38:39], v[16:17]
	v_mul_f64 v[16:17], v[38:39], v[22:23]
	v_add_f64 v[44:45], v[44:45], v[56:57]
	v_add_f64 v[46:47], v[18:19], v[46:47]
	v_fma_f64 v[56:57], v[36:37], v[20:21], -v[16:17]
	v_mul_f64 v[22:23], v[36:37], v[22:23]
	ds_read_b128 v[16:19], v30 offset:2560
	v_fmac_f64_e32 v[22:23], v[38:39], v[20:21]
	v_add_f64 v[38:39], v[22:23], v[54:55]
	ds_read_b128 v[20:23], v30 offset:2816
	v_add_f64 v[36:37], v[52:53], v[56:57]
	s_waitcnt lgkmcnt(1)
	v_mul_f64 v[52:53], v[26:27], v[18:19]
	v_fma_f64 v[52:53], v[24:25], v[16:17], -v[52:53]
	v_add_f64 v[48:49], v[48:49], v[52:53]
	s_waitcnt lgkmcnt(0)
	v_mul_f64 v[52:53], v[26:27], v[22:23]
	v_mul_f64 v[54:55], v[24:25], v[18:19]
	v_fma_f64 v[52:53], v[24:25], v[20:21], -v[52:53]
	v_mul_f64 v[24:25], v[24:25], v[22:23]
	v_fmac_f64_e32 v[24:25], v[26:27], v[20:21]
	v_add_f64 v[40:41], v[24:25], v[40:41]
	v_mul_f64 v[24:25], v[14:15], v[18:19]
	v_mul_f64 v[18:19], v[12:13], v[18:19]
	v_fmac_f64_e32 v[54:55], v[26:27], v[16:17]
	v_fma_f64 v[24:25], v[12:13], v[16:17], -v[24:25]
	v_fmac_f64_e32 v[18:19], v[14:15], v[16:17]
	v_mul_f64 v[16:17], v[14:15], v[22:23]
	v_mul_f64 v[22:23], v[12:13], v[22:23]
	v_add_f64 v[44:45], v[44:45], v[24:25]
	v_add_f64 v[46:47], v[18:19], v[46:47]
	v_fma_f64 v[24:25], v[12:13], v[20:21], -v[16:17]
	v_fmac_f64_e32 v[22:23], v[14:15], v[20:21]
	ds_read_b128 v[12:15], v31 offset:96
	ds_read_b128 v[16:19], v30 offset:3072
	v_add_f64 v[50:51], v[54:55], v[50:51]
	v_add_f64 v[42:43], v[42:43], v[52:53]
	;; [unrolled: 1-line block ×4, first 2 shown]
	ds_read_b128 v[20:23], v30 offset:3328
	ds_read_b128 v[36:39], v31 offset:112
	s_waitcnt lgkmcnt(2)
	v_mul_f64 v[24:25], v[14:15], v[18:19]
	v_fma_f64 v[24:25], v[12:13], v[16:17], -v[24:25]
	v_mul_f64 v[26:27], v[12:13], v[18:19]
	v_fmac_f64_e32 v[26:27], v[14:15], v[16:17]
	v_add_f64 v[48:49], v[48:49], v[24:25]
	s_waitcnt lgkmcnt(1)
	v_mul_f64 v[24:25], v[14:15], v[22:23]
	v_add_f64 v[50:51], v[26:27], v[50:51]
	v_fma_f64 v[56:57], v[12:13], v[20:21], -v[24:25]
	ds_read_b128 v[24:27], v31 offset:2144
	v_mul_f64 v[12:13], v[12:13], v[22:23]
	v_fmac_f64_e32 v[12:13], v[14:15], v[20:21]
	v_add_f64 v[58:59], v[12:13], v[40:41]
	ds_read_b128 v[12:15], v31 offset:2160
	s_waitcnt lgkmcnt(1)
	v_mul_f64 v[40:41], v[26:27], v[18:19]
	v_mul_f64 v[18:19], v[24:25], v[18:19]
	v_fma_f64 v[40:41], v[24:25], v[16:17], -v[40:41]
	v_fmac_f64_e32 v[18:19], v[26:27], v[16:17]
	v_mul_f64 v[16:17], v[26:27], v[22:23]
	v_add_f64 v[44:45], v[44:45], v[40:41]
	v_add_f64 v[46:47], v[18:19], v[46:47]
	v_fma_f64 v[40:41], v[24:25], v[20:21], -v[16:17]
	ds_read_b128 v[16:19], v30 offset:3584
	v_add_f64 v[56:57], v[42:43], v[56:57]
	v_add_f64 v[52:53], v[52:53], v[40:41]
	ds_read_b128 v[40:43], v30 offset:3840
	v_mul_f64 v[22:23], v[24:25], v[22:23]
	v_fmac_f64_e32 v[22:23], v[26:27], v[20:21]
	s_waitcnt lgkmcnt(1)
	v_mul_f64 v[20:21], v[38:39], v[18:19]
	v_add_f64 v[54:55], v[22:23], v[54:55]
	v_fma_f64 v[20:21], v[36:37], v[16:17], -v[20:21]
	v_mul_f64 v[22:23], v[36:37], v[18:19]
	v_fmac_f64_e32 v[22:23], v[38:39], v[16:17]
	v_add_f64 v[24:25], v[48:49], v[20:21]
	s_waitcnt lgkmcnt(0)
	v_mul_f64 v[20:21], v[38:39], v[42:43]
	v_add_f64 v[26:27], v[22:23], v[50:51]
	v_fma_f64 v[20:21], v[36:37], v[40:41], -v[20:21]
	v_mul_f64 v[22:23], v[36:37], v[42:43]
	v_mul_f64 v[36:37], v[14:15], v[18:19]
	v_fma_f64 v[36:37], v[12:13], v[16:17], -v[36:37]
	v_mul_f64 v[18:19], v[12:13], v[18:19]
	v_fmac_f64_e32 v[18:19], v[14:15], v[16:17]
	v_add_f64 v[16:17], v[44:45], v[36:37]
	v_mul_f64 v[36:37], v[14:15], v[42:43]
	s_add_u32 s10, s10, 8
	v_fma_f64 v[36:37], v[12:13], v[40:41], -v[36:37]
	v_mul_f64 v[12:13], v[12:13], v[42:43]
	s_addc_u32 s11, s11, 0
	v_fmac_f64_e32 v[12:13], v[14:15], v[40:41]
	v_add_f64 v[14:15], v[52:53], v[36:37]
	v_mov_b64_e32 v[36:37], s[10:11]
	v_fmac_f64_e32 v[22:23], v[38:39], v[40:41]
	v_cmp_gt_i64_e32 vcc, s[8:9], v[36:37]
	v_add_f64 v[20:21], v[56:57], v[20:21]
	v_add_f64 v[22:23], v[22:23], v[58:59]
	v_add_f64 v[18:19], v[18:19], v[46:47]
	v_add_f64 v[12:13], v[12:13], v[54:55]
	s_barrier
	s_cbranch_vccz .LBB543_18
.LBB543_8:                              ; =>This Inner Loop Header: Depth=1
	s_mov_b64 s[18:19], s[2:3]
	s_mov_b64 s[14:15], 0
	s_and_saveexec_b64 s[16:17], s[0:1]
	s_cbranch_execnz .LBB543_16
; %bb.9:                                ;   in Loop: Header=BB543_8 Depth=1
	s_or_b64 exec, exec, s[16:17]
	s_and_saveexec_b64 s[16:17], s[18:19]
	s_xor_b64 s[16:17], exec, s[16:17]
	s_cbranch_execnz .LBB543_17
.LBB543_10:                             ;   in Loop: Header=BB543_8 Depth=1
	s_or_b64 exec, exec, s[16:17]
	s_and_saveexec_b64 s[16:17], s[14:15]
	s_cbranch_execz .LBB543_12
.LBB543_11:                             ;   in Loop: Header=BB543_8 Depth=1
	v_lshl_add_u64 v[36:37], v[10:11], 4, v[4:5]
	flat_load_dwordx4 v[36:39], v[36:37]
	s_waitcnt vmcnt(0) lgkmcnt(0)
	ds_write2_b64 v28, v[36:37], v[38:39] offset1:1
.LBB543_12:                             ;   in Loop: Header=BB543_8 Depth=1
	s_or_b64 exec, exec, s[16:17]
	v_add_u32_e32 v8, s10, v0
	v_cmp_le_u64_e32 vcc, s[8:9], v[8:9]
	s_or_b64 s[14:15], vcc, s[12:13]
	s_and_saveexec_b64 s[16:17], s[14:15]
	s_xor_b64 s[14:15], exec, s[16:17]
; %bb.13:                               ;   in Loop: Header=BB543_8 Depth=1
	ds_write_b128 v29, v[32:35]
; %bb.14:                               ;   in Loop: Header=BB543_8 Depth=1
	s_andn2_saveexec_b64 s[14:15], s[14:15]
	s_cbranch_execz .LBB543_7
; %bb.15:                               ;   in Loop: Header=BB543_8 Depth=1
	v_lshl_add_u64 v[36:37], v[8:9], 4, v[6:7]
	flat_load_dwordx4 v[36:39], v[36:37]
	s_waitcnt vmcnt(0) lgkmcnt(0)
	ds_write2_b64 v29, v[36:37], v[38:39] offset1:1
	s_branch .LBB543_7
.LBB543_16:                             ;   in Loop: Header=BB543_8 Depth=1
	v_add_u32_e32 v8, s10, v2
	v_cmp_le_u64_e32 vcc, s[8:9], v[8:9]
	s_andn2_b64 s[18:19], s[2:3], exec
	s_and_b64 s[20:21], vcc, exec
	s_mov_b64 s[14:15], exec
	s_or_b64 s[18:19], s[18:19], s[20:21]
	v_mov_b64_e32 v[10:11], v[8:9]
	s_or_b64 exec, exec, s[16:17]
	s_and_saveexec_b64 s[16:17], s[18:19]
	s_xor_b64 s[16:17], exec, s[16:17]
	s_cbranch_execz .LBB543_10
.LBB543_17:                             ;   in Loop: Header=BB543_8 Depth=1
	ds_write_b128 v28, v[32:35]
	s_andn2_b64 s[14:15], s[14:15], exec
	s_or_b64 exec, exec, s[16:17]
	s_and_saveexec_b64 s[16:17], s[14:15]
	s_cbranch_execnz .LBB543_11
	s_branch .LBB543_12
.LBB543_18:
	s_lshl_b64 s[0:1], s[30:31], 4
	v_add_u32_e32 v10, s26, v3
	s_waitcnt lgkmcnt(0)
	s_add_u32 s4, s4, s0
	v_ashrrev_i32_e32 v0, 31, v10
	s_addc_u32 s5, s5, s1
	v_add_u32_e32 v4, s25, v1
	v_cmp_neq_f64_e64 s[0:1], s[36:37], 0
	s_xor_b64 s[6:7], s[6:7], -1
	v_mul_lo_u32 v2, s28, v0
	v_mul_lo_u32 v3, s29, v10
	v_mad_u64_u32 v[0:1], s[8:9], s28, v10, 0
	v_add3_u32 v1, v1, v2, v3
	s_or_b64 s[0:1], s[0:1], s[6:7]
	v_cmp_gt_i32_e64 s[2:3], s24, v10
	v_lshl_add_u64 v[8:9], v[0:1], 4, s[4:5]
	v_cmp_le_i32_e32 vcc, v4, v10
	v_cndmask_b32_e64 v0, 0, 1, s[0:1]
	s_and_b64 s[8:9], s[2:3], vcc
	v_ashrrev_i32_e32 v5, 31, v4
	v_cmp_ne_u32_e64 s[0:1], 1, v0
	s_and_saveexec_b64 s[6:7], s[8:9]
	s_cbranch_execz .LBB543_22
; %bb.19:
	v_mul_f64 v[0:1], s[42:43], v[26:27]
	v_mul_f64 v[2:3], s[40:41], v[26:27]
	v_fma_f64 v[0:1], s[40:41], v[24:25], -v[0:1]
	v_fmac_f64_e32 v[2:3], s[42:43], v[24:25]
	s_and_b64 vcc, exec, s[0:1]
	v_lshl_add_u64 v[6:7], v[4:5], 4, v[8:9]
	s_cbranch_vccnz .LBB543_21
; %bb.20:
	flat_load_dwordx4 v[24:27], v[6:7]
	s_waitcnt vmcnt(0) lgkmcnt(0)
	v_mul_f64 v[28:29], s[38:39], v[26:27]
	v_mul_f64 v[26:27], s[36:37], v[26:27]
	v_fma_f64 v[28:29], s[36:37], v[24:25], -v[28:29]
	v_fmac_f64_e32 v[26:27], s[38:39], v[24:25]
	v_add_f64 v[0:1], v[0:1], v[28:29]
	v_add_f64 v[2:3], v[2:3], v[26:27]
.LBB543_21:
	flat_store_dwordx4 v[6:7], v[0:3]
.LBB543_22:
	s_or_b64 exec, exec, s[6:7]
	v_add_u32_e32 v6, 16, v4
	v_cmp_le_i32_e32 vcc, v6, v10
	s_and_b64 s[6:7], s[2:3], vcc
	v_ashrrev_i32_e32 v7, 31, v6
	s_and_saveexec_b64 s[2:3], s[6:7]
	s_cbranch_execz .LBB543_26
; %bb.23:
	v_mul_f64 v[0:1], s[42:43], v[22:23]
	v_mul_f64 v[2:3], s[40:41], v[22:23]
	v_fma_f64 v[0:1], s[40:41], v[20:21], -v[0:1]
	v_fmac_f64_e32 v[2:3], s[42:43], v[20:21]
	s_and_b64 vcc, exec, s[0:1]
	v_lshl_add_u64 v[8:9], v[6:7], 4, v[8:9]
	s_cbranch_vccnz .LBB543_25
; %bb.24:
	flat_load_dwordx4 v[20:23], v[8:9]
	s_waitcnt vmcnt(0) lgkmcnt(0)
	v_mul_f64 v[24:25], s[38:39], v[22:23]
	v_mul_f64 v[22:23], s[36:37], v[22:23]
	v_fma_f64 v[24:25], s[36:37], v[20:21], -v[24:25]
	v_fmac_f64_e32 v[22:23], s[38:39], v[20:21]
	v_add_f64 v[0:1], v[0:1], v[24:25]
	v_add_f64 v[2:3], v[2:3], v[22:23]
.LBB543_25:
	flat_store_dwordx4 v[8:9], v[0:3]
.LBB543_26:
	s_or_b64 exec, exec, s[2:3]
	v_add_u32_e32 v10, 16, v10
	v_ashrrev_i32_e32 v0, 31, v10
	v_mul_lo_u32 v2, s28, v0
	v_mul_lo_u32 v3, s29, v10
	v_mad_u64_u32 v[0:1], s[6:7], s28, v10, 0
	v_cmp_gt_i32_e64 s[2:3], s24, v10
	v_add3_u32 v1, v1, v2, v3
	v_cmp_le_i32_e32 vcc, v4, v10
	v_lshl_add_u64 v[8:9], v[0:1], 4, s[4:5]
	s_and_b64 s[6:7], s[2:3], vcc
	s_and_saveexec_b64 s[4:5], s[6:7]
	s_cbranch_execz .LBB543_30
; %bb.27:
	v_mul_f64 v[0:1], s[42:43], v[18:19]
	v_mul_f64 v[2:3], s[40:41], v[18:19]
	v_fma_f64 v[0:1], s[40:41], v[16:17], -v[0:1]
	v_fmac_f64_e32 v[2:3], s[42:43], v[16:17]
	s_and_b64 vcc, exec, s[0:1]
	v_lshl_add_u64 v[4:5], v[4:5], 4, v[8:9]
	s_cbranch_vccnz .LBB543_29
; %bb.28:
	flat_load_dwordx4 v[16:19], v[4:5]
	s_waitcnt vmcnt(0) lgkmcnt(0)
	v_mul_f64 v[20:21], s[38:39], v[18:19]
	v_mul_f64 v[18:19], s[36:37], v[18:19]
	v_fma_f64 v[20:21], s[36:37], v[16:17], -v[20:21]
	v_fmac_f64_e32 v[18:19], s[38:39], v[16:17]
	v_add_f64 v[0:1], v[0:1], v[20:21]
	v_add_f64 v[2:3], v[2:3], v[18:19]
.LBB543_29:
	flat_store_dwordx4 v[4:5], v[0:3]
.LBB543_30:
	s_or_b64 exec, exec, s[4:5]
	v_cmp_le_i32_e32 vcc, v6, v10
	s_and_b64 s[2:3], s[2:3], vcc
	s_and_saveexec_b64 s[4:5], s[2:3]
	s_cbranch_execz .LBB543_34
; %bb.31:
	v_mul_f64 v[0:1], s[42:43], v[12:13]
	v_mul_f64 v[2:3], s[40:41], v[12:13]
	v_fma_f64 v[0:1], s[40:41], v[14:15], -v[0:1]
	v_fmac_f64_e32 v[2:3], s[42:43], v[14:15]
	s_and_b64 vcc, exec, s[0:1]
	v_lshl_add_u64 v[4:5], v[6:7], 4, v[8:9]
	s_cbranch_vccnz .LBB543_33
; %bb.32:
	flat_load_dwordx4 v[6:9], v[4:5]
	s_waitcnt vmcnt(0) lgkmcnt(0)
	v_mul_f64 v[10:11], s[38:39], v[8:9]
	v_mul_f64 v[8:9], s[36:37], v[8:9]
	v_fma_f64 v[10:11], s[36:37], v[6:7], -v[10:11]
	v_fmac_f64_e32 v[8:9], s[38:39], v[6:7]
	v_add_f64 v[0:1], v[0:1], v[10:11]
	v_add_f64 v[2:3], v[2:3], v[8:9]
.LBB543_33:
	flat_store_dwordx4 v[4:5], v[0:3]
.LBB543_34:
	s_endpgm
	.section	.rodata,"a",@progbits
	.p2align	6, 0x0
	.amdhsa_kernel _ZL29rocblas_internal_gemmt_kernelIlLi16ELi32ELi8ELc84ELc78ELc85ELb0ELb0E19rocblas_complex_numIdEPKS1_PKS3_PKPS1_EviT_T9_T10_S9_lSB_S9_lSA_T11_S9_li
		.amdhsa_group_segment_fixed_size 8192
		.amdhsa_private_segment_fixed_size 0
		.amdhsa_kernarg_size 108
		.amdhsa_user_sgpr_count 2
		.amdhsa_user_sgpr_dispatch_ptr 0
		.amdhsa_user_sgpr_queue_ptr 0
		.amdhsa_user_sgpr_kernarg_segment_ptr 1
		.amdhsa_user_sgpr_dispatch_id 0
		.amdhsa_user_sgpr_kernarg_preload_length 0
		.amdhsa_user_sgpr_kernarg_preload_offset 0
		.amdhsa_user_sgpr_private_segment_size 0
		.amdhsa_uses_dynamic_stack 0
		.amdhsa_enable_private_segment 0
		.amdhsa_system_sgpr_workgroup_id_x 1
		.amdhsa_system_sgpr_workgroup_id_y 1
		.amdhsa_system_sgpr_workgroup_id_z 1
		.amdhsa_system_sgpr_workgroup_info 0
		.amdhsa_system_vgpr_workitem_id 1
		.amdhsa_next_free_vgpr 66
		.amdhsa_next_free_sgpr 44
		.amdhsa_accum_offset 68
		.amdhsa_reserve_vcc 1
		.amdhsa_float_round_mode_32 0
		.amdhsa_float_round_mode_16_64 0
		.amdhsa_float_denorm_mode_32 3
		.amdhsa_float_denorm_mode_16_64 3
		.amdhsa_dx10_clamp 1
		.amdhsa_ieee_mode 1
		.amdhsa_fp16_overflow 0
		.amdhsa_tg_split 0
		.amdhsa_exception_fp_ieee_invalid_op 0
		.amdhsa_exception_fp_denorm_src 0
		.amdhsa_exception_fp_ieee_div_zero 0
		.amdhsa_exception_fp_ieee_overflow 0
		.amdhsa_exception_fp_ieee_underflow 0
		.amdhsa_exception_fp_ieee_inexact 0
		.amdhsa_exception_int_div_zero 0
	.end_amdhsa_kernel
	.section	.text._ZL29rocblas_internal_gemmt_kernelIlLi16ELi32ELi8ELc84ELc78ELc85ELb0ELb0E19rocblas_complex_numIdEPKS1_PKS3_PKPS1_EviT_T9_T10_S9_lSB_S9_lSA_T11_S9_li,"axG",@progbits,_ZL29rocblas_internal_gemmt_kernelIlLi16ELi32ELi8ELc84ELc78ELc85ELb0ELb0E19rocblas_complex_numIdEPKS1_PKS3_PKPS1_EviT_T9_T10_S9_lSB_S9_lSA_T11_S9_li,comdat
.Lfunc_end543:
	.size	_ZL29rocblas_internal_gemmt_kernelIlLi16ELi32ELi8ELc84ELc78ELc85ELb0ELb0E19rocblas_complex_numIdEPKS1_PKS3_PKPS1_EviT_T9_T10_S9_lSB_S9_lSA_T11_S9_li, .Lfunc_end543-_ZL29rocblas_internal_gemmt_kernelIlLi16ELi32ELi8ELc84ELc78ELc85ELb0ELb0E19rocblas_complex_numIdEPKS1_PKS3_PKPS1_EviT_T9_T10_S9_lSB_S9_lSA_T11_S9_li
                                        ; -- End function
	.set _ZL29rocblas_internal_gemmt_kernelIlLi16ELi32ELi8ELc84ELc78ELc85ELb0ELb0E19rocblas_complex_numIdEPKS1_PKS3_PKPS1_EviT_T9_T10_S9_lSB_S9_lSA_T11_S9_li.num_vgpr, 66
	.set _ZL29rocblas_internal_gemmt_kernelIlLi16ELi32ELi8ELc84ELc78ELc85ELb0ELb0E19rocblas_complex_numIdEPKS1_PKS3_PKPS1_EviT_T9_T10_S9_lSB_S9_lSA_T11_S9_li.num_agpr, 0
	.set _ZL29rocblas_internal_gemmt_kernelIlLi16ELi32ELi8ELc84ELc78ELc85ELb0ELb0E19rocblas_complex_numIdEPKS1_PKS3_PKPS1_EviT_T9_T10_S9_lSB_S9_lSA_T11_S9_li.numbered_sgpr, 44
	.set _ZL29rocblas_internal_gemmt_kernelIlLi16ELi32ELi8ELc84ELc78ELc85ELb0ELb0E19rocblas_complex_numIdEPKS1_PKS3_PKPS1_EviT_T9_T10_S9_lSB_S9_lSA_T11_S9_li.num_named_barrier, 0
	.set _ZL29rocblas_internal_gemmt_kernelIlLi16ELi32ELi8ELc84ELc78ELc85ELb0ELb0E19rocblas_complex_numIdEPKS1_PKS3_PKPS1_EviT_T9_T10_S9_lSB_S9_lSA_T11_S9_li.private_seg_size, 0
	.set _ZL29rocblas_internal_gemmt_kernelIlLi16ELi32ELi8ELc84ELc78ELc85ELb0ELb0E19rocblas_complex_numIdEPKS1_PKS3_PKPS1_EviT_T9_T10_S9_lSB_S9_lSA_T11_S9_li.uses_vcc, 1
	.set _ZL29rocblas_internal_gemmt_kernelIlLi16ELi32ELi8ELc84ELc78ELc85ELb0ELb0E19rocblas_complex_numIdEPKS1_PKS3_PKPS1_EviT_T9_T10_S9_lSB_S9_lSA_T11_S9_li.uses_flat_scratch, 0
	.set _ZL29rocblas_internal_gemmt_kernelIlLi16ELi32ELi8ELc84ELc78ELc85ELb0ELb0E19rocblas_complex_numIdEPKS1_PKS3_PKPS1_EviT_T9_T10_S9_lSB_S9_lSA_T11_S9_li.has_dyn_sized_stack, 0
	.set _ZL29rocblas_internal_gemmt_kernelIlLi16ELi32ELi8ELc84ELc78ELc85ELb0ELb0E19rocblas_complex_numIdEPKS1_PKS3_PKPS1_EviT_T9_T10_S9_lSB_S9_lSA_T11_S9_li.has_recursion, 0
	.set _ZL29rocblas_internal_gemmt_kernelIlLi16ELi32ELi8ELc84ELc78ELc85ELb0ELb0E19rocblas_complex_numIdEPKS1_PKS3_PKPS1_EviT_T9_T10_S9_lSB_S9_lSA_T11_S9_li.has_indirect_call, 0
	.section	.AMDGPU.csdata,"",@progbits
; Kernel info:
; codeLenInByte = 3244
; TotalNumSgprs: 50
; NumVgprs: 66
; NumAgprs: 0
; TotalNumVgprs: 66
; ScratchSize: 0
; MemoryBound: 0
; FloatMode: 240
; IeeeMode: 1
; LDSByteSize: 8192 bytes/workgroup (compile time only)
; SGPRBlocks: 6
; VGPRBlocks: 8
; NumSGPRsForWavesPerEU: 50
; NumVGPRsForWavesPerEU: 66
; AccumOffset: 68
; Occupancy: 7
; WaveLimiterHint : 1
; COMPUTE_PGM_RSRC2:SCRATCH_EN: 0
; COMPUTE_PGM_RSRC2:USER_SGPR: 2
; COMPUTE_PGM_RSRC2:TRAP_HANDLER: 0
; COMPUTE_PGM_RSRC2:TGID_X_EN: 1
; COMPUTE_PGM_RSRC2:TGID_Y_EN: 1
; COMPUTE_PGM_RSRC2:TGID_Z_EN: 1
; COMPUTE_PGM_RSRC2:TIDIG_COMP_CNT: 1
; COMPUTE_PGM_RSRC3_GFX90A:ACCUM_OFFSET: 16
; COMPUTE_PGM_RSRC3_GFX90A:TG_SPLIT: 0
	.section	.text._ZL29rocblas_internal_gemmt_kernelIlLi16ELi32ELi8ELc84ELc84ELc85ELb0ELb0E19rocblas_complex_numIdEPKS1_PKS3_PKPS1_EviT_T9_T10_S9_lSB_S9_lSA_T11_S9_li,"axG",@progbits,_ZL29rocblas_internal_gemmt_kernelIlLi16ELi32ELi8ELc84ELc84ELc85ELb0ELb0E19rocblas_complex_numIdEPKS1_PKS3_PKPS1_EviT_T9_T10_S9_lSB_S9_lSA_T11_S9_li,comdat
	.globl	_ZL29rocblas_internal_gemmt_kernelIlLi16ELi32ELi8ELc84ELc84ELc85ELb0ELb0E19rocblas_complex_numIdEPKS1_PKS3_PKPS1_EviT_T9_T10_S9_lSB_S9_lSA_T11_S9_li ; -- Begin function _ZL29rocblas_internal_gemmt_kernelIlLi16ELi32ELi8ELc84ELc84ELc85ELb0ELb0E19rocblas_complex_numIdEPKS1_PKS3_PKPS1_EviT_T9_T10_S9_lSB_S9_lSA_T11_S9_li
	.p2align	8
	.type	_ZL29rocblas_internal_gemmt_kernelIlLi16ELi32ELi8ELc84ELc84ELc85ELb0ELb0E19rocblas_complex_numIdEPKS1_PKS3_PKPS1_EviT_T9_T10_S9_lSB_S9_lSA_T11_S9_li,@function
_ZL29rocblas_internal_gemmt_kernelIlLi16ELi32ELi8ELc84ELc84ELc85ELb0ELb0E19rocblas_complex_numIdEPKS1_PKS3_PKPS1_EviT_T9_T10_S9_lSB_S9_lSA_T11_S9_li: ; @_ZL29rocblas_internal_gemmt_kernelIlLi16ELi32ELi8ELc84ELc84ELc85ELb0ELb0E19rocblas_complex_numIdEPKS1_PKS3_PKPS1_EviT_T9_T10_S9_lSB_S9_lSA_T11_S9_li
; %bb.0:
	s_load_dwordx8 s[24:31], s[0:1], 0x48
	s_load_dwordx16 s[8:23], s[0:1], 0x8
	s_waitcnt lgkmcnt(0)
	s_load_dwordx4 s[36:39], s[24:25], 0x0
	s_load_dwordx4 s[40:43], s[10:11], 0x0
	s_mov_b64 s[24:25], 0
	s_waitcnt lgkmcnt(0)
	v_cmp_eq_f64_e64 s[10:11], s[36:37], 1.0
	v_cmp_eq_f64_e64 s[6:7], s[38:39], 0
	s_and_b64 s[10:11], s[10:11], s[6:7]
	s_andn2_b64 vcc, exec, s[10:11]
	s_mov_b64 s[10:11], -1
	s_cbranch_vccnz .LBB544_4
; %bb.1:
	s_cmp_lg_u64 s[8:9], 0
	s_cbranch_scc0 .LBB544_3
; %bb.2:
	v_cmp_neq_f64_e64 s[10:11], s[40:41], 0
	v_cmp_neq_f64_e64 s[24:25], s[42:43], 0
	s_or_b64 s[24:25], s[10:11], s[24:25]
.LBB544_3:
	s_mov_b64 s[10:11], s[24:25]
.LBB544_4:
	s_and_b64 vcc, exec, s[10:11]
	s_cbranch_vccz .LBB544_34
; %bb.5:
	s_mov_b32 s5, 0
	s_load_dword s24, s[0:1], 0x0
	s_lshl_b64 s[0:1], s[4:5], 3
	s_add_u32 s4, s26, s0
	s_addc_u32 s5, s27, s1
	s_load_dwordx2 s[4:5], s[4:5], 0x0
	s_lshl_b32 s25, s2, 5
	s_lshl_b32 s26, s3, 5
	v_cmp_eq_f64_e64 s[2:3], s[40:41], 0
	v_cmp_eq_f64_e64 s[10:11], s[42:43], 0
	s_and_b64 s[2:3], s[2:3], s[10:11]
	v_cmp_lt_i64_e64 s[10:11], s[8:9], 1
	s_or_b64 s[2:3], s[2:3], s[10:11]
	v_and_b32_e32 v1, 0x3ff, v0
	v_bfe_u32 v3, v0, 10, 10
	v_mov_b64_e32 v[24:25], 0
	s_and_b64 vcc, exec, s[2:3]
	v_mov_b64_e32 v[26:27], 0
	v_mov_b64_e32 v[20:21], 0
	;; [unrolled: 1-line block ×7, first 2 shown]
	s_cbranch_vccnz .LBB544_18
; %bb.6:
	s_add_u32 s2, s18, s0
	s_addc_u32 s3, s19, s1
	s_load_dwordx2 s[2:3], s[2:3], 0x0
	s_lshl_b64 s[10:11], s[22:23], 4
	v_lshl_add_u32 v4, v3, 4, v1
	v_lshrrev_b32_e32 v2, 5, v4
	v_lshrrev_b32_e32 v7, 3, v4
	s_waitcnt lgkmcnt(0)
	s_add_u32 s10, s2, s10
	s_addc_u32 s11, s3, s11
	s_add_u32 s0, s12, s0
	s_addc_u32 s1, s13, s1
	s_load_dwordx2 s[0:1], s[0:1], 0x0
	s_lshl_b64 s[2:3], s[16:17], 4
	v_and_b32_e32 v4, 31, v4
	v_or_b32_e32 v5, s25, v4
	v_lshlrev_b32_e32 v4, 4, v4
	s_waitcnt lgkmcnt(0)
	s_add_u32 s12, s0, s2
	s_addc_u32 s13, s1, s3
	s_ashr_i32 s18, s25, 31
	v_and_b32_e32 v0, 7, v1
	v_cmp_gt_i32_e64 s[0:1], s24, v5
	v_cmp_le_i32_e64 s[2:3], s24, v5
	v_lshl_or_b32 v28, v2, 9, v4
	v_mul_lo_u32 v8, s15, v5
	v_mad_u64_u32 v[4:5], s[16:17], s14, v5, 0
	s_mul_i32 s14, s14, s18
	v_add3_u32 v5, v5, s14, v8
	v_lshlrev_b32_e32 v8, 4, v0
	v_add_u32_e32 v6, s26, v7
	v_lshl_or_b32 v7, v7, 7, v8
	v_cmp_gt_i32_e32 vcc, s24, v6
	v_add_u32_e32 v29, 0x1000, v7
	v_ashrrev_i32_e32 v7, 31, v6
	v_mov_b32_e32 v8, 0x1000
	v_mov_b32_e32 v9, 0
	v_lshl_add_u64 v[4:5], v[4:5], 4, s[12:13]
	v_lshl_add_u64 v[6:7], v[6:7], 4, s[10:11]
	v_lshlrev_b32_e32 v30, 4, v1
	v_lshl_add_u32 v31, v3, 7, v8
	v_mov_b64_e32 v[12:13], 0
	s_mov_b64 s[10:11], 0
	s_xor_b64 s[12:13], vcc, -1
	v_mov_b32_e32 v32, v9
	v_mov_b32_e32 v33, v9
	;; [unrolled: 1-line block ×4, first 2 shown]
	v_mov_b64_e32 v[14:15], 0
	v_mov_b64_e32 v[18:19], 0
	v_mov_b64_e32 v[16:17], 0
	v_mov_b64_e32 v[22:23], 0
	v_mov_b64_e32 v[20:21], 0
	v_mov_b64_e32 v[26:27], 0
	v_mov_b64_e32 v[24:25], 0
                                        ; implicit-def: $vgpr10_vgpr11
	s_branch .LBB544_8
.LBB544_7:                              ;   in Loop: Header=BB544_8 Depth=1
	s_or_b64 exec, exec, s[14:15]
	s_waitcnt lgkmcnt(0)
	s_barrier
	ds_read_b128 v[36:39], v30
	ds_read_b128 v[40:43], v31
	ds_read_b128 v[44:47], v31 offset:16
	ds_read_b128 v[48:51], v31 offset:32
	;; [unrolled: 1-line block ×4, first 2 shown]
	s_waitcnt lgkmcnt(4)
	v_mul_f64 v[60:61], v[42:43], v[38:39]
	v_fma_f64 v[60:61], v[40:41], v[36:37], -v[60:61]
	v_mul_f64 v[62:63], v[40:41], v[38:39]
	v_fmac_f64_e32 v[62:63], v[42:43], v[36:37]
	v_add_f64 v[60:61], v[24:25], v[60:61]
	s_waitcnt lgkmcnt(0)
	v_mul_f64 v[24:25], v[42:43], v[58:59]
	v_add_f64 v[62:63], v[62:63], v[26:27]
	v_fma_f64 v[64:65], v[40:41], v[56:57], -v[24:25]
	ds_read_b128 v[24:27], v31 offset:2048
	v_mul_f64 v[40:41], v[40:41], v[58:59]
	v_fmac_f64_e32 v[40:41], v[42:43], v[56:57]
	v_add_f64 v[42:43], v[20:21], v[64:65]
	v_add_f64 v[40:41], v[40:41], v[22:23]
	ds_read_b128 v[20:23], v31 offset:2064
	s_waitcnt lgkmcnt(1)
	v_mul_f64 v[64:65], v[26:27], v[38:39]
	v_fma_f64 v[64:65], v[24:25], v[36:37], -v[64:65]
	v_mul_f64 v[38:39], v[24:25], v[38:39]
	v_fmac_f64_e32 v[38:39], v[26:27], v[36:37]
	v_add_f64 v[36:37], v[16:17], v[64:65]
	v_mul_f64 v[16:17], v[26:27], v[58:59]
	v_add_f64 v[38:39], v[38:39], v[18:19]
	v_fma_f64 v[64:65], v[24:25], v[56:57], -v[16:17]
	v_mul_f64 v[24:25], v[24:25], v[58:59]
	ds_read_b128 v[16:19], v30 offset:512
	v_fmac_f64_e32 v[24:25], v[26:27], v[56:57]
	v_add_f64 v[26:27], v[14:15], v[64:65]
	v_add_f64 v[24:25], v[24:25], v[12:13]
	ds_read_b128 v[12:15], v30 offset:768
	s_waitcnt lgkmcnt(1)
	v_mul_f64 v[56:57], v[46:47], v[18:19]
	v_fma_f64 v[56:57], v[44:45], v[16:17], -v[56:57]
	v_add_f64 v[56:57], v[60:61], v[56:57]
	v_mul_f64 v[58:59], v[44:45], v[18:19]
	s_waitcnt lgkmcnt(0)
	v_mul_f64 v[60:61], v[46:47], v[14:15]
	v_fma_f64 v[60:61], v[44:45], v[12:13], -v[60:61]
	v_mul_f64 v[44:45], v[44:45], v[14:15]
	v_fmac_f64_e32 v[44:45], v[46:47], v[12:13]
	v_add_f64 v[40:41], v[44:45], v[40:41]
	v_mul_f64 v[44:45], v[22:23], v[18:19]
	v_mul_f64 v[18:19], v[20:21], v[18:19]
	v_fmac_f64_e32 v[58:59], v[46:47], v[16:17]
	v_fma_f64 v[44:45], v[20:21], v[16:17], -v[44:45]
	v_fmac_f64_e32 v[18:19], v[22:23], v[16:17]
	v_mul_f64 v[16:17], v[22:23], v[14:15]
	v_add_f64 v[46:47], v[18:19], v[38:39]
	v_fma_f64 v[18:19], v[20:21], v[12:13], -v[16:17]
	v_mul_f64 v[20:21], v[20:21], v[14:15]
	ds_read_b128 v[14:17], v30 offset:1024
	v_fmac_f64_e32 v[20:21], v[22:23], v[12:13]
	v_add_f64 v[42:43], v[42:43], v[60:61]
	v_add_f64 v[26:27], v[26:27], v[18:19]
	;; [unrolled: 1-line block ×3, first 2 shown]
	ds_read_b128 v[18:21], v30 offset:1280
	s_waitcnt lgkmcnt(1)
	v_mul_f64 v[22:23], v[48:49], v[16:17]
	v_add_f64 v[58:59], v[58:59], v[62:63]
	v_fmac_f64_e32 v[22:23], v[50:51], v[14:15]
	v_add_f64 v[58:59], v[22:23], v[58:59]
	ds_read_b128 v[22:25], v31 offset:2080
	v_mul_f64 v[12:13], v[50:51], v[16:17]
	v_fma_f64 v[12:13], v[48:49], v[14:15], -v[12:13]
	v_add_f64 v[44:45], v[36:37], v[44:45]
	v_add_f64 v[56:57], v[56:57], v[12:13]
	s_waitcnt lgkmcnt(1)
	v_mul_f64 v[12:13], v[50:51], v[20:21]
	v_mul_f64 v[36:37], v[48:49], v[20:21]
	v_fma_f64 v[12:13], v[48:49], v[18:19], -v[12:13]
	v_fmac_f64_e32 v[36:37], v[50:51], v[18:19]
	v_add_f64 v[42:43], v[42:43], v[12:13]
	v_add_f64 v[40:41], v[36:37], v[40:41]
	ds_read_b128 v[36:39], v31 offset:2096
	s_waitcnt lgkmcnt(1)
	v_mul_f64 v[12:13], v[24:25], v[16:17]
	v_fma_f64 v[12:13], v[22:23], v[14:15], -v[12:13]
	v_mul_f64 v[16:17], v[22:23], v[16:17]
	v_fmac_f64_e32 v[16:17], v[24:25], v[14:15]
	v_add_f64 v[44:45], v[44:45], v[12:13]
	v_mul_f64 v[12:13], v[24:25], v[20:21]
	v_add_f64 v[46:47], v[16:17], v[46:47]
	v_fma_f64 v[16:17], v[22:23], v[18:19], -v[12:13]
	ds_read_b128 v[12:15], v30 offset:1536
	v_mul_f64 v[20:21], v[22:23], v[20:21]
	v_fmac_f64_e32 v[20:21], v[24:25], v[18:19]
	v_add_f64 v[22:23], v[26:27], v[16:17]
	ds_read_b128 v[16:19], v30 offset:1792
	s_waitcnt lgkmcnt(1)
	v_mul_f64 v[24:25], v[54:55], v[14:15]
	v_fma_f64 v[24:25], v[52:53], v[12:13], -v[24:25]
	v_mul_f64 v[26:27], v[52:53], v[14:15]
	v_fmac_f64_e32 v[26:27], v[54:55], v[12:13]
	v_add_f64 v[48:49], v[56:57], v[24:25]
	s_waitcnt lgkmcnt(0)
	v_mul_f64 v[24:25], v[54:55], v[18:19]
	v_add_f64 v[50:51], v[26:27], v[58:59]
	v_fma_f64 v[24:25], v[52:53], v[16:17], -v[24:25]
	v_mul_f64 v[26:27], v[52:53], v[18:19]
	v_fmac_f64_e32 v[26:27], v[54:55], v[16:17]
	v_add_f64 v[42:43], v[42:43], v[24:25]
	v_mul_f64 v[24:25], v[38:39], v[14:15]
	v_mul_f64 v[14:15], v[36:37], v[14:15]
	v_add_f64 v[40:41], v[26:27], v[40:41]
	v_fma_f64 v[24:25], v[36:37], v[12:13], -v[24:25]
	v_fmac_f64_e32 v[14:15], v[38:39], v[12:13]
	v_mul_f64 v[12:13], v[38:39], v[18:19]
	v_mul_f64 v[26:27], v[36:37], v[18:19]
	v_add_f64 v[44:45], v[44:45], v[24:25]
	v_add_f64 v[46:47], v[14:15], v[46:47]
	v_fma_f64 v[24:25], v[36:37], v[16:17], -v[12:13]
	v_fmac_f64_e32 v[26:27], v[38:39], v[16:17]
	ds_read_b128 v[12:15], v31 offset:64
	ds_read_b128 v[16:19], v30 offset:2048
	v_add_f64 v[20:21], v[20:21], v[60:61]
	v_add_f64 v[52:53], v[22:23], v[24:25]
	;; [unrolled: 1-line block ×3, first 2 shown]
	ds_read_b128 v[20:23], v30 offset:2304
	ds_read_b128 v[24:27], v31 offset:80
	s_waitcnt lgkmcnt(2)
	v_mul_f64 v[36:37], v[14:15], v[18:19]
	v_fma_f64 v[36:37], v[12:13], v[16:17], -v[36:37]
	v_mul_f64 v[38:39], v[12:13], v[18:19]
	v_fmac_f64_e32 v[38:39], v[14:15], v[16:17]
	v_add_f64 v[48:49], v[48:49], v[36:37]
	s_waitcnt lgkmcnt(1)
	v_mul_f64 v[36:37], v[14:15], v[22:23]
	v_add_f64 v[50:51], v[38:39], v[50:51]
	v_fma_f64 v[56:57], v[12:13], v[20:21], -v[36:37]
	ds_read_b128 v[36:39], v31 offset:2112
	v_mul_f64 v[12:13], v[12:13], v[22:23]
	v_fmac_f64_e32 v[12:13], v[14:15], v[20:21]
	v_add_f64 v[42:43], v[42:43], v[56:57]
	v_add_f64 v[40:41], v[12:13], v[40:41]
	ds_read_b128 v[12:15], v31 offset:2128
	s_waitcnt lgkmcnt(1)
	v_mul_f64 v[56:57], v[38:39], v[18:19]
	v_mul_f64 v[18:19], v[36:37], v[18:19]
	v_fma_f64 v[56:57], v[36:37], v[16:17], -v[56:57]
	v_fmac_f64_e32 v[18:19], v[38:39], v[16:17]
	v_mul_f64 v[16:17], v[38:39], v[22:23]
	v_add_f64 v[44:45], v[44:45], v[56:57]
	v_add_f64 v[46:47], v[18:19], v[46:47]
	v_fma_f64 v[56:57], v[36:37], v[20:21], -v[16:17]
	v_mul_f64 v[22:23], v[36:37], v[22:23]
	ds_read_b128 v[16:19], v30 offset:2560
	v_fmac_f64_e32 v[22:23], v[38:39], v[20:21]
	v_add_f64 v[38:39], v[22:23], v[54:55]
	ds_read_b128 v[20:23], v30 offset:2816
	v_add_f64 v[36:37], v[52:53], v[56:57]
	s_waitcnt lgkmcnt(1)
	v_mul_f64 v[52:53], v[26:27], v[18:19]
	v_fma_f64 v[52:53], v[24:25], v[16:17], -v[52:53]
	v_add_f64 v[48:49], v[48:49], v[52:53]
	s_waitcnt lgkmcnt(0)
	v_mul_f64 v[52:53], v[26:27], v[22:23]
	v_mul_f64 v[54:55], v[24:25], v[18:19]
	v_fma_f64 v[52:53], v[24:25], v[20:21], -v[52:53]
	v_mul_f64 v[24:25], v[24:25], v[22:23]
	v_fmac_f64_e32 v[24:25], v[26:27], v[20:21]
	v_add_f64 v[40:41], v[24:25], v[40:41]
	v_mul_f64 v[24:25], v[14:15], v[18:19]
	v_mul_f64 v[18:19], v[12:13], v[18:19]
	v_fmac_f64_e32 v[54:55], v[26:27], v[16:17]
	v_fma_f64 v[24:25], v[12:13], v[16:17], -v[24:25]
	v_fmac_f64_e32 v[18:19], v[14:15], v[16:17]
	v_mul_f64 v[16:17], v[14:15], v[22:23]
	v_mul_f64 v[22:23], v[12:13], v[22:23]
	v_add_f64 v[44:45], v[44:45], v[24:25]
	v_add_f64 v[46:47], v[18:19], v[46:47]
	v_fma_f64 v[24:25], v[12:13], v[20:21], -v[16:17]
	v_fmac_f64_e32 v[22:23], v[14:15], v[20:21]
	ds_read_b128 v[12:15], v31 offset:96
	ds_read_b128 v[16:19], v30 offset:3072
	v_add_f64 v[50:51], v[54:55], v[50:51]
	v_add_f64 v[42:43], v[42:43], v[52:53]
	;; [unrolled: 1-line block ×4, first 2 shown]
	ds_read_b128 v[20:23], v30 offset:3328
	ds_read_b128 v[36:39], v31 offset:112
	s_waitcnt lgkmcnt(2)
	v_mul_f64 v[24:25], v[14:15], v[18:19]
	v_fma_f64 v[24:25], v[12:13], v[16:17], -v[24:25]
	v_mul_f64 v[26:27], v[12:13], v[18:19]
	v_fmac_f64_e32 v[26:27], v[14:15], v[16:17]
	v_add_f64 v[48:49], v[48:49], v[24:25]
	s_waitcnt lgkmcnt(1)
	v_mul_f64 v[24:25], v[14:15], v[22:23]
	v_add_f64 v[50:51], v[26:27], v[50:51]
	v_fma_f64 v[56:57], v[12:13], v[20:21], -v[24:25]
	ds_read_b128 v[24:27], v31 offset:2144
	v_mul_f64 v[12:13], v[12:13], v[22:23]
	v_fmac_f64_e32 v[12:13], v[14:15], v[20:21]
	v_add_f64 v[58:59], v[12:13], v[40:41]
	ds_read_b128 v[12:15], v31 offset:2160
	s_waitcnt lgkmcnt(1)
	v_mul_f64 v[40:41], v[26:27], v[18:19]
	v_mul_f64 v[18:19], v[24:25], v[18:19]
	v_fma_f64 v[40:41], v[24:25], v[16:17], -v[40:41]
	v_fmac_f64_e32 v[18:19], v[26:27], v[16:17]
	v_mul_f64 v[16:17], v[26:27], v[22:23]
	v_add_f64 v[44:45], v[44:45], v[40:41]
	v_add_f64 v[46:47], v[18:19], v[46:47]
	v_fma_f64 v[40:41], v[24:25], v[20:21], -v[16:17]
	ds_read_b128 v[16:19], v30 offset:3584
	v_add_f64 v[56:57], v[42:43], v[56:57]
	v_add_f64 v[52:53], v[52:53], v[40:41]
	ds_read_b128 v[40:43], v30 offset:3840
	v_mul_f64 v[22:23], v[24:25], v[22:23]
	v_fmac_f64_e32 v[22:23], v[26:27], v[20:21]
	s_waitcnt lgkmcnt(1)
	v_mul_f64 v[20:21], v[38:39], v[18:19]
	v_add_f64 v[54:55], v[22:23], v[54:55]
	v_fma_f64 v[20:21], v[36:37], v[16:17], -v[20:21]
	v_mul_f64 v[22:23], v[36:37], v[18:19]
	v_fmac_f64_e32 v[22:23], v[38:39], v[16:17]
	v_add_f64 v[24:25], v[48:49], v[20:21]
	s_waitcnt lgkmcnt(0)
	v_mul_f64 v[20:21], v[38:39], v[42:43]
	v_add_f64 v[26:27], v[22:23], v[50:51]
	v_fma_f64 v[20:21], v[36:37], v[40:41], -v[20:21]
	v_mul_f64 v[22:23], v[36:37], v[42:43]
	v_mul_f64 v[36:37], v[14:15], v[18:19]
	v_fma_f64 v[36:37], v[12:13], v[16:17], -v[36:37]
	v_mul_f64 v[18:19], v[12:13], v[18:19]
	v_fmac_f64_e32 v[18:19], v[14:15], v[16:17]
	v_add_f64 v[16:17], v[44:45], v[36:37]
	v_mul_f64 v[36:37], v[14:15], v[42:43]
	s_add_u32 s10, s10, 8
	v_fma_f64 v[36:37], v[12:13], v[40:41], -v[36:37]
	v_mul_f64 v[12:13], v[12:13], v[42:43]
	s_addc_u32 s11, s11, 0
	v_fmac_f64_e32 v[12:13], v[14:15], v[40:41]
	v_add_f64 v[14:15], v[52:53], v[36:37]
	v_mov_b64_e32 v[36:37], s[10:11]
	v_fmac_f64_e32 v[22:23], v[38:39], v[40:41]
	v_cmp_gt_i64_e32 vcc, s[8:9], v[36:37]
	v_add_f64 v[20:21], v[56:57], v[20:21]
	v_add_f64 v[22:23], v[22:23], v[58:59]
	;; [unrolled: 1-line block ×4, first 2 shown]
	s_barrier
	s_cbranch_vccz .LBB544_18
.LBB544_8:                              ; =>This Inner Loop Header: Depth=1
	s_mov_b64 s[18:19], s[2:3]
	s_mov_b64 s[14:15], 0
	s_and_saveexec_b64 s[16:17], s[0:1]
	s_cbranch_execnz .LBB544_16
; %bb.9:                                ;   in Loop: Header=BB544_8 Depth=1
	s_or_b64 exec, exec, s[16:17]
	s_and_saveexec_b64 s[16:17], s[18:19]
	s_xor_b64 s[16:17], exec, s[16:17]
	s_cbranch_execnz .LBB544_17
.LBB544_10:                             ;   in Loop: Header=BB544_8 Depth=1
	s_or_b64 exec, exec, s[16:17]
	s_and_saveexec_b64 s[16:17], s[14:15]
	s_cbranch_execz .LBB544_12
.LBB544_11:                             ;   in Loop: Header=BB544_8 Depth=1
	v_lshl_add_u64 v[36:37], v[10:11], 4, v[4:5]
	flat_load_dwordx4 v[36:39], v[36:37]
	s_waitcnt vmcnt(0) lgkmcnt(0)
	ds_write2_b64 v28, v[36:37], v[38:39] offset1:1
.LBB544_12:                             ;   in Loop: Header=BB544_8 Depth=1
	s_or_b64 exec, exec, s[16:17]
	v_add_u32_e32 v8, s10, v0
	v_cmp_le_u64_e32 vcc, s[8:9], v[8:9]
	s_or_b64 s[14:15], vcc, s[12:13]
	s_and_saveexec_b64 s[16:17], s[14:15]
	s_xor_b64 s[14:15], exec, s[16:17]
; %bb.13:                               ;   in Loop: Header=BB544_8 Depth=1
	ds_write_b128 v29, v[32:35]
; %bb.14:                               ;   in Loop: Header=BB544_8 Depth=1
	s_andn2_saveexec_b64 s[14:15], s[14:15]
	s_cbranch_execz .LBB544_7
; %bb.15:                               ;   in Loop: Header=BB544_8 Depth=1
	v_mad_u64_u32 v[36:37], s[16:17], s20, v8, 0
	v_mov_b32_e32 v38, v37
	v_mad_u64_u32 v[38:39], s[16:17], s21, v8, v[38:39]
	v_mov_b32_e32 v37, v38
	v_lshl_add_u64 v[36:37], v[36:37], 4, v[6:7]
	flat_load_dwordx4 v[36:39], v[36:37]
	s_waitcnt vmcnt(0) lgkmcnt(0)
	ds_write2_b64 v29, v[36:37], v[38:39] offset1:1
	s_branch .LBB544_7
.LBB544_16:                             ;   in Loop: Header=BB544_8 Depth=1
	v_add_u32_e32 v8, s10, v2
	v_cmp_le_u64_e32 vcc, s[8:9], v[8:9]
	s_andn2_b64 s[18:19], s[2:3], exec
	s_and_b64 s[22:23], vcc, exec
	s_mov_b64 s[14:15], exec
	s_or_b64 s[18:19], s[18:19], s[22:23]
	v_mov_b64_e32 v[10:11], v[8:9]
	s_or_b64 exec, exec, s[16:17]
	s_and_saveexec_b64 s[16:17], s[18:19]
	s_xor_b64 s[16:17], exec, s[16:17]
	s_cbranch_execz .LBB544_10
.LBB544_17:                             ;   in Loop: Header=BB544_8 Depth=1
	ds_write_b128 v28, v[32:35]
	s_andn2_b64 s[14:15], s[14:15], exec
	s_or_b64 exec, exec, s[16:17]
	s_and_saveexec_b64 s[16:17], s[14:15]
	s_cbranch_execnz .LBB544_11
	s_branch .LBB544_12
.LBB544_18:
	s_lshl_b64 s[0:1], s[30:31], 4
	v_add_u32_e32 v10, s26, v3
	s_waitcnt lgkmcnt(0)
	s_add_u32 s4, s4, s0
	v_ashrrev_i32_e32 v0, 31, v10
	s_addc_u32 s5, s5, s1
	v_add_u32_e32 v4, s25, v1
	v_cmp_neq_f64_e64 s[0:1], s[36:37], 0
	s_xor_b64 s[6:7], s[6:7], -1
	v_mul_lo_u32 v2, s28, v0
	v_mul_lo_u32 v3, s29, v10
	v_mad_u64_u32 v[0:1], s[8:9], s28, v10, 0
	v_add3_u32 v1, v1, v2, v3
	s_or_b64 s[0:1], s[0:1], s[6:7]
	v_cmp_gt_i32_e64 s[2:3], s24, v10
	v_lshl_add_u64 v[8:9], v[0:1], 4, s[4:5]
	v_cmp_le_i32_e32 vcc, v4, v10
	v_cndmask_b32_e64 v0, 0, 1, s[0:1]
	s_and_b64 s[8:9], s[2:3], vcc
	v_ashrrev_i32_e32 v5, 31, v4
	v_cmp_ne_u32_e64 s[0:1], 1, v0
	s_and_saveexec_b64 s[6:7], s[8:9]
	s_cbranch_execz .LBB544_22
; %bb.19:
	v_mul_f64 v[0:1], s[42:43], v[26:27]
	v_mul_f64 v[2:3], s[40:41], v[26:27]
	v_fma_f64 v[0:1], s[40:41], v[24:25], -v[0:1]
	v_fmac_f64_e32 v[2:3], s[42:43], v[24:25]
	s_and_b64 vcc, exec, s[0:1]
	v_lshl_add_u64 v[6:7], v[4:5], 4, v[8:9]
	s_cbranch_vccnz .LBB544_21
; %bb.20:
	flat_load_dwordx4 v[24:27], v[6:7]
	s_waitcnt vmcnt(0) lgkmcnt(0)
	v_mul_f64 v[28:29], s[38:39], v[26:27]
	v_mul_f64 v[26:27], s[36:37], v[26:27]
	v_fma_f64 v[28:29], s[36:37], v[24:25], -v[28:29]
	v_fmac_f64_e32 v[26:27], s[38:39], v[24:25]
	v_add_f64 v[0:1], v[0:1], v[28:29]
	v_add_f64 v[2:3], v[2:3], v[26:27]
.LBB544_21:
	flat_store_dwordx4 v[6:7], v[0:3]
.LBB544_22:
	s_or_b64 exec, exec, s[6:7]
	v_add_u32_e32 v6, 16, v4
	v_cmp_le_i32_e32 vcc, v6, v10
	s_and_b64 s[6:7], s[2:3], vcc
	v_ashrrev_i32_e32 v7, 31, v6
	s_and_saveexec_b64 s[2:3], s[6:7]
	s_cbranch_execz .LBB544_26
; %bb.23:
	v_mul_f64 v[0:1], s[42:43], v[22:23]
	v_mul_f64 v[2:3], s[40:41], v[22:23]
	v_fma_f64 v[0:1], s[40:41], v[20:21], -v[0:1]
	v_fmac_f64_e32 v[2:3], s[42:43], v[20:21]
	s_and_b64 vcc, exec, s[0:1]
	v_lshl_add_u64 v[8:9], v[6:7], 4, v[8:9]
	s_cbranch_vccnz .LBB544_25
; %bb.24:
	flat_load_dwordx4 v[20:23], v[8:9]
	s_waitcnt vmcnt(0) lgkmcnt(0)
	v_mul_f64 v[24:25], s[38:39], v[22:23]
	v_mul_f64 v[22:23], s[36:37], v[22:23]
	v_fma_f64 v[24:25], s[36:37], v[20:21], -v[24:25]
	v_fmac_f64_e32 v[22:23], s[38:39], v[20:21]
	v_add_f64 v[0:1], v[0:1], v[24:25]
	v_add_f64 v[2:3], v[2:3], v[22:23]
.LBB544_25:
	flat_store_dwordx4 v[8:9], v[0:3]
.LBB544_26:
	s_or_b64 exec, exec, s[2:3]
	v_add_u32_e32 v10, 16, v10
	v_ashrrev_i32_e32 v0, 31, v10
	v_mul_lo_u32 v2, s28, v0
	v_mul_lo_u32 v3, s29, v10
	v_mad_u64_u32 v[0:1], s[6:7], s28, v10, 0
	v_cmp_gt_i32_e64 s[2:3], s24, v10
	v_add3_u32 v1, v1, v2, v3
	v_cmp_le_i32_e32 vcc, v4, v10
	v_lshl_add_u64 v[8:9], v[0:1], 4, s[4:5]
	s_and_b64 s[6:7], s[2:3], vcc
	s_and_saveexec_b64 s[4:5], s[6:7]
	s_cbranch_execz .LBB544_30
; %bb.27:
	v_mul_f64 v[0:1], s[42:43], v[18:19]
	v_mul_f64 v[2:3], s[40:41], v[18:19]
	v_fma_f64 v[0:1], s[40:41], v[16:17], -v[0:1]
	v_fmac_f64_e32 v[2:3], s[42:43], v[16:17]
	s_and_b64 vcc, exec, s[0:1]
	v_lshl_add_u64 v[4:5], v[4:5], 4, v[8:9]
	s_cbranch_vccnz .LBB544_29
; %bb.28:
	flat_load_dwordx4 v[16:19], v[4:5]
	s_waitcnt vmcnt(0) lgkmcnt(0)
	v_mul_f64 v[20:21], s[38:39], v[18:19]
	v_mul_f64 v[18:19], s[36:37], v[18:19]
	v_fma_f64 v[20:21], s[36:37], v[16:17], -v[20:21]
	v_fmac_f64_e32 v[18:19], s[38:39], v[16:17]
	v_add_f64 v[0:1], v[0:1], v[20:21]
	v_add_f64 v[2:3], v[2:3], v[18:19]
.LBB544_29:
	flat_store_dwordx4 v[4:5], v[0:3]
.LBB544_30:
	s_or_b64 exec, exec, s[4:5]
	v_cmp_le_i32_e32 vcc, v6, v10
	s_and_b64 s[2:3], s[2:3], vcc
	s_and_saveexec_b64 s[4:5], s[2:3]
	s_cbranch_execz .LBB544_34
; %bb.31:
	v_mul_f64 v[0:1], s[42:43], v[12:13]
	v_mul_f64 v[2:3], s[40:41], v[12:13]
	v_fma_f64 v[0:1], s[40:41], v[14:15], -v[0:1]
	v_fmac_f64_e32 v[2:3], s[42:43], v[14:15]
	s_and_b64 vcc, exec, s[0:1]
	v_lshl_add_u64 v[4:5], v[6:7], 4, v[8:9]
	s_cbranch_vccnz .LBB544_33
; %bb.32:
	flat_load_dwordx4 v[6:9], v[4:5]
	s_waitcnt vmcnt(0) lgkmcnt(0)
	v_mul_f64 v[10:11], s[38:39], v[8:9]
	v_mul_f64 v[8:9], s[36:37], v[8:9]
	v_fma_f64 v[10:11], s[36:37], v[6:7], -v[10:11]
	v_fmac_f64_e32 v[8:9], s[38:39], v[6:7]
	v_add_f64 v[0:1], v[0:1], v[10:11]
	v_add_f64 v[2:3], v[2:3], v[8:9]
.LBB544_33:
	flat_store_dwordx4 v[4:5], v[0:3]
.LBB544_34:
	s_endpgm
	.section	.rodata,"a",@progbits
	.p2align	6, 0x0
	.amdhsa_kernel _ZL29rocblas_internal_gemmt_kernelIlLi16ELi32ELi8ELc84ELc84ELc85ELb0ELb0E19rocblas_complex_numIdEPKS1_PKS3_PKPS1_EviT_T9_T10_S9_lSB_S9_lSA_T11_S9_li
		.amdhsa_group_segment_fixed_size 8192
		.amdhsa_private_segment_fixed_size 0
		.amdhsa_kernarg_size 108
		.amdhsa_user_sgpr_count 2
		.amdhsa_user_sgpr_dispatch_ptr 0
		.amdhsa_user_sgpr_queue_ptr 0
		.amdhsa_user_sgpr_kernarg_segment_ptr 1
		.amdhsa_user_sgpr_dispatch_id 0
		.amdhsa_user_sgpr_kernarg_preload_length 0
		.amdhsa_user_sgpr_kernarg_preload_offset 0
		.amdhsa_user_sgpr_private_segment_size 0
		.amdhsa_uses_dynamic_stack 0
		.amdhsa_enable_private_segment 0
		.amdhsa_system_sgpr_workgroup_id_x 1
		.amdhsa_system_sgpr_workgroup_id_y 1
		.amdhsa_system_sgpr_workgroup_id_z 1
		.amdhsa_system_sgpr_workgroup_info 0
		.amdhsa_system_vgpr_workitem_id 1
		.amdhsa_next_free_vgpr 66
		.amdhsa_next_free_sgpr 44
		.amdhsa_accum_offset 68
		.amdhsa_reserve_vcc 1
		.amdhsa_float_round_mode_32 0
		.amdhsa_float_round_mode_16_64 0
		.amdhsa_float_denorm_mode_32 3
		.amdhsa_float_denorm_mode_16_64 3
		.amdhsa_dx10_clamp 1
		.amdhsa_ieee_mode 1
		.amdhsa_fp16_overflow 0
		.amdhsa_tg_split 0
		.amdhsa_exception_fp_ieee_invalid_op 0
		.amdhsa_exception_fp_denorm_src 0
		.amdhsa_exception_fp_ieee_div_zero 0
		.amdhsa_exception_fp_ieee_overflow 0
		.amdhsa_exception_fp_ieee_underflow 0
		.amdhsa_exception_fp_ieee_inexact 0
		.amdhsa_exception_int_div_zero 0
	.end_amdhsa_kernel
	.section	.text._ZL29rocblas_internal_gemmt_kernelIlLi16ELi32ELi8ELc84ELc84ELc85ELb0ELb0E19rocblas_complex_numIdEPKS1_PKS3_PKPS1_EviT_T9_T10_S9_lSB_S9_lSA_T11_S9_li,"axG",@progbits,_ZL29rocblas_internal_gemmt_kernelIlLi16ELi32ELi8ELc84ELc84ELc85ELb0ELb0E19rocblas_complex_numIdEPKS1_PKS3_PKPS1_EviT_T9_T10_S9_lSB_S9_lSA_T11_S9_li,comdat
.Lfunc_end544:
	.size	_ZL29rocblas_internal_gemmt_kernelIlLi16ELi32ELi8ELc84ELc84ELc85ELb0ELb0E19rocblas_complex_numIdEPKS1_PKS3_PKPS1_EviT_T9_T10_S9_lSB_S9_lSA_T11_S9_li, .Lfunc_end544-_ZL29rocblas_internal_gemmt_kernelIlLi16ELi32ELi8ELc84ELc84ELc85ELb0ELb0E19rocblas_complex_numIdEPKS1_PKS3_PKPS1_EviT_T9_T10_S9_lSB_S9_lSA_T11_S9_li
                                        ; -- End function
	.set _ZL29rocblas_internal_gemmt_kernelIlLi16ELi32ELi8ELc84ELc84ELc85ELb0ELb0E19rocblas_complex_numIdEPKS1_PKS3_PKPS1_EviT_T9_T10_S9_lSB_S9_lSA_T11_S9_li.num_vgpr, 66
	.set _ZL29rocblas_internal_gemmt_kernelIlLi16ELi32ELi8ELc84ELc84ELc85ELb0ELb0E19rocblas_complex_numIdEPKS1_PKS3_PKPS1_EviT_T9_T10_S9_lSB_S9_lSA_T11_S9_li.num_agpr, 0
	.set _ZL29rocblas_internal_gemmt_kernelIlLi16ELi32ELi8ELc84ELc84ELc85ELb0ELb0E19rocblas_complex_numIdEPKS1_PKS3_PKPS1_EviT_T9_T10_S9_lSB_S9_lSA_T11_S9_li.numbered_sgpr, 44
	.set _ZL29rocblas_internal_gemmt_kernelIlLi16ELi32ELi8ELc84ELc84ELc85ELb0ELb0E19rocblas_complex_numIdEPKS1_PKS3_PKPS1_EviT_T9_T10_S9_lSB_S9_lSA_T11_S9_li.num_named_barrier, 0
	.set _ZL29rocblas_internal_gemmt_kernelIlLi16ELi32ELi8ELc84ELc84ELc85ELb0ELb0E19rocblas_complex_numIdEPKS1_PKS3_PKPS1_EviT_T9_T10_S9_lSB_S9_lSA_T11_S9_li.private_seg_size, 0
	.set _ZL29rocblas_internal_gemmt_kernelIlLi16ELi32ELi8ELc84ELc84ELc85ELb0ELb0E19rocblas_complex_numIdEPKS1_PKS3_PKPS1_EviT_T9_T10_S9_lSB_S9_lSA_T11_S9_li.uses_vcc, 1
	.set _ZL29rocblas_internal_gemmt_kernelIlLi16ELi32ELi8ELc84ELc84ELc85ELb0ELb0E19rocblas_complex_numIdEPKS1_PKS3_PKPS1_EviT_T9_T10_S9_lSB_S9_lSA_T11_S9_li.uses_flat_scratch, 0
	.set _ZL29rocblas_internal_gemmt_kernelIlLi16ELi32ELi8ELc84ELc84ELc85ELb0ELb0E19rocblas_complex_numIdEPKS1_PKS3_PKPS1_EviT_T9_T10_S9_lSB_S9_lSA_T11_S9_li.has_dyn_sized_stack, 0
	.set _ZL29rocblas_internal_gemmt_kernelIlLi16ELi32ELi8ELc84ELc84ELc85ELb0ELb0E19rocblas_complex_numIdEPKS1_PKS3_PKPS1_EviT_T9_T10_S9_lSB_S9_lSA_T11_S9_li.has_recursion, 0
	.set _ZL29rocblas_internal_gemmt_kernelIlLi16ELi32ELi8ELc84ELc84ELc85ELb0ELb0E19rocblas_complex_numIdEPKS1_PKS3_PKPS1_EviT_T9_T10_S9_lSB_S9_lSA_T11_S9_li.has_indirect_call, 0
	.section	.AMDGPU.csdata,"",@progbits
; Kernel info:
; codeLenInByte = 3236
; TotalNumSgprs: 50
; NumVgprs: 66
; NumAgprs: 0
; TotalNumVgprs: 66
; ScratchSize: 0
; MemoryBound: 0
; FloatMode: 240
; IeeeMode: 1
; LDSByteSize: 8192 bytes/workgroup (compile time only)
; SGPRBlocks: 6
; VGPRBlocks: 8
; NumSGPRsForWavesPerEU: 50
; NumVGPRsForWavesPerEU: 66
; AccumOffset: 68
; Occupancy: 7
; WaveLimiterHint : 1
; COMPUTE_PGM_RSRC2:SCRATCH_EN: 0
; COMPUTE_PGM_RSRC2:USER_SGPR: 2
; COMPUTE_PGM_RSRC2:TRAP_HANDLER: 0
; COMPUTE_PGM_RSRC2:TGID_X_EN: 1
; COMPUTE_PGM_RSRC2:TGID_Y_EN: 1
; COMPUTE_PGM_RSRC2:TGID_Z_EN: 1
; COMPUTE_PGM_RSRC2:TIDIG_COMP_CNT: 1
; COMPUTE_PGM_RSRC3_GFX90A:ACCUM_OFFSET: 16
; COMPUTE_PGM_RSRC3_GFX90A:TG_SPLIT: 0
	.section	.text._ZL29rocblas_internal_gemmt_kernelIlLi16ELi32ELi8ELc84ELc67ELc85ELb0ELb1E19rocblas_complex_numIdEPKS1_PKS3_PKPS1_EviT_T9_T10_S9_lSB_S9_lSA_T11_S9_li,"axG",@progbits,_ZL29rocblas_internal_gemmt_kernelIlLi16ELi32ELi8ELc84ELc67ELc85ELb0ELb1E19rocblas_complex_numIdEPKS1_PKS3_PKPS1_EviT_T9_T10_S9_lSB_S9_lSA_T11_S9_li,comdat
	.globl	_ZL29rocblas_internal_gemmt_kernelIlLi16ELi32ELi8ELc84ELc67ELc85ELb0ELb1E19rocblas_complex_numIdEPKS1_PKS3_PKPS1_EviT_T9_T10_S9_lSB_S9_lSA_T11_S9_li ; -- Begin function _ZL29rocblas_internal_gemmt_kernelIlLi16ELi32ELi8ELc84ELc67ELc85ELb0ELb1E19rocblas_complex_numIdEPKS1_PKS3_PKPS1_EviT_T9_T10_S9_lSB_S9_lSA_T11_S9_li
	.p2align	8
	.type	_ZL29rocblas_internal_gemmt_kernelIlLi16ELi32ELi8ELc84ELc67ELc85ELb0ELb1E19rocblas_complex_numIdEPKS1_PKS3_PKPS1_EviT_T9_T10_S9_lSB_S9_lSA_T11_S9_li,@function
_ZL29rocblas_internal_gemmt_kernelIlLi16ELi32ELi8ELc84ELc67ELc85ELb0ELb1E19rocblas_complex_numIdEPKS1_PKS3_PKPS1_EviT_T9_T10_S9_lSB_S9_lSA_T11_S9_li: ; @_ZL29rocblas_internal_gemmt_kernelIlLi16ELi32ELi8ELc84ELc67ELc85ELb0ELb1E19rocblas_complex_numIdEPKS1_PKS3_PKPS1_EviT_T9_T10_S9_lSB_S9_lSA_T11_S9_li
; %bb.0:
	s_load_dwordx8 s[24:31], s[0:1], 0x48
	s_load_dwordx16 s[8:23], s[0:1], 0x8
	s_waitcnt lgkmcnt(0)
	s_load_dwordx4 s[36:39], s[24:25], 0x0
	s_load_dwordx4 s[40:43], s[10:11], 0x0
	s_mov_b64 s[24:25], 0
	s_waitcnt lgkmcnt(0)
	v_cmp_eq_f64_e64 s[10:11], s[36:37], 1.0
	v_cmp_eq_f64_e64 s[6:7], s[38:39], 0
	s_and_b64 s[10:11], s[10:11], s[6:7]
	s_andn2_b64 vcc, exec, s[10:11]
	s_mov_b64 s[10:11], -1
	s_cbranch_vccnz .LBB545_4
; %bb.1:
	s_cmp_lg_u64 s[8:9], 0
	s_cbranch_scc0 .LBB545_3
; %bb.2:
	v_cmp_neq_f64_e64 s[10:11], s[40:41], 0
	v_cmp_neq_f64_e64 s[24:25], s[42:43], 0
	s_or_b64 s[24:25], s[10:11], s[24:25]
.LBB545_3:
	s_mov_b64 s[10:11], s[24:25]
.LBB545_4:
	s_and_b64 vcc, exec, s[10:11]
	s_cbranch_vccz .LBB545_32
; %bb.5:
	s_mov_b32 s5, 0
	s_load_dword s24, s[0:1], 0x0
	s_lshl_b64 s[0:1], s[4:5], 3
	s_add_u32 s4, s26, s0
	s_addc_u32 s5, s27, s1
	s_load_dwordx2 s[4:5], s[4:5], 0x0
	s_lshl_b32 s25, s2, 5
	s_lshl_b32 s26, s3, 5
	v_cmp_eq_f64_e64 s[2:3], s[40:41], 0
	v_cmp_eq_f64_e64 s[10:11], s[42:43], 0
	s_and_b64 s[2:3], s[2:3], s[10:11]
	v_cmp_lt_i64_e64 s[10:11], s[8:9], 1
	s_or_b64 s[2:3], s[2:3], s[10:11]
	v_and_b32_e32 v5, 0x3ff, v0
	v_bfe_u32 v7, v0, 10, 10
	v_mov_b64_e32 v[28:29], 0
	s_and_b64 vcc, exec, s[2:3]
	v_mov_b64_e32 v[30:31], 0
	v_mov_b64_e32 v[24:25], 0
	;; [unrolled: 1-line block ×7, first 2 shown]
	s_cbranch_vccnz .LBB545_16
; %bb.6:
	s_add_u32 s2, s18, s0
	s_addc_u32 s3, s19, s1
	s_load_dwordx2 s[2:3], s[2:3], 0x0
	s_lshl_b64 s[10:11], s[22:23], 4
	v_lshl_add_u32 v1, v7, 4, v5
	v_lshrrev_b32_e32 v6, 5, v1
	v_lshrrev_b32_e32 v10, 3, v1
	s_waitcnt lgkmcnt(0)
	s_add_u32 s18, s2, s10
	s_addc_u32 s19, s3, s11
	s_add_u32 s0, s12, s0
	s_addc_u32 s1, s13, s1
	s_load_dwordx2 s[0:1], s[0:1], 0x0
	v_and_b32_e32 v1, 31, v1
	s_lshl_b64 s[2:3], s[16:17], 4
	v_or_b32_e32 v2, s25, v1
	v_lshlrev_b32_e32 v1, 4, v1
	s_waitcnt lgkmcnt(0)
	s_add_u32 s2, s0, s2
	s_addc_u32 s3, s1, s3
	v_cmp_gt_i32_e64 s[0:1], s24, v2
	v_cmp_le_i32_e64 s[10:11], s24, v2
	v_lshl_or_b32 v32, v6, 9, v1
	s_ashr_i32 s16, s25, 31
	v_mul_lo_u32 v1, s15, v2
	v_mad_u64_u32 v[2:3], s[12:13], s14, v2, 0
	v_and_b32_e32 v4, 7, v5
	s_mul_i32 s12, s14, s16
	v_add3_u32 v3, v3, s12, v1
	v_lshlrev_b32_e32 v1, 4, v4
	v_add_u32_e32 v0, s26, v10
	v_lshl_or_b32 v1, v10, 7, v1
	v_add_u32_e32 v33, 0x1000, v1
	v_ashrrev_i32_e32 v1, 31, v0
	v_lshl_add_u64 v[8:9], v[2:3], 4, s[2:3]
	v_cmp_gt_i32_e64 s[2:3], s24, v0
	v_lshl_add_u64 v[10:11], v[0:1], 4, s[18:19]
	v_mov_b32_e32 v0, 0x1000
	v_mov_b32_e32 v13, 0
	v_lshlrev_b32_e32 v34, 4, v5
	v_lshl_add_u32 v35, v7, 7, v0
	v_mov_b64_e32 v[16:17], 0
	s_mov_b64 s[12:13], 0
	v_mov_b32_e32 v36, v13
	v_mov_b32_e32 v37, v13
	;; [unrolled: 1-line block ×4, first 2 shown]
	v_mov_b64_e32 v[18:19], 0
	v_mov_b64_e32 v[22:23], 0
	;; [unrolled: 1-line block ×7, first 2 shown]
                                        ; implicit-def: $vgpr14_vgpr15
	s_branch .LBB545_8
.LBB545_7:                              ;   in Loop: Header=BB545_8 Depth=1
	s_or_b64 exec, exec, s[14:15]
	ds_write_b128 v33, v[0:3]
	s_waitcnt lgkmcnt(0)
	s_barrier
	ds_read_b128 v[0:3], v34
	ds_read_b128 v[40:43], v35
	ds_read_b128 v[44:47], v35 offset:16
	ds_read_b128 v[48:51], v35 offset:32
	;; [unrolled: 1-line block ×4, first 2 shown]
	s_waitcnt lgkmcnt(4)
	v_mul_f64 v[60:61], v[42:43], v[2:3]
	v_fma_f64 v[60:61], v[40:41], v[0:1], -v[60:61]
	v_mul_f64 v[62:63], v[40:41], v[2:3]
	v_fmac_f64_e32 v[62:63], v[42:43], v[0:1]
	v_add_f64 v[60:61], v[28:29], v[60:61]
	s_waitcnt lgkmcnt(0)
	v_mul_f64 v[28:29], v[42:43], v[58:59]
	v_add_f64 v[62:63], v[62:63], v[30:31]
	v_fma_f64 v[64:65], v[40:41], v[56:57], -v[28:29]
	ds_read_b128 v[28:31], v35 offset:2048
	v_mul_f64 v[40:41], v[40:41], v[58:59]
	v_fmac_f64_e32 v[40:41], v[42:43], v[56:57]
	v_add_f64 v[42:43], v[24:25], v[64:65]
	v_add_f64 v[40:41], v[40:41], v[26:27]
	ds_read_b128 v[24:27], v35 offset:2064
	s_waitcnt lgkmcnt(1)
	v_mul_f64 v[64:65], v[30:31], v[2:3]
	v_mul_f64 v[2:3], v[28:29], v[2:3]
	v_fma_f64 v[64:65], v[28:29], v[0:1], -v[64:65]
	v_fmac_f64_e32 v[2:3], v[30:31], v[0:1]
	v_mul_f64 v[0:1], v[30:31], v[58:59]
	v_add_f64 v[20:21], v[20:21], v[64:65]
	v_add_f64 v[22:23], v[2:3], v[22:23]
	v_fma_f64 v[64:65], v[28:29], v[56:57], -v[0:1]
	v_mul_f64 v[28:29], v[28:29], v[58:59]
	ds_read_b128 v[0:3], v34 offset:512
	v_fmac_f64_e32 v[28:29], v[30:31], v[56:57]
	v_add_f64 v[30:31], v[18:19], v[64:65]
	v_add_f64 v[28:29], v[28:29], v[16:17]
	ds_read_b128 v[16:19], v34 offset:768
	s_waitcnt lgkmcnt(1)
	v_mul_f64 v[56:57], v[46:47], v[2:3]
	v_fma_f64 v[56:57], v[44:45], v[0:1], -v[56:57]
	v_add_f64 v[56:57], v[60:61], v[56:57]
	v_mul_f64 v[58:59], v[44:45], v[2:3]
	s_waitcnt lgkmcnt(0)
	v_mul_f64 v[60:61], v[46:47], v[18:19]
	v_fma_f64 v[60:61], v[44:45], v[16:17], -v[60:61]
	v_mul_f64 v[44:45], v[44:45], v[18:19]
	v_fmac_f64_e32 v[44:45], v[46:47], v[16:17]
	v_add_f64 v[40:41], v[44:45], v[40:41]
	v_mul_f64 v[44:45], v[26:27], v[2:3]
	v_mul_f64 v[2:3], v[24:25], v[2:3]
	v_fmac_f64_e32 v[58:59], v[46:47], v[0:1]
	v_fma_f64 v[44:45], v[24:25], v[0:1], -v[44:45]
	v_fmac_f64_e32 v[2:3], v[26:27], v[0:1]
	v_mul_f64 v[0:1], v[26:27], v[18:19]
	v_add_f64 v[44:45], v[20:21], v[44:45]
	v_add_f64 v[46:47], v[2:3], v[22:23]
	v_fma_f64 v[20:21], v[24:25], v[16:17], -v[0:1]
	v_mul_f64 v[18:19], v[24:25], v[18:19]
	ds_read_b128 v[0:3], v34 offset:1024
	v_fmac_f64_e32 v[18:19], v[26:27], v[16:17]
	v_add_f64 v[28:29], v[18:19], v[28:29]
	ds_read_b128 v[16:19], v34 offset:1280
	v_add_f64 v[30:31], v[30:31], v[20:21]
	s_waitcnt lgkmcnt(1)
	v_mul_f64 v[20:21], v[50:51], v[2:3]
	v_fma_f64 v[20:21], v[48:49], v[0:1], -v[20:21]
	v_mul_f64 v[22:23], v[48:49], v[2:3]
	v_add_f64 v[58:59], v[58:59], v[62:63]
	v_fmac_f64_e32 v[22:23], v[50:51], v[0:1]
	v_add_f64 v[56:57], v[56:57], v[20:21]
	s_waitcnt lgkmcnt(0)
	v_mul_f64 v[20:21], v[50:51], v[18:19]
	v_add_f64 v[58:59], v[22:23], v[58:59]
	v_fma_f64 v[24:25], v[48:49], v[16:17], -v[20:21]
	ds_read_b128 v[20:23], v35 offset:2080
	v_mul_f64 v[26:27], v[48:49], v[18:19]
	v_add_f64 v[42:43], v[42:43], v[60:61]
	v_fmac_f64_e32 v[26:27], v[50:51], v[16:17]
	v_add_f64 v[42:43], v[42:43], v[24:25]
	v_add_f64 v[40:41], v[26:27], v[40:41]
	ds_read_b128 v[24:27], v35 offset:2096
	s_waitcnt lgkmcnt(1)
	v_mul_f64 v[48:49], v[22:23], v[2:3]
	v_mul_f64 v[2:3], v[20:21], v[2:3]
	v_fma_f64 v[48:49], v[20:21], v[0:1], -v[48:49]
	v_fmac_f64_e32 v[2:3], v[22:23], v[0:1]
	v_mul_f64 v[0:1], v[22:23], v[18:19]
	v_mul_f64 v[18:19], v[20:21], v[18:19]
	v_fmac_f64_e32 v[18:19], v[22:23], v[16:17]
	v_add_f64 v[44:45], v[44:45], v[48:49]
	v_add_f64 v[46:47], v[2:3], v[46:47]
	v_fma_f64 v[48:49], v[20:21], v[16:17], -v[0:1]
	ds_read_b128 v[0:3], v34 offset:1536
	v_add_f64 v[22:23], v[18:19], v[28:29]
	ds_read_b128 v[16:19], v34 offset:1792
	v_add_f64 v[20:21], v[30:31], v[48:49]
	s_add_u32 s12, s12, 8
	s_waitcnt lgkmcnt(1)
	v_mul_f64 v[28:29], v[54:55], v[2:3]
	v_mul_f64 v[30:31], v[52:53], v[2:3]
	s_waitcnt lgkmcnt(0)
	v_mul_f64 v[48:49], v[54:55], v[18:19]
	v_fma_f64 v[48:49], v[52:53], v[16:17], -v[48:49]
	v_add_f64 v[42:43], v[42:43], v[48:49]
	v_mul_f64 v[48:49], v[26:27], v[2:3]
	v_mul_f64 v[2:3], v[24:25], v[2:3]
	v_fma_f64 v[28:29], v[52:53], v[0:1], -v[28:29]
	v_fmac_f64_e32 v[30:31], v[54:55], v[0:1]
	v_fma_f64 v[48:49], v[24:25], v[0:1], -v[48:49]
	v_fmac_f64_e32 v[2:3], v[26:27], v[0:1]
	v_mul_f64 v[0:1], v[26:27], v[18:19]
	v_mul_f64 v[50:51], v[52:53], v[18:19]
	v_add_f64 v[44:45], v[44:45], v[48:49]
	v_fma_f64 v[48:49], v[24:25], v[16:17], -v[0:1]
	v_mul_f64 v[24:25], v[24:25], v[18:19]
	v_fmac_f64_e32 v[50:51], v[54:55], v[16:17]
	v_add_f64 v[46:47], v[2:3], v[46:47]
	v_fmac_f64_e32 v[24:25], v[26:27], v[16:17]
	ds_read_b128 v[0:3], v35 offset:64
	ds_read_b128 v[16:19], v34 offset:2048
	v_add_f64 v[40:41], v[50:51], v[40:41]
	v_add_f64 v[48:49], v[20:21], v[48:49]
	;; [unrolled: 1-line block ×3, first 2 shown]
	ds_read_b128 v[20:23], v34 offset:2304
	ds_read_b128 v[24:27], v35 offset:80
	s_waitcnt lgkmcnt(2)
	v_mul_f64 v[52:53], v[2:3], v[18:19]
	v_add_f64 v[28:29], v[56:57], v[28:29]
	v_fma_f64 v[52:53], v[0:1], v[16:17], -v[52:53]
	v_mul_f64 v[54:55], v[0:1], v[18:19]
	v_add_f64 v[30:31], v[30:31], v[58:59]
	v_fmac_f64_e32 v[54:55], v[2:3], v[16:17]
	v_add_f64 v[52:53], v[28:29], v[52:53]
	s_waitcnt lgkmcnt(1)
	v_mul_f64 v[28:29], v[2:3], v[22:23]
	v_add_f64 v[54:55], v[54:55], v[30:31]
	v_fma_f64 v[56:57], v[0:1], v[20:21], -v[28:29]
	ds_read_b128 v[28:31], v35 offset:2112
	v_mul_f64 v[0:1], v[0:1], v[22:23]
	v_fmac_f64_e32 v[0:1], v[2:3], v[20:21]
	v_add_f64 v[42:43], v[42:43], v[56:57]
	v_add_f64 v[40:41], v[0:1], v[40:41]
	ds_read_b128 v[0:3], v35 offset:2128
	s_waitcnt lgkmcnt(1)
	v_mul_f64 v[56:57], v[30:31], v[18:19]
	v_mul_f64 v[18:19], v[28:29], v[18:19]
	v_fma_f64 v[56:57], v[28:29], v[16:17], -v[56:57]
	v_fmac_f64_e32 v[18:19], v[30:31], v[16:17]
	v_mul_f64 v[16:17], v[30:31], v[22:23]
	v_add_f64 v[44:45], v[44:45], v[56:57]
	v_add_f64 v[46:47], v[18:19], v[46:47]
	v_fma_f64 v[56:57], v[28:29], v[20:21], -v[16:17]
	v_mul_f64 v[22:23], v[28:29], v[22:23]
	ds_read_b128 v[16:19], v34 offset:2560
	v_fmac_f64_e32 v[22:23], v[30:31], v[20:21]
	v_add_f64 v[30:31], v[22:23], v[50:51]
	ds_read_b128 v[20:23], v34 offset:2816
	v_add_f64 v[28:29], v[48:49], v[56:57]
	s_waitcnt lgkmcnt(1)
	v_mul_f64 v[48:49], v[26:27], v[18:19]
	v_fma_f64 v[48:49], v[24:25], v[16:17], -v[48:49]
	v_add_f64 v[48:49], v[52:53], v[48:49]
	s_waitcnt lgkmcnt(0)
	v_mul_f64 v[52:53], v[26:27], v[22:23]
	v_mul_f64 v[50:51], v[24:25], v[18:19]
	v_fma_f64 v[52:53], v[24:25], v[20:21], -v[52:53]
	v_mul_f64 v[24:25], v[24:25], v[22:23]
	v_fmac_f64_e32 v[24:25], v[26:27], v[20:21]
	v_add_f64 v[40:41], v[24:25], v[40:41]
	v_mul_f64 v[24:25], v[2:3], v[18:19]
	v_mul_f64 v[18:19], v[0:1], v[18:19]
	v_fmac_f64_e32 v[50:51], v[26:27], v[16:17]
	v_fma_f64 v[24:25], v[0:1], v[16:17], -v[24:25]
	v_fmac_f64_e32 v[18:19], v[2:3], v[16:17]
	v_mul_f64 v[16:17], v[2:3], v[22:23]
	v_mul_f64 v[22:23], v[0:1], v[22:23]
	v_add_f64 v[44:45], v[44:45], v[24:25]
	v_add_f64 v[46:47], v[18:19], v[46:47]
	v_fma_f64 v[24:25], v[0:1], v[20:21], -v[16:17]
	v_fmac_f64_e32 v[22:23], v[2:3], v[20:21]
	ds_read_b128 v[0:3], v35 offset:96
	ds_read_b128 v[16:19], v34 offset:3072
	v_add_f64 v[50:51], v[50:51], v[54:55]
	v_add_f64 v[42:43], v[42:43], v[52:53]
	;; [unrolled: 1-line block ×4, first 2 shown]
	ds_read_b128 v[20:23], v34 offset:3328
	ds_read_b128 v[24:27], v35 offset:112
	s_waitcnt lgkmcnt(2)
	v_mul_f64 v[28:29], v[2:3], v[18:19]
	v_fma_f64 v[28:29], v[0:1], v[16:17], -v[28:29]
	v_mul_f64 v[30:31], v[0:1], v[18:19]
	v_fmac_f64_e32 v[30:31], v[2:3], v[16:17]
	v_add_f64 v[48:49], v[48:49], v[28:29]
	s_waitcnt lgkmcnt(1)
	v_mul_f64 v[28:29], v[2:3], v[22:23]
	v_add_f64 v[50:51], v[30:31], v[50:51]
	v_fma_f64 v[56:57], v[0:1], v[20:21], -v[28:29]
	ds_read_b128 v[28:31], v35 offset:2144
	v_mul_f64 v[0:1], v[0:1], v[22:23]
	v_fmac_f64_e32 v[0:1], v[2:3], v[20:21]
	v_add_f64 v[58:59], v[0:1], v[40:41]
	ds_read_b128 v[0:3], v35 offset:2160
	s_waitcnt lgkmcnt(1)
	v_mul_f64 v[40:41], v[30:31], v[18:19]
	v_mul_f64 v[18:19], v[28:29], v[18:19]
	v_fma_f64 v[40:41], v[28:29], v[16:17], -v[40:41]
	v_fmac_f64_e32 v[18:19], v[30:31], v[16:17]
	v_mul_f64 v[16:17], v[30:31], v[22:23]
	v_add_f64 v[44:45], v[44:45], v[40:41]
	v_add_f64 v[46:47], v[18:19], v[46:47]
	v_fma_f64 v[40:41], v[28:29], v[20:21], -v[16:17]
	ds_read_b128 v[16:19], v34 offset:3584
	v_add_f64 v[56:57], v[42:43], v[56:57]
	v_add_f64 v[52:53], v[52:53], v[40:41]
	ds_read_b128 v[40:43], v34 offset:3840
	v_mul_f64 v[22:23], v[28:29], v[22:23]
	v_fmac_f64_e32 v[22:23], v[30:31], v[20:21]
	s_waitcnt lgkmcnt(1)
	v_mul_f64 v[20:21], v[26:27], v[18:19]
	v_fma_f64 v[20:21], v[24:25], v[16:17], -v[20:21]
	v_add_f64 v[54:55], v[22:23], v[54:55]
	v_mul_f64 v[22:23], v[24:25], v[18:19]
	v_add_f64 v[28:29], v[48:49], v[20:21]
	s_waitcnt lgkmcnt(0)
	v_mul_f64 v[20:21], v[26:27], v[42:43]
	v_fmac_f64_e32 v[22:23], v[26:27], v[16:17]
	v_fma_f64 v[20:21], v[24:25], v[40:41], -v[20:21]
	v_add_f64 v[30:31], v[22:23], v[50:51]
	v_mul_f64 v[22:23], v[24:25], v[42:43]
	v_add_f64 v[24:25], v[56:57], v[20:21]
	v_mul_f64 v[20:21], v[2:3], v[18:19]
	v_mul_f64 v[18:19], v[0:1], v[18:19]
	v_fma_f64 v[20:21], v[0:1], v[16:17], -v[20:21]
	v_fmac_f64_e32 v[18:19], v[2:3], v[16:17]
	v_mul_f64 v[16:17], v[2:3], v[42:43]
	v_fma_f64 v[16:17], v[0:1], v[40:41], -v[16:17]
	v_mul_f64 v[0:1], v[0:1], v[42:43]
	v_fmac_f64_e32 v[22:23], v[26:27], v[40:41]
	v_fmac_f64_e32 v[0:1], v[2:3], v[40:41]
	s_addc_u32 s13, s13, 0
	v_add_f64 v[26:27], v[22:23], v[58:59]
	v_add_f64 v[22:23], v[18:19], v[46:47]
	;; [unrolled: 1-line block ×4, first 2 shown]
	v_mov_b64_e32 v[0:1], s[12:13]
	v_cmp_gt_i64_e32 vcc, s[8:9], v[0:1]
	v_add_f64 v[20:21], v[44:45], v[20:21]
	s_barrier
	s_cbranch_vccz .LBB545_16
.LBB545_8:                              ; =>This Inner Loop Header: Depth=1
	s_mov_b64 s[18:19], s[10:11]
	s_mov_b64 s[14:15], 0
	s_and_saveexec_b64 s[16:17], s[0:1]
	s_cbranch_execnz .LBB545_14
; %bb.9:                                ;   in Loop: Header=BB545_8 Depth=1
	s_or_b64 exec, exec, s[16:17]
	s_and_saveexec_b64 s[16:17], s[18:19]
	s_xor_b64 s[16:17], exec, s[16:17]
	s_cbranch_execnz .LBB545_15
.LBB545_10:                             ;   in Loop: Header=BB545_8 Depth=1
	s_or_b64 exec, exec, s[16:17]
	s_and_saveexec_b64 s[16:17], s[14:15]
	s_cbranch_execz .LBB545_12
.LBB545_11:                             ;   in Loop: Header=BB545_8 Depth=1
	v_lshl_add_u64 v[0:1], v[14:15], 4, v[8:9]
	flat_load_dwordx4 v[0:3], v[0:1]
	s_waitcnt vmcnt(0) lgkmcnt(0)
	ds_write2_b64 v32, v[0:1], v[2:3] offset1:1
.LBB545_12:                             ;   in Loop: Header=BB545_8 Depth=1
	s_or_b64 exec, exec, s[16:17]
	v_add_u32_e32 v12, s12, v4
	v_cmp_gt_u64_e32 vcc, s[8:9], v[12:13]
	s_and_b64 s[16:17], vcc, s[2:3]
	v_mov_b64_e32 v[0:1], 0
	v_mov_b64_e32 v[2:3], 0
	s_and_saveexec_b64 s[14:15], s[16:17]
	s_cbranch_execz .LBB545_7
; %bb.13:                               ;   in Loop: Header=BB545_8 Depth=1
	v_mad_u64_u32 v[0:1], s[16:17], s20, v12, 0
	v_mov_b32_e32 v2, v1
	v_mad_u64_u32 v[2:3], s[16:17], s21, v12, v[2:3]
	v_mov_b32_e32 v1, v2
	v_lshl_add_u64 v[0:1], v[0:1], 4, v[10:11]
	flat_load_dwordx4 v[0:3], v[0:1]
	s_waitcnt vmcnt(0) lgkmcnt(0)
	v_xor_b32_e32 v3, 0x80000000, v3
	s_branch .LBB545_7
.LBB545_14:                             ;   in Loop: Header=BB545_8 Depth=1
	v_add_u32_e32 v12, s12, v6
	v_cmp_le_u64_e32 vcc, s[8:9], v[12:13]
	s_andn2_b64 s[18:19], s[10:11], exec
	s_and_b64 s[22:23], vcc, exec
	s_mov_b64 s[14:15], exec
	s_or_b64 s[18:19], s[18:19], s[22:23]
	v_mov_b64_e32 v[14:15], v[12:13]
	s_or_b64 exec, exec, s[16:17]
	s_and_saveexec_b64 s[16:17], s[18:19]
	s_xor_b64 s[16:17], exec, s[16:17]
	s_cbranch_execz .LBB545_10
.LBB545_15:                             ;   in Loop: Header=BB545_8 Depth=1
	ds_write_b128 v32, v[36:39]
	s_andn2_b64 s[14:15], s[14:15], exec
	s_or_b64 exec, exec, s[16:17]
	s_and_saveexec_b64 s[16:17], s[14:15]
	s_cbranch_execnz .LBB545_11
	s_branch .LBB545_12
.LBB545_16:
	s_lshl_b64 s[0:1], s[30:31], 4
	v_add_u32_e32 v10, s26, v7
	s_waitcnt lgkmcnt(0)
	s_add_u32 s4, s4, s0
	v_ashrrev_i32_e32 v0, 31, v10
	s_addc_u32 s5, s5, s1
	v_cmp_neq_f64_e64 s[0:1], s[36:37], 0
	s_xor_b64 s[6:7], s[6:7], -1
	v_mul_lo_u32 v2, s28, v0
	v_mul_lo_u32 v3, s29, v10
	v_mad_u64_u32 v[0:1], s[8:9], s28, v10, 0
	v_add_u32_e32 v4, s25, v5
	v_add3_u32 v1, v1, v2, v3
	s_or_b64 s[0:1], s[0:1], s[6:7]
	v_cmp_gt_i32_e64 s[2:3], s24, v10
	v_lshl_add_u64 v[8:9], v[0:1], 4, s[4:5]
	v_cmp_le_i32_e32 vcc, v4, v10
	v_cndmask_b32_e64 v0, 0, 1, s[0:1]
	s_and_b64 s[8:9], s[2:3], vcc
	v_ashrrev_i32_e32 v5, 31, v4
	v_cmp_ne_u32_e64 s[0:1], 1, v0
	s_and_saveexec_b64 s[6:7], s[8:9]
	s_cbranch_execz .LBB545_20
; %bb.17:
	v_mul_f64 v[0:1], s[42:43], v[30:31]
	v_mul_f64 v[2:3], s[40:41], v[30:31]
	v_fma_f64 v[0:1], s[40:41], v[28:29], -v[0:1]
	v_fmac_f64_e32 v[2:3], s[42:43], v[28:29]
	s_and_b64 vcc, exec, s[0:1]
	v_lshl_add_u64 v[6:7], v[4:5], 4, v[8:9]
	s_cbranch_vccnz .LBB545_19
; %bb.18:
	flat_load_dwordx4 v[12:15], v[6:7]
	s_waitcnt vmcnt(0) lgkmcnt(0)
	v_mul_f64 v[28:29], s[38:39], v[14:15]
	v_mul_f64 v[14:15], s[36:37], v[14:15]
	v_fma_f64 v[28:29], s[36:37], v[12:13], -v[28:29]
	v_fmac_f64_e32 v[14:15], s[38:39], v[12:13]
	v_add_f64 v[0:1], v[0:1], v[28:29]
	v_add_f64 v[2:3], v[2:3], v[14:15]
.LBB545_19:
	flat_store_dwordx4 v[6:7], v[0:3]
.LBB545_20:
	s_or_b64 exec, exec, s[6:7]
	v_add_u32_e32 v6, 16, v4
	v_cmp_le_i32_e32 vcc, v6, v10
	s_and_b64 s[6:7], s[2:3], vcc
	v_ashrrev_i32_e32 v7, 31, v6
	s_and_saveexec_b64 s[2:3], s[6:7]
	s_cbranch_execz .LBB545_24
; %bb.21:
	v_mul_f64 v[0:1], s[42:43], v[26:27]
	v_mul_f64 v[2:3], s[40:41], v[26:27]
	v_fma_f64 v[0:1], s[40:41], v[24:25], -v[0:1]
	v_fmac_f64_e32 v[2:3], s[42:43], v[24:25]
	s_and_b64 vcc, exec, s[0:1]
	v_lshl_add_u64 v[8:9], v[6:7], 4, v[8:9]
	s_cbranch_vccnz .LBB545_23
; %bb.22:
	flat_load_dwordx4 v[12:15], v[8:9]
	s_waitcnt vmcnt(0) lgkmcnt(0)
	v_mul_f64 v[24:25], s[38:39], v[14:15]
	v_mul_f64 v[14:15], s[36:37], v[14:15]
	v_fma_f64 v[24:25], s[36:37], v[12:13], -v[24:25]
	v_fmac_f64_e32 v[14:15], s[38:39], v[12:13]
	v_add_f64 v[0:1], v[0:1], v[24:25]
	v_add_f64 v[2:3], v[2:3], v[14:15]
.LBB545_23:
	flat_store_dwordx4 v[8:9], v[0:3]
.LBB545_24:
	s_or_b64 exec, exec, s[2:3]
	v_add_u32_e32 v10, 16, v10
	v_ashrrev_i32_e32 v0, 31, v10
	v_mul_lo_u32 v2, s28, v0
	v_mul_lo_u32 v3, s29, v10
	v_mad_u64_u32 v[0:1], s[6:7], s28, v10, 0
	v_cmp_gt_i32_e64 s[2:3], s24, v10
	v_add3_u32 v1, v1, v2, v3
	v_cmp_le_i32_e32 vcc, v4, v10
	v_lshl_add_u64 v[8:9], v[0:1], 4, s[4:5]
	s_and_b64 s[6:7], s[2:3], vcc
	s_and_saveexec_b64 s[4:5], s[6:7]
	s_cbranch_execz .LBB545_28
; %bb.25:
	v_mul_f64 v[0:1], s[42:43], v[22:23]
	v_mul_f64 v[2:3], s[40:41], v[22:23]
	v_fma_f64 v[0:1], s[40:41], v[20:21], -v[0:1]
	v_fmac_f64_e32 v[2:3], s[42:43], v[20:21]
	s_and_b64 vcc, exec, s[0:1]
	v_lshl_add_u64 v[4:5], v[4:5], 4, v[8:9]
	s_cbranch_vccnz .LBB545_27
; %bb.26:
	flat_load_dwordx4 v[12:15], v[4:5]
	s_waitcnt vmcnt(0) lgkmcnt(0)
	v_mul_f64 v[20:21], s[38:39], v[14:15]
	v_mul_f64 v[14:15], s[36:37], v[14:15]
	v_fma_f64 v[20:21], s[36:37], v[12:13], -v[20:21]
	v_fmac_f64_e32 v[14:15], s[38:39], v[12:13]
	v_add_f64 v[0:1], v[0:1], v[20:21]
	v_add_f64 v[2:3], v[2:3], v[14:15]
.LBB545_27:
	flat_store_dwordx4 v[4:5], v[0:3]
.LBB545_28:
	s_or_b64 exec, exec, s[4:5]
	v_cmp_le_i32_e32 vcc, v6, v10
	s_and_b64 s[2:3], s[2:3], vcc
	s_and_saveexec_b64 s[4:5], s[2:3]
	s_cbranch_execz .LBB545_32
; %bb.29:
	v_mul_f64 v[0:1], s[42:43], v[16:17]
	v_mul_f64 v[2:3], s[40:41], v[16:17]
	v_fma_f64 v[0:1], s[40:41], v[18:19], -v[0:1]
	v_fmac_f64_e32 v[2:3], s[42:43], v[18:19]
	s_and_b64 vcc, exec, s[0:1]
	v_lshl_add_u64 v[4:5], v[6:7], 4, v[8:9]
	s_cbranch_vccnz .LBB545_31
; %bb.30:
	flat_load_dwordx4 v[6:9], v[4:5]
	s_waitcnt vmcnt(0) lgkmcnt(0)
	v_mul_f64 v[10:11], s[38:39], v[8:9]
	v_mul_f64 v[8:9], s[36:37], v[8:9]
	v_fma_f64 v[10:11], s[36:37], v[6:7], -v[10:11]
	v_fmac_f64_e32 v[8:9], s[38:39], v[6:7]
	v_add_f64 v[0:1], v[0:1], v[10:11]
	v_add_f64 v[2:3], v[2:3], v[8:9]
.LBB545_31:
	flat_store_dwordx4 v[4:5], v[0:3]
.LBB545_32:
	s_endpgm
	.section	.rodata,"a",@progbits
	.p2align	6, 0x0
	.amdhsa_kernel _ZL29rocblas_internal_gemmt_kernelIlLi16ELi32ELi8ELc84ELc67ELc85ELb0ELb1E19rocblas_complex_numIdEPKS1_PKS3_PKPS1_EviT_T9_T10_S9_lSB_S9_lSA_T11_S9_li
		.amdhsa_group_segment_fixed_size 8192
		.amdhsa_private_segment_fixed_size 0
		.amdhsa_kernarg_size 108
		.amdhsa_user_sgpr_count 2
		.amdhsa_user_sgpr_dispatch_ptr 0
		.amdhsa_user_sgpr_queue_ptr 0
		.amdhsa_user_sgpr_kernarg_segment_ptr 1
		.amdhsa_user_sgpr_dispatch_id 0
		.amdhsa_user_sgpr_kernarg_preload_length 0
		.amdhsa_user_sgpr_kernarg_preload_offset 0
		.amdhsa_user_sgpr_private_segment_size 0
		.amdhsa_uses_dynamic_stack 0
		.amdhsa_enable_private_segment 0
		.amdhsa_system_sgpr_workgroup_id_x 1
		.amdhsa_system_sgpr_workgroup_id_y 1
		.amdhsa_system_sgpr_workgroup_id_z 1
		.amdhsa_system_sgpr_workgroup_info 0
		.amdhsa_system_vgpr_workitem_id 1
		.amdhsa_next_free_vgpr 66
		.amdhsa_next_free_sgpr 44
		.amdhsa_accum_offset 68
		.amdhsa_reserve_vcc 1
		.amdhsa_float_round_mode_32 0
		.amdhsa_float_round_mode_16_64 0
		.amdhsa_float_denorm_mode_32 3
		.amdhsa_float_denorm_mode_16_64 3
		.amdhsa_dx10_clamp 1
		.amdhsa_ieee_mode 1
		.amdhsa_fp16_overflow 0
		.amdhsa_tg_split 0
		.amdhsa_exception_fp_ieee_invalid_op 0
		.amdhsa_exception_fp_denorm_src 0
		.amdhsa_exception_fp_ieee_div_zero 0
		.amdhsa_exception_fp_ieee_overflow 0
		.amdhsa_exception_fp_ieee_underflow 0
		.amdhsa_exception_fp_ieee_inexact 0
		.amdhsa_exception_int_div_zero 0
	.end_amdhsa_kernel
	.section	.text._ZL29rocblas_internal_gemmt_kernelIlLi16ELi32ELi8ELc84ELc67ELc85ELb0ELb1E19rocblas_complex_numIdEPKS1_PKS3_PKPS1_EviT_T9_T10_S9_lSB_S9_lSA_T11_S9_li,"axG",@progbits,_ZL29rocblas_internal_gemmt_kernelIlLi16ELi32ELi8ELc84ELc67ELc85ELb0ELb1E19rocblas_complex_numIdEPKS1_PKS3_PKPS1_EviT_T9_T10_S9_lSB_S9_lSA_T11_S9_li,comdat
.Lfunc_end545:
	.size	_ZL29rocblas_internal_gemmt_kernelIlLi16ELi32ELi8ELc84ELc67ELc85ELb0ELb1E19rocblas_complex_numIdEPKS1_PKS3_PKPS1_EviT_T9_T10_S9_lSB_S9_lSA_T11_S9_li, .Lfunc_end545-_ZL29rocblas_internal_gemmt_kernelIlLi16ELi32ELi8ELc84ELc67ELc85ELb0ELb1E19rocblas_complex_numIdEPKS1_PKS3_PKPS1_EviT_T9_T10_S9_lSB_S9_lSA_T11_S9_li
                                        ; -- End function
	.set _ZL29rocblas_internal_gemmt_kernelIlLi16ELi32ELi8ELc84ELc67ELc85ELb0ELb1E19rocblas_complex_numIdEPKS1_PKS3_PKPS1_EviT_T9_T10_S9_lSB_S9_lSA_T11_S9_li.num_vgpr, 66
	.set _ZL29rocblas_internal_gemmt_kernelIlLi16ELi32ELi8ELc84ELc67ELc85ELb0ELb1E19rocblas_complex_numIdEPKS1_PKS3_PKPS1_EviT_T9_T10_S9_lSB_S9_lSA_T11_S9_li.num_agpr, 0
	.set _ZL29rocblas_internal_gemmt_kernelIlLi16ELi32ELi8ELc84ELc67ELc85ELb0ELb1E19rocblas_complex_numIdEPKS1_PKS3_PKPS1_EviT_T9_T10_S9_lSB_S9_lSA_T11_S9_li.numbered_sgpr, 44
	.set _ZL29rocblas_internal_gemmt_kernelIlLi16ELi32ELi8ELc84ELc67ELc85ELb0ELb1E19rocblas_complex_numIdEPKS1_PKS3_PKPS1_EviT_T9_T10_S9_lSB_S9_lSA_T11_S9_li.num_named_barrier, 0
	.set _ZL29rocblas_internal_gemmt_kernelIlLi16ELi32ELi8ELc84ELc67ELc85ELb0ELb1E19rocblas_complex_numIdEPKS1_PKS3_PKPS1_EviT_T9_T10_S9_lSB_S9_lSA_T11_S9_li.private_seg_size, 0
	.set _ZL29rocblas_internal_gemmt_kernelIlLi16ELi32ELi8ELc84ELc67ELc85ELb0ELb1E19rocblas_complex_numIdEPKS1_PKS3_PKPS1_EviT_T9_T10_S9_lSB_S9_lSA_T11_S9_li.uses_vcc, 1
	.set _ZL29rocblas_internal_gemmt_kernelIlLi16ELi32ELi8ELc84ELc67ELc85ELb0ELb1E19rocblas_complex_numIdEPKS1_PKS3_PKPS1_EviT_T9_T10_S9_lSB_S9_lSA_T11_S9_li.uses_flat_scratch, 0
	.set _ZL29rocblas_internal_gemmt_kernelIlLi16ELi32ELi8ELc84ELc67ELc85ELb0ELb1E19rocblas_complex_numIdEPKS1_PKS3_PKPS1_EviT_T9_T10_S9_lSB_S9_lSA_T11_S9_li.has_dyn_sized_stack, 0
	.set _ZL29rocblas_internal_gemmt_kernelIlLi16ELi32ELi8ELc84ELc67ELc85ELb0ELb1E19rocblas_complex_numIdEPKS1_PKS3_PKPS1_EviT_T9_T10_S9_lSB_S9_lSA_T11_S9_li.has_recursion, 0
	.set _ZL29rocblas_internal_gemmt_kernelIlLi16ELi32ELi8ELc84ELc67ELc85ELb0ELb1E19rocblas_complex_numIdEPKS1_PKS3_PKPS1_EviT_T9_T10_S9_lSB_S9_lSA_T11_S9_li.has_indirect_call, 0
	.section	.AMDGPU.csdata,"",@progbits
; Kernel info:
; codeLenInByte = 3236
; TotalNumSgprs: 50
; NumVgprs: 66
; NumAgprs: 0
; TotalNumVgprs: 66
; ScratchSize: 0
; MemoryBound: 1
; FloatMode: 240
; IeeeMode: 1
; LDSByteSize: 8192 bytes/workgroup (compile time only)
; SGPRBlocks: 6
; VGPRBlocks: 8
; NumSGPRsForWavesPerEU: 50
; NumVGPRsForWavesPerEU: 66
; AccumOffset: 68
; Occupancy: 7
; WaveLimiterHint : 1
; COMPUTE_PGM_RSRC2:SCRATCH_EN: 0
; COMPUTE_PGM_RSRC2:USER_SGPR: 2
; COMPUTE_PGM_RSRC2:TRAP_HANDLER: 0
; COMPUTE_PGM_RSRC2:TGID_X_EN: 1
; COMPUTE_PGM_RSRC2:TGID_Y_EN: 1
; COMPUTE_PGM_RSRC2:TGID_Z_EN: 1
; COMPUTE_PGM_RSRC2:TIDIG_COMP_CNT: 1
; COMPUTE_PGM_RSRC3_GFX90A:ACCUM_OFFSET: 16
; COMPUTE_PGM_RSRC3_GFX90A:TG_SPLIT: 0
	.section	.text._ZL29rocblas_internal_gemmt_kernelIlLi16ELi32ELi8ELc67ELc78ELc85ELb1ELb0E19rocblas_complex_numIdEPKS1_PKS3_PKPS1_EviT_T9_T10_S9_lSB_S9_lSA_T11_S9_li,"axG",@progbits,_ZL29rocblas_internal_gemmt_kernelIlLi16ELi32ELi8ELc67ELc78ELc85ELb1ELb0E19rocblas_complex_numIdEPKS1_PKS3_PKPS1_EviT_T9_T10_S9_lSB_S9_lSA_T11_S9_li,comdat
	.globl	_ZL29rocblas_internal_gemmt_kernelIlLi16ELi32ELi8ELc67ELc78ELc85ELb1ELb0E19rocblas_complex_numIdEPKS1_PKS3_PKPS1_EviT_T9_T10_S9_lSB_S9_lSA_T11_S9_li ; -- Begin function _ZL29rocblas_internal_gemmt_kernelIlLi16ELi32ELi8ELc67ELc78ELc85ELb1ELb0E19rocblas_complex_numIdEPKS1_PKS3_PKPS1_EviT_T9_T10_S9_lSB_S9_lSA_T11_S9_li
	.p2align	8
	.type	_ZL29rocblas_internal_gemmt_kernelIlLi16ELi32ELi8ELc67ELc78ELc85ELb1ELb0E19rocblas_complex_numIdEPKS1_PKS3_PKPS1_EviT_T9_T10_S9_lSB_S9_lSA_T11_S9_li,@function
_ZL29rocblas_internal_gemmt_kernelIlLi16ELi32ELi8ELc67ELc78ELc85ELb1ELb0E19rocblas_complex_numIdEPKS1_PKS3_PKPS1_EviT_T9_T10_S9_lSB_S9_lSA_T11_S9_li: ; @_ZL29rocblas_internal_gemmt_kernelIlLi16ELi32ELi8ELc67ELc78ELc85ELb1ELb0E19rocblas_complex_numIdEPKS1_PKS3_PKPS1_EviT_T9_T10_S9_lSB_S9_lSA_T11_S9_li
; %bb.0:
	s_load_dwordx8 s[24:31], s[0:1], 0x48
	s_load_dwordx16 s[8:23], s[0:1], 0x8
	s_waitcnt lgkmcnt(0)
	s_load_dwordx4 s[36:39], s[24:25], 0x0
	s_load_dwordx4 s[40:43], s[10:11], 0x0
	s_mov_b64 s[24:25], 0
	s_waitcnt lgkmcnt(0)
	v_cmp_eq_f64_e64 s[10:11], s[36:37], 1.0
	v_cmp_eq_f64_e64 s[6:7], s[38:39], 0
	s_and_b64 s[10:11], s[10:11], s[6:7]
	s_andn2_b64 vcc, exec, s[10:11]
	s_mov_b64 s[10:11], -1
	s_cbranch_vccnz .LBB546_4
; %bb.1:
	s_cmp_lg_u64 s[8:9], 0
	s_cbranch_scc0 .LBB546_3
; %bb.2:
	v_cmp_neq_f64_e64 s[10:11], s[40:41], 0
	v_cmp_neq_f64_e64 s[24:25], s[42:43], 0
	s_or_b64 s[24:25], s[10:11], s[24:25]
.LBB546_3:
	s_mov_b64 s[10:11], s[24:25]
.LBB546_4:
	s_and_b64 vcc, exec, s[10:11]
	s_cbranch_vccz .LBB546_32
; %bb.5:
	s_mov_b32 s5, 0
	s_load_dword s24, s[0:1], 0x0
	s_lshl_b64 s[0:1], s[4:5], 3
	s_add_u32 s4, s26, s0
	s_addc_u32 s5, s27, s1
	s_load_dwordx2 s[4:5], s[4:5], 0x0
	s_lshl_b32 s25, s2, 5
	s_lshl_b32 s26, s3, 5
	v_cmp_eq_f64_e64 s[2:3], s[40:41], 0
	v_cmp_eq_f64_e64 s[10:11], s[42:43], 0
	s_and_b64 s[2:3], s[2:3], s[10:11]
	v_cmp_lt_i64_e64 s[10:11], s[8:9], 1
	s_or_b64 s[2:3], s[2:3], s[10:11]
	v_and_b32_e32 v5, 0x3ff, v0
	v_bfe_u32 v7, v0, 10, 10
	v_mov_b64_e32 v[26:27], 0
	s_and_b64 vcc, exec, s[2:3]
	v_mov_b64_e32 v[28:29], 0
	v_mov_b64_e32 v[22:23], 0
	;; [unrolled: 1-line block ×7, first 2 shown]
	s_cbranch_vccnz .LBB546_16
; %bb.6:
	s_add_u32 s2, s18, s0
	s_addc_u32 s3, s19, s1
	s_load_dwordx2 s[2:3], s[2:3], 0x0
	s_lshl_b64 s[10:11], s[22:23], 4
	v_lshl_add_u32 v0, v7, 4, v5
	v_lshrrev_b32_e32 v6, 5, v0
	v_lshrrev_b32_e32 v2, 3, v0
	s_waitcnt lgkmcnt(0)
	s_add_u32 s2, s2, s10
	s_addc_u32 s3, s3, s11
	s_add_u32 s0, s12, s0
	s_addc_u32 s1, s13, s1
	s_load_dwordx2 s[0:1], s[0:1], 0x0
	v_and_b32_e32 v0, 31, v0
	s_lshl_b64 s[10:11], s[16:17], 4
	v_or_b32_e32 v1, s25, v0
	v_lshlrev_b32_e32 v0, 4, v0
	s_waitcnt lgkmcnt(0)
	s_add_u32 s10, s0, s10
	s_addc_u32 s11, s1, s11
	v_cmp_gt_i32_e64 s[0:1], s24, v1
	v_lshl_or_b32 v30, v6, 9, v0
	s_ashr_i32 s16, s25, 31
	v_mul_lo_u32 v8, s15, v1
	v_mad_u64_u32 v[0:1], s[12:13], s14, v1, 0
	s_mul_i32 s12, s14, s16
	v_and_b32_e32 v4, 7, v5
	v_add3_u32 v1, v1, s12, v8
	v_lshl_add_u64 v[8:9], v[0:1], 4, s[10:11]
	v_lshlrev_b32_e32 v0, 4, v4
	v_add_u32_e32 v3, s26, v2
	v_lshl_or_b32 v0, v2, 7, v0
	v_add_u32_e32 v31, 0x1000, v0
	v_ashrrev_i32_e32 v0, 31, v3
	v_mul_lo_u32 v2, s20, v0
	v_mul_lo_u32 v10, s21, v3
	v_mad_u64_u32 v[0:1], s[10:11], s20, v3, 0
	v_add3_u32 v1, v1, v2, v10
	v_cmp_gt_i32_e32 vcc, s24, v3
	v_lshl_add_u64 v[10:11], v[0:1], 4, s[2:3]
	v_mov_b32_e32 v0, 0x1000
	v_mov_b32_e32 v13, 0
	v_lshlrev_b32_e32 v32, 4, v5
	v_lshl_add_u32 v33, v7, 7, v0
	v_mov_b64_e32 v[14:15], 0
	s_mov_b64 s[2:3], 0
	s_xor_b64 s[10:11], vcc, -1
	v_mov_b32_e32 v34, v13
	v_mov_b32_e32 v35, v13
	;; [unrolled: 1-line block ×4, first 2 shown]
	v_mov_b64_e32 v[16:17], 0
	v_mov_b64_e32 v[20:21], 0
	v_mov_b64_e32 v[18:19], 0
	v_mov_b64_e32 v[24:25], 0
	v_mov_b64_e32 v[22:23], 0
	v_mov_b64_e32 v[28:29], 0
	v_mov_b64_e32 v[26:27], 0
	s_branch .LBB546_8
.LBB546_7:                              ;   in Loop: Header=BB546_8 Depth=1
	s_or_b64 exec, exec, s[12:13]
	s_waitcnt lgkmcnt(0)
	s_barrier
	ds_read_b128 v[0:3], v32
	ds_read_b128 v[38:41], v33
	ds_read_b128 v[42:45], v33 offset:16
	ds_read_b128 v[46:49], v33 offset:32
	;; [unrolled: 1-line block ×4, first 2 shown]
	s_waitcnt lgkmcnt(4)
	v_mul_f64 v[58:59], v[40:41], v[2:3]
	v_fma_f64 v[58:59], v[38:39], v[0:1], -v[58:59]
	v_mul_f64 v[60:61], v[38:39], v[2:3]
	v_fmac_f64_e32 v[60:61], v[40:41], v[0:1]
	v_add_f64 v[58:59], v[26:27], v[58:59]
	s_waitcnt lgkmcnt(0)
	v_mul_f64 v[26:27], v[40:41], v[56:57]
	v_add_f64 v[60:61], v[60:61], v[28:29]
	v_fma_f64 v[62:63], v[38:39], v[54:55], -v[26:27]
	ds_read_b128 v[26:29], v33 offset:2048
	v_mul_f64 v[38:39], v[38:39], v[56:57]
	v_fmac_f64_e32 v[38:39], v[40:41], v[54:55]
	v_add_f64 v[40:41], v[22:23], v[62:63]
	v_add_f64 v[38:39], v[38:39], v[24:25]
	ds_read_b128 v[22:25], v33 offset:2064
	s_waitcnt lgkmcnt(1)
	v_mul_f64 v[62:63], v[28:29], v[2:3]
	v_mul_f64 v[2:3], v[26:27], v[2:3]
	v_fma_f64 v[62:63], v[26:27], v[0:1], -v[62:63]
	v_fmac_f64_e32 v[2:3], v[28:29], v[0:1]
	v_mul_f64 v[0:1], v[28:29], v[56:57]
	v_add_f64 v[18:19], v[18:19], v[62:63]
	v_add_f64 v[20:21], v[2:3], v[20:21]
	v_fma_f64 v[62:63], v[26:27], v[54:55], -v[0:1]
	v_mul_f64 v[26:27], v[26:27], v[56:57]
	ds_read_b128 v[0:3], v32 offset:512
	v_fmac_f64_e32 v[26:27], v[28:29], v[54:55]
	v_add_f64 v[28:29], v[16:17], v[62:63]
	v_add_f64 v[26:27], v[26:27], v[14:15]
	ds_read_b128 v[14:17], v32 offset:768
	s_waitcnt lgkmcnt(1)
	v_mul_f64 v[54:55], v[44:45], v[2:3]
	v_fma_f64 v[54:55], v[42:43], v[0:1], -v[54:55]
	v_add_f64 v[54:55], v[58:59], v[54:55]
	v_mul_f64 v[56:57], v[42:43], v[2:3]
	s_waitcnt lgkmcnt(0)
	v_mul_f64 v[58:59], v[44:45], v[16:17]
	v_fma_f64 v[58:59], v[42:43], v[14:15], -v[58:59]
	v_mul_f64 v[42:43], v[42:43], v[16:17]
	v_fmac_f64_e32 v[42:43], v[44:45], v[14:15]
	v_add_f64 v[38:39], v[42:43], v[38:39]
	v_mul_f64 v[42:43], v[24:25], v[2:3]
	v_mul_f64 v[2:3], v[22:23], v[2:3]
	v_fmac_f64_e32 v[56:57], v[44:45], v[0:1]
	v_fma_f64 v[42:43], v[22:23], v[0:1], -v[42:43]
	v_fmac_f64_e32 v[2:3], v[24:25], v[0:1]
	v_mul_f64 v[0:1], v[24:25], v[16:17]
	v_add_f64 v[42:43], v[18:19], v[42:43]
	v_add_f64 v[44:45], v[2:3], v[20:21]
	v_fma_f64 v[18:19], v[22:23], v[14:15], -v[0:1]
	v_mul_f64 v[16:17], v[22:23], v[16:17]
	ds_read_b128 v[0:3], v32 offset:1024
	v_fmac_f64_e32 v[16:17], v[24:25], v[14:15]
	v_add_f64 v[26:27], v[16:17], v[26:27]
	ds_read_b128 v[14:17], v32 offset:1280
	v_add_f64 v[28:29], v[28:29], v[18:19]
	s_waitcnt lgkmcnt(1)
	v_mul_f64 v[18:19], v[48:49], v[2:3]
	v_fma_f64 v[18:19], v[46:47], v[0:1], -v[18:19]
	v_mul_f64 v[20:21], v[46:47], v[2:3]
	v_add_f64 v[56:57], v[56:57], v[60:61]
	v_fmac_f64_e32 v[20:21], v[48:49], v[0:1]
	v_add_f64 v[54:55], v[54:55], v[18:19]
	s_waitcnt lgkmcnt(0)
	v_mul_f64 v[18:19], v[48:49], v[16:17]
	v_add_f64 v[56:57], v[20:21], v[56:57]
	v_fma_f64 v[22:23], v[46:47], v[14:15], -v[18:19]
	ds_read_b128 v[18:21], v33 offset:2080
	v_mul_f64 v[24:25], v[46:47], v[16:17]
	v_add_f64 v[40:41], v[40:41], v[58:59]
	v_fmac_f64_e32 v[24:25], v[48:49], v[14:15]
	v_add_f64 v[40:41], v[40:41], v[22:23]
	v_add_f64 v[38:39], v[24:25], v[38:39]
	ds_read_b128 v[22:25], v33 offset:2096
	s_waitcnt lgkmcnt(1)
	v_mul_f64 v[46:47], v[20:21], v[2:3]
	v_mul_f64 v[2:3], v[18:19], v[2:3]
	v_fma_f64 v[46:47], v[18:19], v[0:1], -v[46:47]
	v_fmac_f64_e32 v[2:3], v[20:21], v[0:1]
	v_mul_f64 v[0:1], v[20:21], v[16:17]
	v_mul_f64 v[16:17], v[18:19], v[16:17]
	v_fmac_f64_e32 v[16:17], v[20:21], v[14:15]
	v_add_f64 v[42:43], v[42:43], v[46:47]
	v_add_f64 v[44:45], v[2:3], v[44:45]
	v_fma_f64 v[46:47], v[18:19], v[14:15], -v[0:1]
	ds_read_b128 v[0:3], v32 offset:1536
	v_add_f64 v[20:21], v[16:17], v[26:27]
	ds_read_b128 v[14:17], v32 offset:1792
	v_add_f64 v[18:19], v[28:29], v[46:47]
	s_add_u32 s2, s2, 8
	s_waitcnt lgkmcnt(1)
	v_mul_f64 v[26:27], v[52:53], v[2:3]
	v_mul_f64 v[28:29], v[50:51], v[2:3]
	s_waitcnt lgkmcnt(0)
	v_mul_f64 v[46:47], v[52:53], v[16:17]
	v_fma_f64 v[46:47], v[50:51], v[14:15], -v[46:47]
	v_add_f64 v[40:41], v[40:41], v[46:47]
	v_mul_f64 v[46:47], v[24:25], v[2:3]
	v_mul_f64 v[2:3], v[22:23], v[2:3]
	v_fma_f64 v[26:27], v[50:51], v[0:1], -v[26:27]
	v_fmac_f64_e32 v[28:29], v[52:53], v[0:1]
	v_fma_f64 v[46:47], v[22:23], v[0:1], -v[46:47]
	v_fmac_f64_e32 v[2:3], v[24:25], v[0:1]
	v_mul_f64 v[0:1], v[24:25], v[16:17]
	v_mul_f64 v[48:49], v[50:51], v[16:17]
	v_add_f64 v[42:43], v[42:43], v[46:47]
	v_fma_f64 v[46:47], v[22:23], v[14:15], -v[0:1]
	v_mul_f64 v[22:23], v[22:23], v[16:17]
	v_fmac_f64_e32 v[48:49], v[52:53], v[14:15]
	v_add_f64 v[44:45], v[2:3], v[44:45]
	v_fmac_f64_e32 v[22:23], v[24:25], v[14:15]
	ds_read_b128 v[0:3], v33 offset:64
	ds_read_b128 v[14:17], v32 offset:2048
	v_add_f64 v[38:39], v[48:49], v[38:39]
	v_add_f64 v[46:47], v[18:19], v[46:47]
	;; [unrolled: 1-line block ×3, first 2 shown]
	ds_read_b128 v[18:21], v32 offset:2304
	ds_read_b128 v[22:25], v33 offset:80
	s_waitcnt lgkmcnt(2)
	v_mul_f64 v[50:51], v[2:3], v[16:17]
	v_add_f64 v[26:27], v[54:55], v[26:27]
	v_fma_f64 v[50:51], v[0:1], v[14:15], -v[50:51]
	v_mul_f64 v[52:53], v[0:1], v[16:17]
	v_add_f64 v[28:29], v[28:29], v[56:57]
	v_fmac_f64_e32 v[52:53], v[2:3], v[14:15]
	v_add_f64 v[50:51], v[26:27], v[50:51]
	s_waitcnt lgkmcnt(1)
	v_mul_f64 v[26:27], v[2:3], v[20:21]
	v_add_f64 v[52:53], v[52:53], v[28:29]
	v_fma_f64 v[54:55], v[0:1], v[18:19], -v[26:27]
	ds_read_b128 v[26:29], v33 offset:2112
	v_mul_f64 v[0:1], v[0:1], v[20:21]
	v_fmac_f64_e32 v[0:1], v[2:3], v[18:19]
	v_add_f64 v[40:41], v[40:41], v[54:55]
	v_add_f64 v[38:39], v[0:1], v[38:39]
	ds_read_b128 v[0:3], v33 offset:2128
	s_waitcnt lgkmcnt(1)
	v_mul_f64 v[54:55], v[28:29], v[16:17]
	v_mul_f64 v[16:17], v[26:27], v[16:17]
	v_fma_f64 v[54:55], v[26:27], v[14:15], -v[54:55]
	v_fmac_f64_e32 v[16:17], v[28:29], v[14:15]
	v_mul_f64 v[14:15], v[28:29], v[20:21]
	v_add_f64 v[42:43], v[42:43], v[54:55]
	v_add_f64 v[44:45], v[16:17], v[44:45]
	v_fma_f64 v[54:55], v[26:27], v[18:19], -v[14:15]
	v_mul_f64 v[20:21], v[26:27], v[20:21]
	ds_read_b128 v[14:17], v32 offset:2560
	v_fmac_f64_e32 v[20:21], v[28:29], v[18:19]
	v_add_f64 v[28:29], v[20:21], v[48:49]
	ds_read_b128 v[18:21], v32 offset:2816
	v_add_f64 v[26:27], v[46:47], v[54:55]
	s_waitcnt lgkmcnt(1)
	v_mul_f64 v[46:47], v[24:25], v[16:17]
	v_fma_f64 v[46:47], v[22:23], v[14:15], -v[46:47]
	v_add_f64 v[46:47], v[50:51], v[46:47]
	s_waitcnt lgkmcnt(0)
	v_mul_f64 v[50:51], v[24:25], v[20:21]
	v_mul_f64 v[48:49], v[22:23], v[16:17]
	v_fma_f64 v[50:51], v[22:23], v[18:19], -v[50:51]
	v_mul_f64 v[22:23], v[22:23], v[20:21]
	v_fmac_f64_e32 v[22:23], v[24:25], v[18:19]
	v_add_f64 v[38:39], v[22:23], v[38:39]
	v_mul_f64 v[22:23], v[2:3], v[16:17]
	v_mul_f64 v[16:17], v[0:1], v[16:17]
	v_fmac_f64_e32 v[48:49], v[24:25], v[14:15]
	v_fma_f64 v[22:23], v[0:1], v[14:15], -v[22:23]
	v_fmac_f64_e32 v[16:17], v[2:3], v[14:15]
	v_mul_f64 v[14:15], v[2:3], v[20:21]
	v_mul_f64 v[20:21], v[0:1], v[20:21]
	v_add_f64 v[42:43], v[42:43], v[22:23]
	v_add_f64 v[44:45], v[16:17], v[44:45]
	v_fma_f64 v[22:23], v[0:1], v[18:19], -v[14:15]
	v_fmac_f64_e32 v[20:21], v[2:3], v[18:19]
	ds_read_b128 v[0:3], v33 offset:96
	ds_read_b128 v[14:17], v32 offset:3072
	v_add_f64 v[48:49], v[48:49], v[52:53]
	v_add_f64 v[40:41], v[40:41], v[50:51]
	v_add_f64 v[50:51], v[26:27], v[22:23]
	v_add_f64 v[52:53], v[20:21], v[28:29]
	ds_read_b128 v[18:21], v32 offset:3328
	ds_read_b128 v[22:25], v33 offset:112
	s_waitcnt lgkmcnt(2)
	v_mul_f64 v[26:27], v[2:3], v[16:17]
	v_fma_f64 v[26:27], v[0:1], v[14:15], -v[26:27]
	v_mul_f64 v[28:29], v[0:1], v[16:17]
	v_fmac_f64_e32 v[28:29], v[2:3], v[14:15]
	v_add_f64 v[46:47], v[46:47], v[26:27]
	s_waitcnt lgkmcnt(1)
	v_mul_f64 v[26:27], v[2:3], v[20:21]
	v_add_f64 v[48:49], v[28:29], v[48:49]
	v_fma_f64 v[54:55], v[0:1], v[18:19], -v[26:27]
	ds_read_b128 v[26:29], v33 offset:2144
	v_mul_f64 v[0:1], v[0:1], v[20:21]
	v_fmac_f64_e32 v[0:1], v[2:3], v[18:19]
	v_add_f64 v[56:57], v[0:1], v[38:39]
	ds_read_b128 v[0:3], v33 offset:2160
	s_waitcnt lgkmcnt(1)
	v_mul_f64 v[38:39], v[28:29], v[16:17]
	v_mul_f64 v[16:17], v[26:27], v[16:17]
	v_fma_f64 v[38:39], v[26:27], v[14:15], -v[38:39]
	v_fmac_f64_e32 v[16:17], v[28:29], v[14:15]
	v_mul_f64 v[14:15], v[28:29], v[20:21]
	v_add_f64 v[42:43], v[42:43], v[38:39]
	v_add_f64 v[44:45], v[16:17], v[44:45]
	v_fma_f64 v[38:39], v[26:27], v[18:19], -v[14:15]
	ds_read_b128 v[14:17], v32 offset:3584
	v_add_f64 v[54:55], v[40:41], v[54:55]
	v_add_f64 v[50:51], v[50:51], v[38:39]
	ds_read_b128 v[38:41], v32 offset:3840
	v_mul_f64 v[20:21], v[26:27], v[20:21]
	v_fmac_f64_e32 v[20:21], v[28:29], v[18:19]
	s_waitcnt lgkmcnt(1)
	v_mul_f64 v[18:19], v[24:25], v[16:17]
	v_fma_f64 v[18:19], v[22:23], v[14:15], -v[18:19]
	v_add_f64 v[52:53], v[20:21], v[52:53]
	v_mul_f64 v[20:21], v[22:23], v[16:17]
	v_add_f64 v[26:27], v[46:47], v[18:19]
	s_waitcnt lgkmcnt(0)
	v_mul_f64 v[18:19], v[24:25], v[40:41]
	v_fmac_f64_e32 v[20:21], v[24:25], v[14:15]
	v_fma_f64 v[18:19], v[22:23], v[38:39], -v[18:19]
	v_add_f64 v[28:29], v[20:21], v[48:49]
	v_mul_f64 v[20:21], v[22:23], v[40:41]
	v_add_f64 v[22:23], v[54:55], v[18:19]
	v_mul_f64 v[18:19], v[2:3], v[16:17]
	v_mul_f64 v[16:17], v[0:1], v[16:17]
	v_fma_f64 v[18:19], v[0:1], v[14:15], -v[18:19]
	v_fmac_f64_e32 v[16:17], v[2:3], v[14:15]
	v_mul_f64 v[14:15], v[2:3], v[40:41]
	v_fma_f64 v[14:15], v[0:1], v[38:39], -v[14:15]
	v_mul_f64 v[0:1], v[0:1], v[40:41]
	v_fmac_f64_e32 v[20:21], v[24:25], v[38:39]
	v_fmac_f64_e32 v[0:1], v[2:3], v[38:39]
	s_addc_u32 s3, s3, 0
	v_add_f64 v[24:25], v[20:21], v[56:57]
	v_add_f64 v[20:21], v[16:17], v[44:45]
	;; [unrolled: 1-line block ×4, first 2 shown]
	v_mov_b64_e32 v[0:1], s[2:3]
	v_cmp_gt_i64_e32 vcc, s[8:9], v[0:1]
	v_add_f64 v[18:19], v[42:43], v[18:19]
	s_barrier
	s_cbranch_vccz .LBB546_16
.LBB546_8:                              ; =>This Inner Loop Header: Depth=1
	v_mov_b64_e32 v[0:1], 0
	v_mov_b64_e32 v[2:3], 0
	s_and_saveexec_b64 s[12:13], s[0:1]
	s_cbranch_execz .LBB546_12
; %bb.9:                                ;   in Loop: Header=BB546_8 Depth=1
	v_add_u32_e32 v12, s2, v6
	v_cmp_gt_u64_e32 vcc, s[8:9], v[12:13]
	v_mov_b64_e32 v[2:3], 0
	v_mov_b64_e32 v[0:1], 0
	s_and_saveexec_b64 s[14:15], vcc
	s_cbranch_execz .LBB546_11
; %bb.10:                               ;   in Loop: Header=BB546_8 Depth=1
	v_lshl_add_u64 v[0:1], v[12:13], 4, v[8:9]
	flat_load_dwordx4 v[0:3], v[0:1]
	s_waitcnt vmcnt(0) lgkmcnt(0)
	v_xor_b32_e32 v3, 0x80000000, v3
.LBB546_11:                             ;   in Loop: Header=BB546_8 Depth=1
	s_or_b64 exec, exec, s[14:15]
.LBB546_12:                             ;   in Loop: Header=BB546_8 Depth=1
	s_or_b64 exec, exec, s[12:13]
	v_add_u32_e32 v12, s2, v4
	v_cmp_le_u64_e32 vcc, s[8:9], v[12:13]
	s_or_b64 s[12:13], vcc, s[10:11]
	ds_write_b128 v30, v[0:3]
	s_and_saveexec_b64 s[14:15], s[12:13]
	s_xor_b64 s[12:13], exec, s[14:15]
; %bb.13:                               ;   in Loop: Header=BB546_8 Depth=1
	ds_write_b128 v31, v[34:37]
; %bb.14:                               ;   in Loop: Header=BB546_8 Depth=1
	s_andn2_saveexec_b64 s[12:13], s[12:13]
	s_cbranch_execz .LBB546_7
; %bb.15:                               ;   in Loop: Header=BB546_8 Depth=1
	v_lshl_add_u64 v[0:1], v[12:13], 4, v[10:11]
	flat_load_dwordx4 v[0:3], v[0:1]
	s_waitcnt vmcnt(0) lgkmcnt(0)
	ds_write2_b64 v31, v[0:1], v[2:3] offset1:1
	s_branch .LBB546_7
.LBB546_16:
	s_lshl_b64 s[0:1], s[30:31], 4
	v_add_u32_e32 v10, s26, v7
	s_waitcnt lgkmcnt(0)
	s_add_u32 s4, s4, s0
	v_ashrrev_i32_e32 v0, 31, v10
	s_addc_u32 s5, s5, s1
	v_cmp_neq_f64_e64 s[0:1], s[36:37], 0
	s_xor_b64 s[6:7], s[6:7], -1
	v_mul_lo_u32 v2, s28, v0
	v_mul_lo_u32 v3, s29, v10
	v_mad_u64_u32 v[0:1], s[8:9], s28, v10, 0
	v_add_u32_e32 v4, s25, v5
	v_add3_u32 v1, v1, v2, v3
	s_or_b64 s[0:1], s[0:1], s[6:7]
	v_cmp_gt_i32_e64 s[2:3], s24, v10
	v_lshl_add_u64 v[8:9], v[0:1], 4, s[4:5]
	v_cmp_le_i32_e32 vcc, v4, v10
	v_cndmask_b32_e64 v0, 0, 1, s[0:1]
	s_and_b64 s[8:9], s[2:3], vcc
	v_ashrrev_i32_e32 v5, 31, v4
	v_cmp_ne_u32_e64 s[0:1], 1, v0
	s_and_saveexec_b64 s[6:7], s[8:9]
	s_cbranch_execz .LBB546_20
; %bb.17:
	v_mul_f64 v[0:1], s[42:43], v[28:29]
	v_mul_f64 v[2:3], s[40:41], v[28:29]
	v_fma_f64 v[0:1], s[40:41], v[26:27], -v[0:1]
	v_fmac_f64_e32 v[2:3], s[42:43], v[26:27]
	s_and_b64 vcc, exec, s[0:1]
	v_lshl_add_u64 v[6:7], v[4:5], 4, v[8:9]
	s_cbranch_vccnz .LBB546_19
; %bb.18:
	flat_load_dwordx4 v[26:29], v[6:7]
	s_waitcnt vmcnt(0) lgkmcnt(0)
	v_mul_f64 v[12:13], s[38:39], v[28:29]
	v_mul_f64 v[28:29], s[36:37], v[28:29]
	v_fma_f64 v[12:13], s[36:37], v[26:27], -v[12:13]
	v_fmac_f64_e32 v[28:29], s[38:39], v[26:27]
	v_add_f64 v[0:1], v[0:1], v[12:13]
	v_add_f64 v[2:3], v[2:3], v[28:29]
.LBB546_19:
	flat_store_dwordx4 v[6:7], v[0:3]
.LBB546_20:
	s_or_b64 exec, exec, s[6:7]
	v_add_u32_e32 v6, 16, v4
	v_cmp_le_i32_e32 vcc, v6, v10
	s_and_b64 s[6:7], s[2:3], vcc
	v_ashrrev_i32_e32 v7, 31, v6
	s_and_saveexec_b64 s[2:3], s[6:7]
	s_cbranch_execz .LBB546_24
; %bb.21:
	v_mul_f64 v[0:1], s[42:43], v[24:25]
	v_mul_f64 v[2:3], s[40:41], v[24:25]
	v_fma_f64 v[0:1], s[40:41], v[22:23], -v[0:1]
	v_fmac_f64_e32 v[2:3], s[42:43], v[22:23]
	s_and_b64 vcc, exec, s[0:1]
	v_lshl_add_u64 v[8:9], v[6:7], 4, v[8:9]
	s_cbranch_vccnz .LBB546_23
; %bb.22:
	flat_load_dwordx4 v[22:25], v[8:9]
	s_waitcnt vmcnt(0) lgkmcnt(0)
	v_mul_f64 v[12:13], s[38:39], v[24:25]
	v_mul_f64 v[24:25], s[36:37], v[24:25]
	v_fma_f64 v[12:13], s[36:37], v[22:23], -v[12:13]
	v_fmac_f64_e32 v[24:25], s[38:39], v[22:23]
	v_add_f64 v[0:1], v[0:1], v[12:13]
	v_add_f64 v[2:3], v[2:3], v[24:25]
.LBB546_23:
	flat_store_dwordx4 v[8:9], v[0:3]
.LBB546_24:
	s_or_b64 exec, exec, s[2:3]
	v_add_u32_e32 v10, 16, v10
	v_ashrrev_i32_e32 v0, 31, v10
	v_mul_lo_u32 v2, s28, v0
	v_mul_lo_u32 v3, s29, v10
	v_mad_u64_u32 v[0:1], s[6:7], s28, v10, 0
	v_cmp_gt_i32_e64 s[2:3], s24, v10
	v_add3_u32 v1, v1, v2, v3
	v_cmp_le_i32_e32 vcc, v4, v10
	v_lshl_add_u64 v[8:9], v[0:1], 4, s[4:5]
	s_and_b64 s[6:7], s[2:3], vcc
	s_and_saveexec_b64 s[4:5], s[6:7]
	s_cbranch_execz .LBB546_28
; %bb.25:
	v_mul_f64 v[0:1], s[42:43], v[20:21]
	v_mul_f64 v[2:3], s[40:41], v[20:21]
	v_fma_f64 v[0:1], s[40:41], v[18:19], -v[0:1]
	v_fmac_f64_e32 v[2:3], s[42:43], v[18:19]
	s_and_b64 vcc, exec, s[0:1]
	v_lshl_add_u64 v[4:5], v[4:5], 4, v[8:9]
	s_cbranch_vccnz .LBB546_27
; %bb.26:
	flat_load_dwordx4 v[18:21], v[4:5]
	s_waitcnt vmcnt(0) lgkmcnt(0)
	v_mul_f64 v[12:13], s[38:39], v[20:21]
	v_mul_f64 v[20:21], s[36:37], v[20:21]
	v_fma_f64 v[12:13], s[36:37], v[18:19], -v[12:13]
	v_fmac_f64_e32 v[20:21], s[38:39], v[18:19]
	v_add_f64 v[0:1], v[0:1], v[12:13]
	v_add_f64 v[2:3], v[2:3], v[20:21]
.LBB546_27:
	flat_store_dwordx4 v[4:5], v[0:3]
.LBB546_28:
	s_or_b64 exec, exec, s[4:5]
	v_cmp_le_i32_e32 vcc, v6, v10
	s_and_b64 s[2:3], s[2:3], vcc
	s_and_saveexec_b64 s[4:5], s[2:3]
	s_cbranch_execz .LBB546_32
; %bb.29:
	v_mul_f64 v[0:1], s[42:43], v[14:15]
	v_mul_f64 v[2:3], s[40:41], v[14:15]
	v_fma_f64 v[0:1], s[40:41], v[16:17], -v[0:1]
	v_fmac_f64_e32 v[2:3], s[42:43], v[16:17]
	s_and_b64 vcc, exec, s[0:1]
	v_lshl_add_u64 v[4:5], v[6:7], 4, v[8:9]
	s_cbranch_vccnz .LBB546_31
; %bb.30:
	flat_load_dwordx4 v[6:9], v[4:5]
	s_waitcnt vmcnt(0) lgkmcnt(0)
	v_mul_f64 v[10:11], s[38:39], v[8:9]
	v_mul_f64 v[8:9], s[36:37], v[8:9]
	v_fma_f64 v[10:11], s[36:37], v[6:7], -v[10:11]
	v_fmac_f64_e32 v[8:9], s[38:39], v[6:7]
	v_add_f64 v[0:1], v[0:1], v[10:11]
	v_add_f64 v[2:3], v[2:3], v[8:9]
.LBB546_31:
	flat_store_dwordx4 v[4:5], v[0:3]
.LBB546_32:
	s_endpgm
	.section	.rodata,"a",@progbits
	.p2align	6, 0x0
	.amdhsa_kernel _ZL29rocblas_internal_gemmt_kernelIlLi16ELi32ELi8ELc67ELc78ELc85ELb1ELb0E19rocblas_complex_numIdEPKS1_PKS3_PKPS1_EviT_T9_T10_S9_lSB_S9_lSA_T11_S9_li
		.amdhsa_group_segment_fixed_size 8192
		.amdhsa_private_segment_fixed_size 0
		.amdhsa_kernarg_size 108
		.amdhsa_user_sgpr_count 2
		.amdhsa_user_sgpr_dispatch_ptr 0
		.amdhsa_user_sgpr_queue_ptr 0
		.amdhsa_user_sgpr_kernarg_segment_ptr 1
		.amdhsa_user_sgpr_dispatch_id 0
		.amdhsa_user_sgpr_kernarg_preload_length 0
		.amdhsa_user_sgpr_kernarg_preload_offset 0
		.amdhsa_user_sgpr_private_segment_size 0
		.amdhsa_uses_dynamic_stack 0
		.amdhsa_enable_private_segment 0
		.amdhsa_system_sgpr_workgroup_id_x 1
		.amdhsa_system_sgpr_workgroup_id_y 1
		.amdhsa_system_sgpr_workgroup_id_z 1
		.amdhsa_system_sgpr_workgroup_info 0
		.amdhsa_system_vgpr_workitem_id 1
		.amdhsa_next_free_vgpr 64
		.amdhsa_next_free_sgpr 44
		.amdhsa_accum_offset 64
		.amdhsa_reserve_vcc 1
		.amdhsa_float_round_mode_32 0
		.amdhsa_float_round_mode_16_64 0
		.amdhsa_float_denorm_mode_32 3
		.amdhsa_float_denorm_mode_16_64 3
		.amdhsa_dx10_clamp 1
		.amdhsa_ieee_mode 1
		.amdhsa_fp16_overflow 0
		.amdhsa_tg_split 0
		.amdhsa_exception_fp_ieee_invalid_op 0
		.amdhsa_exception_fp_denorm_src 0
		.amdhsa_exception_fp_ieee_div_zero 0
		.amdhsa_exception_fp_ieee_overflow 0
		.amdhsa_exception_fp_ieee_underflow 0
		.amdhsa_exception_fp_ieee_inexact 0
		.amdhsa_exception_int_div_zero 0
	.end_amdhsa_kernel
	.section	.text._ZL29rocblas_internal_gemmt_kernelIlLi16ELi32ELi8ELc67ELc78ELc85ELb1ELb0E19rocblas_complex_numIdEPKS1_PKS3_PKPS1_EviT_T9_T10_S9_lSB_S9_lSA_T11_S9_li,"axG",@progbits,_ZL29rocblas_internal_gemmt_kernelIlLi16ELi32ELi8ELc67ELc78ELc85ELb1ELb0E19rocblas_complex_numIdEPKS1_PKS3_PKPS1_EviT_T9_T10_S9_lSB_S9_lSA_T11_S9_li,comdat
.Lfunc_end546:
	.size	_ZL29rocblas_internal_gemmt_kernelIlLi16ELi32ELi8ELc67ELc78ELc85ELb1ELb0E19rocblas_complex_numIdEPKS1_PKS3_PKPS1_EviT_T9_T10_S9_lSB_S9_lSA_T11_S9_li, .Lfunc_end546-_ZL29rocblas_internal_gemmt_kernelIlLi16ELi32ELi8ELc67ELc78ELc85ELb1ELb0E19rocblas_complex_numIdEPKS1_PKS3_PKPS1_EviT_T9_T10_S9_lSB_S9_lSA_T11_S9_li
                                        ; -- End function
	.set _ZL29rocblas_internal_gemmt_kernelIlLi16ELi32ELi8ELc67ELc78ELc85ELb1ELb0E19rocblas_complex_numIdEPKS1_PKS3_PKPS1_EviT_T9_T10_S9_lSB_S9_lSA_T11_S9_li.num_vgpr, 64
	.set _ZL29rocblas_internal_gemmt_kernelIlLi16ELi32ELi8ELc67ELc78ELc85ELb1ELb0E19rocblas_complex_numIdEPKS1_PKS3_PKPS1_EviT_T9_T10_S9_lSB_S9_lSA_T11_S9_li.num_agpr, 0
	.set _ZL29rocblas_internal_gemmt_kernelIlLi16ELi32ELi8ELc67ELc78ELc85ELb1ELb0E19rocblas_complex_numIdEPKS1_PKS3_PKPS1_EviT_T9_T10_S9_lSB_S9_lSA_T11_S9_li.numbered_sgpr, 44
	.set _ZL29rocblas_internal_gemmt_kernelIlLi16ELi32ELi8ELc67ELc78ELc85ELb1ELb0E19rocblas_complex_numIdEPKS1_PKS3_PKPS1_EviT_T9_T10_S9_lSB_S9_lSA_T11_S9_li.num_named_barrier, 0
	.set _ZL29rocblas_internal_gemmt_kernelIlLi16ELi32ELi8ELc67ELc78ELc85ELb1ELb0E19rocblas_complex_numIdEPKS1_PKS3_PKPS1_EviT_T9_T10_S9_lSB_S9_lSA_T11_S9_li.private_seg_size, 0
	.set _ZL29rocblas_internal_gemmt_kernelIlLi16ELi32ELi8ELc67ELc78ELc85ELb1ELb0E19rocblas_complex_numIdEPKS1_PKS3_PKPS1_EviT_T9_T10_S9_lSB_S9_lSA_T11_S9_li.uses_vcc, 1
	.set _ZL29rocblas_internal_gemmt_kernelIlLi16ELi32ELi8ELc67ELc78ELc85ELb1ELb0E19rocblas_complex_numIdEPKS1_PKS3_PKPS1_EviT_T9_T10_S9_lSB_S9_lSA_T11_S9_li.uses_flat_scratch, 0
	.set _ZL29rocblas_internal_gemmt_kernelIlLi16ELi32ELi8ELc67ELc78ELc85ELb1ELb0E19rocblas_complex_numIdEPKS1_PKS3_PKPS1_EviT_T9_T10_S9_lSB_S9_lSA_T11_S9_li.has_dyn_sized_stack, 0
	.set _ZL29rocblas_internal_gemmt_kernelIlLi16ELi32ELi8ELc67ELc78ELc85ELb1ELb0E19rocblas_complex_numIdEPKS1_PKS3_PKPS1_EviT_T9_T10_S9_lSB_S9_lSA_T11_S9_li.has_recursion, 0
	.set _ZL29rocblas_internal_gemmt_kernelIlLi16ELi32ELi8ELc67ELc78ELc85ELb1ELb0E19rocblas_complex_numIdEPKS1_PKS3_PKPS1_EviT_T9_T10_S9_lSB_S9_lSA_T11_S9_li.has_indirect_call, 0
	.section	.AMDGPU.csdata,"",@progbits
; Kernel info:
; codeLenInByte = 3172
; TotalNumSgprs: 50
; NumVgprs: 64
; NumAgprs: 0
; TotalNumVgprs: 64
; ScratchSize: 0
; MemoryBound: 1
; FloatMode: 240
; IeeeMode: 1
; LDSByteSize: 8192 bytes/workgroup (compile time only)
; SGPRBlocks: 6
; VGPRBlocks: 7
; NumSGPRsForWavesPerEU: 50
; NumVGPRsForWavesPerEU: 64
; AccumOffset: 64
; Occupancy: 8
; WaveLimiterHint : 1
; COMPUTE_PGM_RSRC2:SCRATCH_EN: 0
; COMPUTE_PGM_RSRC2:USER_SGPR: 2
; COMPUTE_PGM_RSRC2:TRAP_HANDLER: 0
; COMPUTE_PGM_RSRC2:TGID_X_EN: 1
; COMPUTE_PGM_RSRC2:TGID_Y_EN: 1
; COMPUTE_PGM_RSRC2:TGID_Z_EN: 1
; COMPUTE_PGM_RSRC2:TIDIG_COMP_CNT: 1
; COMPUTE_PGM_RSRC3_GFX90A:ACCUM_OFFSET: 15
; COMPUTE_PGM_RSRC3_GFX90A:TG_SPLIT: 0
	.section	.text._ZL29rocblas_internal_gemmt_kernelIlLi16ELi32ELi8ELc67ELc84ELc85ELb1ELb0E19rocblas_complex_numIdEPKS1_PKS3_PKPS1_EviT_T9_T10_S9_lSB_S9_lSA_T11_S9_li,"axG",@progbits,_ZL29rocblas_internal_gemmt_kernelIlLi16ELi32ELi8ELc67ELc84ELc85ELb1ELb0E19rocblas_complex_numIdEPKS1_PKS3_PKPS1_EviT_T9_T10_S9_lSB_S9_lSA_T11_S9_li,comdat
	.globl	_ZL29rocblas_internal_gemmt_kernelIlLi16ELi32ELi8ELc67ELc84ELc85ELb1ELb0E19rocblas_complex_numIdEPKS1_PKS3_PKPS1_EviT_T9_T10_S9_lSB_S9_lSA_T11_S9_li ; -- Begin function _ZL29rocblas_internal_gemmt_kernelIlLi16ELi32ELi8ELc67ELc84ELc85ELb1ELb0E19rocblas_complex_numIdEPKS1_PKS3_PKPS1_EviT_T9_T10_S9_lSB_S9_lSA_T11_S9_li
	.p2align	8
	.type	_ZL29rocblas_internal_gemmt_kernelIlLi16ELi32ELi8ELc67ELc84ELc85ELb1ELb0E19rocblas_complex_numIdEPKS1_PKS3_PKPS1_EviT_T9_T10_S9_lSB_S9_lSA_T11_S9_li,@function
_ZL29rocblas_internal_gemmt_kernelIlLi16ELi32ELi8ELc67ELc84ELc85ELb1ELb0E19rocblas_complex_numIdEPKS1_PKS3_PKPS1_EviT_T9_T10_S9_lSB_S9_lSA_T11_S9_li: ; @_ZL29rocblas_internal_gemmt_kernelIlLi16ELi32ELi8ELc67ELc84ELc85ELb1ELb0E19rocblas_complex_numIdEPKS1_PKS3_PKPS1_EviT_T9_T10_S9_lSB_S9_lSA_T11_S9_li
; %bb.0:
	s_load_dwordx8 s[24:31], s[0:1], 0x48
	s_load_dwordx16 s[8:23], s[0:1], 0x8
	s_waitcnt lgkmcnt(0)
	s_load_dwordx4 s[36:39], s[24:25], 0x0
	s_load_dwordx4 s[40:43], s[10:11], 0x0
	s_mov_b64 s[24:25], 0
	s_waitcnt lgkmcnt(0)
	v_cmp_eq_f64_e64 s[10:11], s[36:37], 1.0
	v_cmp_eq_f64_e64 s[6:7], s[38:39], 0
	s_and_b64 s[10:11], s[10:11], s[6:7]
	s_andn2_b64 vcc, exec, s[10:11]
	s_mov_b64 s[10:11], -1
	s_cbranch_vccnz .LBB547_4
; %bb.1:
	s_cmp_lg_u64 s[8:9], 0
	s_cbranch_scc0 .LBB547_3
; %bb.2:
	v_cmp_neq_f64_e64 s[10:11], s[40:41], 0
	v_cmp_neq_f64_e64 s[24:25], s[42:43], 0
	s_or_b64 s[24:25], s[10:11], s[24:25]
.LBB547_3:
	s_mov_b64 s[10:11], s[24:25]
.LBB547_4:
	s_and_b64 vcc, exec, s[10:11]
	s_cbranch_vccz .LBB547_32
; %bb.5:
	s_mov_b32 s5, 0
	s_load_dword s24, s[0:1], 0x0
	s_lshl_b64 s[0:1], s[4:5], 3
	s_add_u32 s4, s26, s0
	s_addc_u32 s5, s27, s1
	s_load_dwordx2 s[4:5], s[4:5], 0x0
	s_lshl_b32 s25, s2, 5
	s_lshl_b32 s26, s3, 5
	v_cmp_eq_f64_e64 s[2:3], s[40:41], 0
	v_cmp_eq_f64_e64 s[10:11], s[42:43], 0
	s_and_b64 s[2:3], s[2:3], s[10:11]
	v_cmp_lt_i64_e64 s[10:11], s[8:9], 1
	s_or_b64 s[2:3], s[2:3], s[10:11]
	v_and_b32_e32 v5, 0x3ff, v0
	v_bfe_u32 v7, v0, 10, 10
	v_mov_b64_e32 v[26:27], 0
	s_and_b64 vcc, exec, s[2:3]
	v_mov_b64_e32 v[28:29], 0
	v_mov_b64_e32 v[22:23], 0
	;; [unrolled: 1-line block ×7, first 2 shown]
	s_cbranch_vccnz .LBB547_16
; %bb.6:
	s_add_u32 s2, s18, s0
	s_addc_u32 s3, s19, s1
	s_load_dwordx2 s[2:3], s[2:3], 0x0
	s_lshl_b64 s[10:11], s[22:23], 4
	v_lshl_add_u32 v1, v7, 4, v5
	v_lshrrev_b32_e32 v6, 5, v1
	v_lshrrev_b32_e32 v10, 3, v1
	s_waitcnt lgkmcnt(0)
	s_add_u32 s2, s2, s10
	s_addc_u32 s3, s3, s11
	s_add_u32 s0, s12, s0
	s_addc_u32 s1, s13, s1
	s_load_dwordx2 s[0:1], s[0:1], 0x0
	v_and_b32_e32 v1, 31, v1
	s_lshl_b64 s[10:11], s[16:17], 4
	v_or_b32_e32 v2, s25, v1
	v_lshlrev_b32_e32 v1, 4, v1
	s_waitcnt lgkmcnt(0)
	s_add_u32 s10, s0, s10
	s_addc_u32 s11, s1, s11
	v_cmp_gt_i32_e64 s[0:1], s24, v2
	v_lshl_or_b32 v30, v6, 9, v1
	s_ashr_i32 s16, s25, 31
	v_mul_lo_u32 v1, s15, v2
	v_mad_u64_u32 v[2:3], s[12:13], s14, v2, 0
	v_and_b32_e32 v4, 7, v5
	s_mul_i32 s12, s14, s16
	v_add3_u32 v3, v3, s12, v1
	v_lshlrev_b32_e32 v1, 4, v4
	v_add_u32_e32 v0, s26, v10
	v_lshl_or_b32 v1, v10, 7, v1
	v_add_u32_e32 v31, 0x1000, v1
	v_ashrrev_i32_e32 v1, 31, v0
	v_cmp_gt_i32_e32 vcc, s24, v0
	v_lshl_add_u64 v[10:11], v[0:1], 4, s[2:3]
	v_mov_b32_e32 v0, 0x1000
	v_mov_b32_e32 v13, 0
	v_lshl_add_u64 v[8:9], v[2:3], 4, s[10:11]
	v_lshlrev_b32_e32 v32, 4, v5
	v_lshl_add_u32 v33, v7, 7, v0
	v_mov_b64_e32 v[14:15], 0
	s_mov_b64 s[2:3], 0
	s_xor_b64 s[10:11], vcc, -1
	v_mov_b32_e32 v34, v13
	v_mov_b32_e32 v35, v13
	;; [unrolled: 1-line block ×4, first 2 shown]
	v_mov_b64_e32 v[16:17], 0
	v_mov_b64_e32 v[20:21], 0
	;; [unrolled: 1-line block ×7, first 2 shown]
	s_branch .LBB547_8
.LBB547_7:                              ;   in Loop: Header=BB547_8 Depth=1
	s_or_b64 exec, exec, s[12:13]
	s_waitcnt lgkmcnt(0)
	s_barrier
	ds_read_b128 v[0:3], v32
	ds_read_b128 v[38:41], v33
	ds_read_b128 v[42:45], v33 offset:16
	ds_read_b128 v[46:49], v33 offset:32
	;; [unrolled: 1-line block ×4, first 2 shown]
	s_waitcnt lgkmcnt(4)
	v_mul_f64 v[58:59], v[40:41], v[2:3]
	v_fma_f64 v[58:59], v[38:39], v[0:1], -v[58:59]
	v_mul_f64 v[60:61], v[38:39], v[2:3]
	v_fmac_f64_e32 v[60:61], v[40:41], v[0:1]
	v_add_f64 v[58:59], v[26:27], v[58:59]
	s_waitcnt lgkmcnt(0)
	v_mul_f64 v[26:27], v[40:41], v[56:57]
	v_add_f64 v[60:61], v[60:61], v[28:29]
	v_fma_f64 v[62:63], v[38:39], v[54:55], -v[26:27]
	ds_read_b128 v[26:29], v33 offset:2048
	v_mul_f64 v[38:39], v[38:39], v[56:57]
	v_fmac_f64_e32 v[38:39], v[40:41], v[54:55]
	v_add_f64 v[40:41], v[22:23], v[62:63]
	v_add_f64 v[38:39], v[38:39], v[24:25]
	ds_read_b128 v[22:25], v33 offset:2064
	s_waitcnt lgkmcnt(1)
	v_mul_f64 v[62:63], v[28:29], v[2:3]
	v_mul_f64 v[2:3], v[26:27], v[2:3]
	v_fma_f64 v[62:63], v[26:27], v[0:1], -v[62:63]
	v_fmac_f64_e32 v[2:3], v[28:29], v[0:1]
	v_mul_f64 v[0:1], v[28:29], v[56:57]
	v_add_f64 v[18:19], v[18:19], v[62:63]
	v_add_f64 v[20:21], v[2:3], v[20:21]
	v_fma_f64 v[62:63], v[26:27], v[54:55], -v[0:1]
	v_mul_f64 v[26:27], v[26:27], v[56:57]
	ds_read_b128 v[0:3], v32 offset:512
	v_fmac_f64_e32 v[26:27], v[28:29], v[54:55]
	v_add_f64 v[28:29], v[16:17], v[62:63]
	v_add_f64 v[26:27], v[26:27], v[14:15]
	ds_read_b128 v[14:17], v32 offset:768
	s_waitcnt lgkmcnt(1)
	v_mul_f64 v[54:55], v[44:45], v[2:3]
	v_fma_f64 v[54:55], v[42:43], v[0:1], -v[54:55]
	v_add_f64 v[54:55], v[58:59], v[54:55]
	v_mul_f64 v[56:57], v[42:43], v[2:3]
	s_waitcnt lgkmcnt(0)
	v_mul_f64 v[58:59], v[44:45], v[16:17]
	v_fma_f64 v[58:59], v[42:43], v[14:15], -v[58:59]
	v_mul_f64 v[42:43], v[42:43], v[16:17]
	v_fmac_f64_e32 v[42:43], v[44:45], v[14:15]
	v_add_f64 v[38:39], v[42:43], v[38:39]
	v_mul_f64 v[42:43], v[24:25], v[2:3]
	v_mul_f64 v[2:3], v[22:23], v[2:3]
	v_fmac_f64_e32 v[56:57], v[44:45], v[0:1]
	v_fma_f64 v[42:43], v[22:23], v[0:1], -v[42:43]
	v_fmac_f64_e32 v[2:3], v[24:25], v[0:1]
	v_mul_f64 v[0:1], v[24:25], v[16:17]
	v_add_f64 v[42:43], v[18:19], v[42:43]
	v_add_f64 v[44:45], v[2:3], v[20:21]
	v_fma_f64 v[18:19], v[22:23], v[14:15], -v[0:1]
	v_mul_f64 v[16:17], v[22:23], v[16:17]
	ds_read_b128 v[0:3], v32 offset:1024
	v_fmac_f64_e32 v[16:17], v[24:25], v[14:15]
	v_add_f64 v[26:27], v[16:17], v[26:27]
	ds_read_b128 v[14:17], v32 offset:1280
	v_add_f64 v[28:29], v[28:29], v[18:19]
	s_waitcnt lgkmcnt(1)
	v_mul_f64 v[18:19], v[48:49], v[2:3]
	v_fma_f64 v[18:19], v[46:47], v[0:1], -v[18:19]
	v_mul_f64 v[20:21], v[46:47], v[2:3]
	v_add_f64 v[56:57], v[56:57], v[60:61]
	v_fmac_f64_e32 v[20:21], v[48:49], v[0:1]
	v_add_f64 v[54:55], v[54:55], v[18:19]
	s_waitcnt lgkmcnt(0)
	v_mul_f64 v[18:19], v[48:49], v[16:17]
	v_add_f64 v[56:57], v[20:21], v[56:57]
	v_fma_f64 v[22:23], v[46:47], v[14:15], -v[18:19]
	ds_read_b128 v[18:21], v33 offset:2080
	v_mul_f64 v[24:25], v[46:47], v[16:17]
	v_add_f64 v[40:41], v[40:41], v[58:59]
	v_fmac_f64_e32 v[24:25], v[48:49], v[14:15]
	v_add_f64 v[40:41], v[40:41], v[22:23]
	v_add_f64 v[38:39], v[24:25], v[38:39]
	ds_read_b128 v[22:25], v33 offset:2096
	s_waitcnt lgkmcnt(1)
	v_mul_f64 v[46:47], v[20:21], v[2:3]
	v_mul_f64 v[2:3], v[18:19], v[2:3]
	v_fma_f64 v[46:47], v[18:19], v[0:1], -v[46:47]
	v_fmac_f64_e32 v[2:3], v[20:21], v[0:1]
	v_mul_f64 v[0:1], v[20:21], v[16:17]
	v_mul_f64 v[16:17], v[18:19], v[16:17]
	v_fmac_f64_e32 v[16:17], v[20:21], v[14:15]
	v_add_f64 v[42:43], v[42:43], v[46:47]
	v_add_f64 v[44:45], v[2:3], v[44:45]
	v_fma_f64 v[46:47], v[18:19], v[14:15], -v[0:1]
	ds_read_b128 v[0:3], v32 offset:1536
	v_add_f64 v[20:21], v[16:17], v[26:27]
	ds_read_b128 v[14:17], v32 offset:1792
	v_add_f64 v[18:19], v[28:29], v[46:47]
	s_add_u32 s2, s2, 8
	s_waitcnt lgkmcnt(1)
	v_mul_f64 v[26:27], v[52:53], v[2:3]
	v_mul_f64 v[28:29], v[50:51], v[2:3]
	s_waitcnt lgkmcnt(0)
	v_mul_f64 v[46:47], v[52:53], v[16:17]
	v_fma_f64 v[46:47], v[50:51], v[14:15], -v[46:47]
	v_add_f64 v[40:41], v[40:41], v[46:47]
	v_mul_f64 v[46:47], v[24:25], v[2:3]
	v_mul_f64 v[2:3], v[22:23], v[2:3]
	v_fma_f64 v[26:27], v[50:51], v[0:1], -v[26:27]
	v_fmac_f64_e32 v[28:29], v[52:53], v[0:1]
	v_fma_f64 v[46:47], v[22:23], v[0:1], -v[46:47]
	v_fmac_f64_e32 v[2:3], v[24:25], v[0:1]
	v_mul_f64 v[0:1], v[24:25], v[16:17]
	v_mul_f64 v[48:49], v[50:51], v[16:17]
	v_add_f64 v[42:43], v[42:43], v[46:47]
	v_fma_f64 v[46:47], v[22:23], v[14:15], -v[0:1]
	v_mul_f64 v[22:23], v[22:23], v[16:17]
	v_fmac_f64_e32 v[48:49], v[52:53], v[14:15]
	v_add_f64 v[44:45], v[2:3], v[44:45]
	v_fmac_f64_e32 v[22:23], v[24:25], v[14:15]
	ds_read_b128 v[0:3], v33 offset:64
	ds_read_b128 v[14:17], v32 offset:2048
	v_add_f64 v[38:39], v[48:49], v[38:39]
	v_add_f64 v[46:47], v[18:19], v[46:47]
	v_add_f64 v[48:49], v[22:23], v[20:21]
	ds_read_b128 v[18:21], v32 offset:2304
	ds_read_b128 v[22:25], v33 offset:80
	s_waitcnt lgkmcnt(2)
	v_mul_f64 v[50:51], v[2:3], v[16:17]
	v_add_f64 v[26:27], v[54:55], v[26:27]
	v_fma_f64 v[50:51], v[0:1], v[14:15], -v[50:51]
	v_mul_f64 v[52:53], v[0:1], v[16:17]
	v_add_f64 v[28:29], v[28:29], v[56:57]
	v_fmac_f64_e32 v[52:53], v[2:3], v[14:15]
	v_add_f64 v[50:51], v[26:27], v[50:51]
	s_waitcnt lgkmcnt(1)
	v_mul_f64 v[26:27], v[2:3], v[20:21]
	v_add_f64 v[52:53], v[52:53], v[28:29]
	v_fma_f64 v[54:55], v[0:1], v[18:19], -v[26:27]
	ds_read_b128 v[26:29], v33 offset:2112
	v_mul_f64 v[0:1], v[0:1], v[20:21]
	v_fmac_f64_e32 v[0:1], v[2:3], v[18:19]
	v_add_f64 v[40:41], v[40:41], v[54:55]
	v_add_f64 v[38:39], v[0:1], v[38:39]
	ds_read_b128 v[0:3], v33 offset:2128
	s_waitcnt lgkmcnt(1)
	v_mul_f64 v[54:55], v[28:29], v[16:17]
	v_mul_f64 v[16:17], v[26:27], v[16:17]
	v_fma_f64 v[54:55], v[26:27], v[14:15], -v[54:55]
	v_fmac_f64_e32 v[16:17], v[28:29], v[14:15]
	v_mul_f64 v[14:15], v[28:29], v[20:21]
	v_add_f64 v[42:43], v[42:43], v[54:55]
	v_add_f64 v[44:45], v[16:17], v[44:45]
	v_fma_f64 v[54:55], v[26:27], v[18:19], -v[14:15]
	v_mul_f64 v[20:21], v[26:27], v[20:21]
	ds_read_b128 v[14:17], v32 offset:2560
	v_fmac_f64_e32 v[20:21], v[28:29], v[18:19]
	v_add_f64 v[28:29], v[20:21], v[48:49]
	ds_read_b128 v[18:21], v32 offset:2816
	v_add_f64 v[26:27], v[46:47], v[54:55]
	s_waitcnt lgkmcnt(1)
	v_mul_f64 v[46:47], v[24:25], v[16:17]
	v_fma_f64 v[46:47], v[22:23], v[14:15], -v[46:47]
	v_add_f64 v[46:47], v[50:51], v[46:47]
	s_waitcnt lgkmcnt(0)
	v_mul_f64 v[50:51], v[24:25], v[20:21]
	v_mul_f64 v[48:49], v[22:23], v[16:17]
	v_fma_f64 v[50:51], v[22:23], v[18:19], -v[50:51]
	v_mul_f64 v[22:23], v[22:23], v[20:21]
	v_fmac_f64_e32 v[22:23], v[24:25], v[18:19]
	v_add_f64 v[38:39], v[22:23], v[38:39]
	v_mul_f64 v[22:23], v[2:3], v[16:17]
	v_mul_f64 v[16:17], v[0:1], v[16:17]
	v_fmac_f64_e32 v[48:49], v[24:25], v[14:15]
	v_fma_f64 v[22:23], v[0:1], v[14:15], -v[22:23]
	v_fmac_f64_e32 v[16:17], v[2:3], v[14:15]
	v_mul_f64 v[14:15], v[2:3], v[20:21]
	v_mul_f64 v[20:21], v[0:1], v[20:21]
	v_add_f64 v[42:43], v[42:43], v[22:23]
	v_add_f64 v[44:45], v[16:17], v[44:45]
	v_fma_f64 v[22:23], v[0:1], v[18:19], -v[14:15]
	v_fmac_f64_e32 v[20:21], v[2:3], v[18:19]
	ds_read_b128 v[0:3], v33 offset:96
	ds_read_b128 v[14:17], v32 offset:3072
	v_add_f64 v[48:49], v[48:49], v[52:53]
	v_add_f64 v[40:41], v[40:41], v[50:51]
	;; [unrolled: 1-line block ×4, first 2 shown]
	ds_read_b128 v[18:21], v32 offset:3328
	ds_read_b128 v[22:25], v33 offset:112
	s_waitcnt lgkmcnt(2)
	v_mul_f64 v[26:27], v[2:3], v[16:17]
	v_fma_f64 v[26:27], v[0:1], v[14:15], -v[26:27]
	v_mul_f64 v[28:29], v[0:1], v[16:17]
	v_fmac_f64_e32 v[28:29], v[2:3], v[14:15]
	v_add_f64 v[46:47], v[46:47], v[26:27]
	s_waitcnt lgkmcnt(1)
	v_mul_f64 v[26:27], v[2:3], v[20:21]
	v_add_f64 v[48:49], v[28:29], v[48:49]
	v_fma_f64 v[54:55], v[0:1], v[18:19], -v[26:27]
	ds_read_b128 v[26:29], v33 offset:2144
	v_mul_f64 v[0:1], v[0:1], v[20:21]
	v_fmac_f64_e32 v[0:1], v[2:3], v[18:19]
	v_add_f64 v[56:57], v[0:1], v[38:39]
	ds_read_b128 v[0:3], v33 offset:2160
	s_waitcnt lgkmcnt(1)
	v_mul_f64 v[38:39], v[28:29], v[16:17]
	v_mul_f64 v[16:17], v[26:27], v[16:17]
	v_fma_f64 v[38:39], v[26:27], v[14:15], -v[38:39]
	v_fmac_f64_e32 v[16:17], v[28:29], v[14:15]
	v_mul_f64 v[14:15], v[28:29], v[20:21]
	v_add_f64 v[42:43], v[42:43], v[38:39]
	v_add_f64 v[44:45], v[16:17], v[44:45]
	v_fma_f64 v[38:39], v[26:27], v[18:19], -v[14:15]
	ds_read_b128 v[14:17], v32 offset:3584
	v_add_f64 v[54:55], v[40:41], v[54:55]
	v_add_f64 v[50:51], v[50:51], v[38:39]
	ds_read_b128 v[38:41], v32 offset:3840
	v_mul_f64 v[20:21], v[26:27], v[20:21]
	v_fmac_f64_e32 v[20:21], v[28:29], v[18:19]
	s_waitcnt lgkmcnt(1)
	v_mul_f64 v[18:19], v[24:25], v[16:17]
	v_fma_f64 v[18:19], v[22:23], v[14:15], -v[18:19]
	v_add_f64 v[52:53], v[20:21], v[52:53]
	v_mul_f64 v[20:21], v[22:23], v[16:17]
	v_add_f64 v[26:27], v[46:47], v[18:19]
	s_waitcnt lgkmcnt(0)
	v_mul_f64 v[18:19], v[24:25], v[40:41]
	v_fmac_f64_e32 v[20:21], v[24:25], v[14:15]
	v_fma_f64 v[18:19], v[22:23], v[38:39], -v[18:19]
	v_add_f64 v[28:29], v[20:21], v[48:49]
	v_mul_f64 v[20:21], v[22:23], v[40:41]
	v_add_f64 v[22:23], v[54:55], v[18:19]
	v_mul_f64 v[18:19], v[2:3], v[16:17]
	v_mul_f64 v[16:17], v[0:1], v[16:17]
	v_fma_f64 v[18:19], v[0:1], v[14:15], -v[18:19]
	v_fmac_f64_e32 v[16:17], v[2:3], v[14:15]
	v_mul_f64 v[14:15], v[2:3], v[40:41]
	v_fma_f64 v[14:15], v[0:1], v[38:39], -v[14:15]
	v_mul_f64 v[0:1], v[0:1], v[40:41]
	v_fmac_f64_e32 v[20:21], v[24:25], v[38:39]
	v_fmac_f64_e32 v[0:1], v[2:3], v[38:39]
	s_addc_u32 s3, s3, 0
	v_add_f64 v[24:25], v[20:21], v[56:57]
	v_add_f64 v[20:21], v[16:17], v[44:45]
	;; [unrolled: 1-line block ×4, first 2 shown]
	v_mov_b64_e32 v[0:1], s[2:3]
	v_cmp_gt_i64_e32 vcc, s[8:9], v[0:1]
	v_add_f64 v[18:19], v[42:43], v[18:19]
	s_barrier
	s_cbranch_vccz .LBB547_16
.LBB547_8:                              ; =>This Inner Loop Header: Depth=1
	v_mov_b64_e32 v[0:1], 0
	v_mov_b64_e32 v[2:3], 0
	s_and_saveexec_b64 s[12:13], s[0:1]
	s_cbranch_execz .LBB547_12
; %bb.9:                                ;   in Loop: Header=BB547_8 Depth=1
	v_add_u32_e32 v12, s2, v6
	v_cmp_gt_u64_e32 vcc, s[8:9], v[12:13]
	v_mov_b64_e32 v[2:3], 0
	v_mov_b64_e32 v[0:1], 0
	s_and_saveexec_b64 s[14:15], vcc
	s_cbranch_execz .LBB547_11
; %bb.10:                               ;   in Loop: Header=BB547_8 Depth=1
	v_lshl_add_u64 v[0:1], v[12:13], 4, v[8:9]
	flat_load_dwordx4 v[0:3], v[0:1]
	s_waitcnt vmcnt(0) lgkmcnt(0)
	v_xor_b32_e32 v3, 0x80000000, v3
.LBB547_11:                             ;   in Loop: Header=BB547_8 Depth=1
	s_or_b64 exec, exec, s[14:15]
.LBB547_12:                             ;   in Loop: Header=BB547_8 Depth=1
	s_or_b64 exec, exec, s[12:13]
	v_add_u32_e32 v12, s2, v4
	v_cmp_le_u64_e32 vcc, s[8:9], v[12:13]
	s_or_b64 s[12:13], vcc, s[10:11]
	ds_write_b128 v30, v[0:3]
	s_and_saveexec_b64 s[14:15], s[12:13]
	s_xor_b64 s[12:13], exec, s[14:15]
; %bb.13:                               ;   in Loop: Header=BB547_8 Depth=1
	ds_write_b128 v31, v[34:37]
; %bb.14:                               ;   in Loop: Header=BB547_8 Depth=1
	s_andn2_saveexec_b64 s[12:13], s[12:13]
	s_cbranch_execz .LBB547_7
; %bb.15:                               ;   in Loop: Header=BB547_8 Depth=1
	v_mad_u64_u32 v[0:1], s[14:15], s20, v12, 0
	v_mov_b32_e32 v2, v1
	v_mad_u64_u32 v[2:3], s[14:15], s21, v12, v[2:3]
	v_mov_b32_e32 v1, v2
	v_lshl_add_u64 v[0:1], v[0:1], 4, v[10:11]
	flat_load_dwordx4 v[0:3], v[0:1]
	s_waitcnt vmcnt(0) lgkmcnt(0)
	ds_write2_b64 v31, v[0:1], v[2:3] offset1:1
	s_branch .LBB547_7
.LBB547_16:
	s_lshl_b64 s[0:1], s[30:31], 4
	v_add_u32_e32 v10, s26, v7
	s_waitcnt lgkmcnt(0)
	s_add_u32 s4, s4, s0
	v_ashrrev_i32_e32 v0, 31, v10
	s_addc_u32 s5, s5, s1
	v_cmp_neq_f64_e64 s[0:1], s[36:37], 0
	s_xor_b64 s[6:7], s[6:7], -1
	v_mul_lo_u32 v2, s28, v0
	v_mul_lo_u32 v3, s29, v10
	v_mad_u64_u32 v[0:1], s[8:9], s28, v10, 0
	v_add_u32_e32 v4, s25, v5
	v_add3_u32 v1, v1, v2, v3
	s_or_b64 s[0:1], s[0:1], s[6:7]
	v_cmp_gt_i32_e64 s[2:3], s24, v10
	v_lshl_add_u64 v[8:9], v[0:1], 4, s[4:5]
	v_cmp_le_i32_e32 vcc, v4, v10
	v_cndmask_b32_e64 v0, 0, 1, s[0:1]
	s_and_b64 s[8:9], s[2:3], vcc
	v_ashrrev_i32_e32 v5, 31, v4
	v_cmp_ne_u32_e64 s[0:1], 1, v0
	s_and_saveexec_b64 s[6:7], s[8:9]
	s_cbranch_execz .LBB547_20
; %bb.17:
	v_mul_f64 v[0:1], s[42:43], v[28:29]
	v_mul_f64 v[2:3], s[40:41], v[28:29]
	v_fma_f64 v[0:1], s[40:41], v[26:27], -v[0:1]
	v_fmac_f64_e32 v[2:3], s[42:43], v[26:27]
	s_and_b64 vcc, exec, s[0:1]
	v_lshl_add_u64 v[6:7], v[4:5], 4, v[8:9]
	s_cbranch_vccnz .LBB547_19
; %bb.18:
	flat_load_dwordx4 v[26:29], v[6:7]
	s_waitcnt vmcnt(0) lgkmcnt(0)
	v_mul_f64 v[12:13], s[38:39], v[28:29]
	v_mul_f64 v[28:29], s[36:37], v[28:29]
	v_fma_f64 v[12:13], s[36:37], v[26:27], -v[12:13]
	v_fmac_f64_e32 v[28:29], s[38:39], v[26:27]
	v_add_f64 v[0:1], v[0:1], v[12:13]
	v_add_f64 v[2:3], v[2:3], v[28:29]
.LBB547_19:
	flat_store_dwordx4 v[6:7], v[0:3]
.LBB547_20:
	s_or_b64 exec, exec, s[6:7]
	v_add_u32_e32 v6, 16, v4
	v_cmp_le_i32_e32 vcc, v6, v10
	s_and_b64 s[6:7], s[2:3], vcc
	v_ashrrev_i32_e32 v7, 31, v6
	s_and_saveexec_b64 s[2:3], s[6:7]
	s_cbranch_execz .LBB547_24
; %bb.21:
	v_mul_f64 v[0:1], s[42:43], v[24:25]
	v_mul_f64 v[2:3], s[40:41], v[24:25]
	v_fma_f64 v[0:1], s[40:41], v[22:23], -v[0:1]
	v_fmac_f64_e32 v[2:3], s[42:43], v[22:23]
	s_and_b64 vcc, exec, s[0:1]
	v_lshl_add_u64 v[8:9], v[6:7], 4, v[8:9]
	s_cbranch_vccnz .LBB547_23
; %bb.22:
	flat_load_dwordx4 v[22:25], v[8:9]
	s_waitcnt vmcnt(0) lgkmcnt(0)
	v_mul_f64 v[12:13], s[38:39], v[24:25]
	v_mul_f64 v[24:25], s[36:37], v[24:25]
	v_fma_f64 v[12:13], s[36:37], v[22:23], -v[12:13]
	v_fmac_f64_e32 v[24:25], s[38:39], v[22:23]
	v_add_f64 v[0:1], v[0:1], v[12:13]
	v_add_f64 v[2:3], v[2:3], v[24:25]
.LBB547_23:
	flat_store_dwordx4 v[8:9], v[0:3]
.LBB547_24:
	s_or_b64 exec, exec, s[2:3]
	v_add_u32_e32 v10, 16, v10
	v_ashrrev_i32_e32 v0, 31, v10
	v_mul_lo_u32 v2, s28, v0
	v_mul_lo_u32 v3, s29, v10
	v_mad_u64_u32 v[0:1], s[6:7], s28, v10, 0
	v_cmp_gt_i32_e64 s[2:3], s24, v10
	v_add3_u32 v1, v1, v2, v3
	v_cmp_le_i32_e32 vcc, v4, v10
	v_lshl_add_u64 v[8:9], v[0:1], 4, s[4:5]
	s_and_b64 s[6:7], s[2:3], vcc
	s_and_saveexec_b64 s[4:5], s[6:7]
	s_cbranch_execz .LBB547_28
; %bb.25:
	v_mul_f64 v[0:1], s[42:43], v[20:21]
	v_mul_f64 v[2:3], s[40:41], v[20:21]
	v_fma_f64 v[0:1], s[40:41], v[18:19], -v[0:1]
	v_fmac_f64_e32 v[2:3], s[42:43], v[18:19]
	s_and_b64 vcc, exec, s[0:1]
	v_lshl_add_u64 v[4:5], v[4:5], 4, v[8:9]
	s_cbranch_vccnz .LBB547_27
; %bb.26:
	flat_load_dwordx4 v[18:21], v[4:5]
	s_waitcnt vmcnt(0) lgkmcnt(0)
	v_mul_f64 v[12:13], s[38:39], v[20:21]
	v_mul_f64 v[20:21], s[36:37], v[20:21]
	v_fma_f64 v[12:13], s[36:37], v[18:19], -v[12:13]
	v_fmac_f64_e32 v[20:21], s[38:39], v[18:19]
	v_add_f64 v[0:1], v[0:1], v[12:13]
	v_add_f64 v[2:3], v[2:3], v[20:21]
.LBB547_27:
	flat_store_dwordx4 v[4:5], v[0:3]
.LBB547_28:
	s_or_b64 exec, exec, s[4:5]
	v_cmp_le_i32_e32 vcc, v6, v10
	s_and_b64 s[2:3], s[2:3], vcc
	s_and_saveexec_b64 s[4:5], s[2:3]
	s_cbranch_execz .LBB547_32
; %bb.29:
	v_mul_f64 v[0:1], s[42:43], v[14:15]
	v_mul_f64 v[2:3], s[40:41], v[14:15]
	v_fma_f64 v[0:1], s[40:41], v[16:17], -v[0:1]
	v_fmac_f64_e32 v[2:3], s[42:43], v[16:17]
	s_and_b64 vcc, exec, s[0:1]
	v_lshl_add_u64 v[4:5], v[6:7], 4, v[8:9]
	s_cbranch_vccnz .LBB547_31
; %bb.30:
	flat_load_dwordx4 v[6:9], v[4:5]
	s_waitcnt vmcnt(0) lgkmcnt(0)
	v_mul_f64 v[10:11], s[38:39], v[8:9]
	v_mul_f64 v[8:9], s[36:37], v[8:9]
	v_fma_f64 v[10:11], s[36:37], v[6:7], -v[10:11]
	v_fmac_f64_e32 v[8:9], s[38:39], v[6:7]
	v_add_f64 v[0:1], v[0:1], v[10:11]
	v_add_f64 v[2:3], v[2:3], v[8:9]
.LBB547_31:
	flat_store_dwordx4 v[4:5], v[0:3]
.LBB547_32:
	s_endpgm
	.section	.rodata,"a",@progbits
	.p2align	6, 0x0
	.amdhsa_kernel _ZL29rocblas_internal_gemmt_kernelIlLi16ELi32ELi8ELc67ELc84ELc85ELb1ELb0E19rocblas_complex_numIdEPKS1_PKS3_PKPS1_EviT_T9_T10_S9_lSB_S9_lSA_T11_S9_li
		.amdhsa_group_segment_fixed_size 8192
		.amdhsa_private_segment_fixed_size 0
		.amdhsa_kernarg_size 108
		.amdhsa_user_sgpr_count 2
		.amdhsa_user_sgpr_dispatch_ptr 0
		.amdhsa_user_sgpr_queue_ptr 0
		.amdhsa_user_sgpr_kernarg_segment_ptr 1
		.amdhsa_user_sgpr_dispatch_id 0
		.amdhsa_user_sgpr_kernarg_preload_length 0
		.amdhsa_user_sgpr_kernarg_preload_offset 0
		.amdhsa_user_sgpr_private_segment_size 0
		.amdhsa_uses_dynamic_stack 0
		.amdhsa_enable_private_segment 0
		.amdhsa_system_sgpr_workgroup_id_x 1
		.amdhsa_system_sgpr_workgroup_id_y 1
		.amdhsa_system_sgpr_workgroup_id_z 1
		.amdhsa_system_sgpr_workgroup_info 0
		.amdhsa_system_vgpr_workitem_id 1
		.amdhsa_next_free_vgpr 64
		.amdhsa_next_free_sgpr 44
		.amdhsa_accum_offset 64
		.amdhsa_reserve_vcc 1
		.amdhsa_float_round_mode_32 0
		.amdhsa_float_round_mode_16_64 0
		.amdhsa_float_denorm_mode_32 3
		.amdhsa_float_denorm_mode_16_64 3
		.amdhsa_dx10_clamp 1
		.amdhsa_ieee_mode 1
		.amdhsa_fp16_overflow 0
		.amdhsa_tg_split 0
		.amdhsa_exception_fp_ieee_invalid_op 0
		.amdhsa_exception_fp_denorm_src 0
		.amdhsa_exception_fp_ieee_div_zero 0
		.amdhsa_exception_fp_ieee_overflow 0
		.amdhsa_exception_fp_ieee_underflow 0
		.amdhsa_exception_fp_ieee_inexact 0
		.amdhsa_exception_int_div_zero 0
	.end_amdhsa_kernel
	.section	.text._ZL29rocblas_internal_gemmt_kernelIlLi16ELi32ELi8ELc67ELc84ELc85ELb1ELb0E19rocblas_complex_numIdEPKS1_PKS3_PKPS1_EviT_T9_T10_S9_lSB_S9_lSA_T11_S9_li,"axG",@progbits,_ZL29rocblas_internal_gemmt_kernelIlLi16ELi32ELi8ELc67ELc84ELc85ELb1ELb0E19rocblas_complex_numIdEPKS1_PKS3_PKPS1_EviT_T9_T10_S9_lSB_S9_lSA_T11_S9_li,comdat
.Lfunc_end547:
	.size	_ZL29rocblas_internal_gemmt_kernelIlLi16ELi32ELi8ELc67ELc84ELc85ELb1ELb0E19rocblas_complex_numIdEPKS1_PKS3_PKPS1_EviT_T9_T10_S9_lSB_S9_lSA_T11_S9_li, .Lfunc_end547-_ZL29rocblas_internal_gemmt_kernelIlLi16ELi32ELi8ELc67ELc84ELc85ELb1ELb0E19rocblas_complex_numIdEPKS1_PKS3_PKPS1_EviT_T9_T10_S9_lSB_S9_lSA_T11_S9_li
                                        ; -- End function
	.set _ZL29rocblas_internal_gemmt_kernelIlLi16ELi32ELi8ELc67ELc84ELc85ELb1ELb0E19rocblas_complex_numIdEPKS1_PKS3_PKPS1_EviT_T9_T10_S9_lSB_S9_lSA_T11_S9_li.num_vgpr, 64
	.set _ZL29rocblas_internal_gemmt_kernelIlLi16ELi32ELi8ELc67ELc84ELc85ELb1ELb0E19rocblas_complex_numIdEPKS1_PKS3_PKPS1_EviT_T9_T10_S9_lSB_S9_lSA_T11_S9_li.num_agpr, 0
	.set _ZL29rocblas_internal_gemmt_kernelIlLi16ELi32ELi8ELc67ELc84ELc85ELb1ELb0E19rocblas_complex_numIdEPKS1_PKS3_PKPS1_EviT_T9_T10_S9_lSB_S9_lSA_T11_S9_li.numbered_sgpr, 44
	.set _ZL29rocblas_internal_gemmt_kernelIlLi16ELi32ELi8ELc67ELc84ELc85ELb1ELb0E19rocblas_complex_numIdEPKS1_PKS3_PKPS1_EviT_T9_T10_S9_lSB_S9_lSA_T11_S9_li.num_named_barrier, 0
	.set _ZL29rocblas_internal_gemmt_kernelIlLi16ELi32ELi8ELc67ELc84ELc85ELb1ELb0E19rocblas_complex_numIdEPKS1_PKS3_PKPS1_EviT_T9_T10_S9_lSB_S9_lSA_T11_S9_li.private_seg_size, 0
	.set _ZL29rocblas_internal_gemmt_kernelIlLi16ELi32ELi8ELc67ELc84ELc85ELb1ELb0E19rocblas_complex_numIdEPKS1_PKS3_PKPS1_EviT_T9_T10_S9_lSB_S9_lSA_T11_S9_li.uses_vcc, 1
	.set _ZL29rocblas_internal_gemmt_kernelIlLi16ELi32ELi8ELc67ELc84ELc85ELb1ELb0E19rocblas_complex_numIdEPKS1_PKS3_PKPS1_EviT_T9_T10_S9_lSB_S9_lSA_T11_S9_li.uses_flat_scratch, 0
	.set _ZL29rocblas_internal_gemmt_kernelIlLi16ELi32ELi8ELc67ELc84ELc85ELb1ELb0E19rocblas_complex_numIdEPKS1_PKS3_PKPS1_EviT_T9_T10_S9_lSB_S9_lSA_T11_S9_li.has_dyn_sized_stack, 0
	.set _ZL29rocblas_internal_gemmt_kernelIlLi16ELi32ELi8ELc67ELc84ELc85ELb1ELb0E19rocblas_complex_numIdEPKS1_PKS3_PKPS1_EviT_T9_T10_S9_lSB_S9_lSA_T11_S9_li.has_recursion, 0
	.set _ZL29rocblas_internal_gemmt_kernelIlLi16ELi32ELi8ELc67ELc84ELc85ELb1ELb0E19rocblas_complex_numIdEPKS1_PKS3_PKPS1_EviT_T9_T10_S9_lSB_S9_lSA_T11_S9_li.has_indirect_call, 0
	.section	.AMDGPU.csdata,"",@progbits
; Kernel info:
; codeLenInByte = 3164
; TotalNumSgprs: 50
; NumVgprs: 64
; NumAgprs: 0
; TotalNumVgprs: 64
; ScratchSize: 0
; MemoryBound: 1
; FloatMode: 240
; IeeeMode: 1
; LDSByteSize: 8192 bytes/workgroup (compile time only)
; SGPRBlocks: 6
; VGPRBlocks: 7
; NumSGPRsForWavesPerEU: 50
; NumVGPRsForWavesPerEU: 64
; AccumOffset: 64
; Occupancy: 8
; WaveLimiterHint : 1
; COMPUTE_PGM_RSRC2:SCRATCH_EN: 0
; COMPUTE_PGM_RSRC2:USER_SGPR: 2
; COMPUTE_PGM_RSRC2:TRAP_HANDLER: 0
; COMPUTE_PGM_RSRC2:TGID_X_EN: 1
; COMPUTE_PGM_RSRC2:TGID_Y_EN: 1
; COMPUTE_PGM_RSRC2:TGID_Z_EN: 1
; COMPUTE_PGM_RSRC2:TIDIG_COMP_CNT: 1
; COMPUTE_PGM_RSRC3_GFX90A:ACCUM_OFFSET: 15
; COMPUTE_PGM_RSRC3_GFX90A:TG_SPLIT: 0
	.section	.text._ZL29rocblas_internal_gemmt_kernelIlLi16ELi32ELi8ELc67ELc67ELc85ELb1ELb1E19rocblas_complex_numIdEPKS1_PKS3_PKPS1_EviT_T9_T10_S9_lSB_S9_lSA_T11_S9_li,"axG",@progbits,_ZL29rocblas_internal_gemmt_kernelIlLi16ELi32ELi8ELc67ELc67ELc85ELb1ELb1E19rocblas_complex_numIdEPKS1_PKS3_PKPS1_EviT_T9_T10_S9_lSB_S9_lSA_T11_S9_li,comdat
	.globl	_ZL29rocblas_internal_gemmt_kernelIlLi16ELi32ELi8ELc67ELc67ELc85ELb1ELb1E19rocblas_complex_numIdEPKS1_PKS3_PKPS1_EviT_T9_T10_S9_lSB_S9_lSA_T11_S9_li ; -- Begin function _ZL29rocblas_internal_gemmt_kernelIlLi16ELi32ELi8ELc67ELc67ELc85ELb1ELb1E19rocblas_complex_numIdEPKS1_PKS3_PKPS1_EviT_T9_T10_S9_lSB_S9_lSA_T11_S9_li
	.p2align	8
	.type	_ZL29rocblas_internal_gemmt_kernelIlLi16ELi32ELi8ELc67ELc67ELc85ELb1ELb1E19rocblas_complex_numIdEPKS1_PKS3_PKPS1_EviT_T9_T10_S9_lSB_S9_lSA_T11_S9_li,@function
_ZL29rocblas_internal_gemmt_kernelIlLi16ELi32ELi8ELc67ELc67ELc85ELb1ELb1E19rocblas_complex_numIdEPKS1_PKS3_PKPS1_EviT_T9_T10_S9_lSB_S9_lSA_T11_S9_li: ; @_ZL29rocblas_internal_gemmt_kernelIlLi16ELi32ELi8ELc67ELc67ELc85ELb1ELb1E19rocblas_complex_numIdEPKS1_PKS3_PKPS1_EviT_T9_T10_S9_lSB_S9_lSA_T11_S9_li
; %bb.0:
	s_load_dwordx8 s[24:31], s[0:1], 0x48
	s_load_dwordx16 s[8:23], s[0:1], 0x8
	s_waitcnt lgkmcnt(0)
	s_load_dwordx4 s[36:39], s[24:25], 0x0
	s_load_dwordx4 s[40:43], s[10:11], 0x0
	s_mov_b64 s[24:25], 0
	s_waitcnt lgkmcnt(0)
	v_cmp_eq_f64_e64 s[10:11], s[36:37], 1.0
	v_cmp_eq_f64_e64 s[6:7], s[38:39], 0
	s_and_b64 s[10:11], s[10:11], s[6:7]
	s_andn2_b64 vcc, exec, s[10:11]
	s_mov_b64 s[10:11], -1
	s_cbranch_vccnz .LBB548_4
; %bb.1:
	s_cmp_lg_u64 s[8:9], 0
	s_cbranch_scc0 .LBB548_3
; %bb.2:
	v_cmp_neq_f64_e64 s[10:11], s[40:41], 0
	v_cmp_neq_f64_e64 s[24:25], s[42:43], 0
	s_or_b64 s[24:25], s[10:11], s[24:25]
.LBB548_3:
	s_mov_b64 s[10:11], s[24:25]
.LBB548_4:
	s_and_b64 vcc, exec, s[10:11]
	s_cbranch_vccz .LBB548_30
; %bb.5:
	s_mov_b32 s5, 0
	s_load_dword s24, s[0:1], 0x0
	s_lshl_b64 s[0:1], s[4:5], 3
	s_add_u32 s4, s26, s0
	s_addc_u32 s5, s27, s1
	s_load_dwordx2 s[4:5], s[4:5], 0x0
	s_lshl_b32 s25, s2, 5
	s_lshl_b32 s26, s3, 5
	v_cmp_eq_f64_e64 s[2:3], s[40:41], 0
	v_cmp_eq_f64_e64 s[10:11], s[42:43], 0
	s_and_b64 s[2:3], s[2:3], s[10:11]
	v_cmp_lt_i64_e64 s[10:11], s[8:9], 1
	s_or_b64 s[2:3], s[2:3], s[10:11]
	v_and_b32_e32 v5, 0x3ff, v0
	v_bfe_u32 v7, v0, 10, 10
	v_mov_b64_e32 v[26:27], 0
	s_and_b64 vcc, exec, s[2:3]
	v_mov_b64_e32 v[28:29], 0
	v_mov_b64_e32 v[22:23], 0
	;; [unrolled: 1-line block ×7, first 2 shown]
	s_cbranch_vccnz .LBB548_14
; %bb.6:
	s_add_u32 s2, s18, s0
	s_addc_u32 s3, s19, s1
	s_load_dwordx2 s[2:3], s[2:3], 0x0
	s_lshl_b64 s[10:11], s[22:23], 4
	v_lshl_add_u32 v1, v7, 4, v5
	v_lshrrev_b32_e32 v6, 5, v1
	v_lshrrev_b32_e32 v10, 3, v1
	s_waitcnt lgkmcnt(0)
	s_add_u32 s10, s2, s10
	s_addc_u32 s11, s3, s11
	s_add_u32 s0, s12, s0
	s_addc_u32 s1, s13, s1
	s_load_dwordx2 s[0:1], s[0:1], 0x0
	v_and_b32_e32 v1, 31, v1
	s_lshl_b64 s[2:3], s[16:17], 4
	v_or_b32_e32 v2, s25, v1
	v_lshlrev_b32_e32 v1, 4, v1
	s_waitcnt lgkmcnt(0)
	s_add_u32 s2, s0, s2
	s_addc_u32 s3, s1, s3
	v_cmp_gt_i32_e64 s[0:1], s24, v2
	v_lshl_or_b32 v30, v6, 9, v1
	s_ashr_i32 s16, s25, 31
	v_mul_lo_u32 v1, s15, v2
	v_mad_u64_u32 v[2:3], s[12:13], s14, v2, 0
	v_and_b32_e32 v4, 7, v5
	s_mul_i32 s12, s14, s16
	v_add3_u32 v3, v3, s12, v1
	v_lshlrev_b32_e32 v1, 4, v4
	v_add_u32_e32 v0, s26, v10
	v_lshl_or_b32 v1, v10, 7, v1
	v_add_u32_e32 v31, 0x1000, v1
	v_ashrrev_i32_e32 v1, 31, v0
	v_lshl_add_u64 v[8:9], v[2:3], 4, s[2:3]
	v_cmp_gt_i32_e64 s[2:3], s24, v0
	v_lshl_add_u64 v[10:11], v[0:1], 4, s[10:11]
	v_mov_b32_e32 v0, 0x1000
	v_lshlrev_b32_e32 v32, 4, v5
	v_lshl_add_u32 v33, v7, 7, v0
	v_mov_b32_e32 v13, 0
	v_mov_b64_e32 v[14:15], 0
	s_mov_b64 s[10:11], 0
	v_mov_b64_e32 v[16:17], 0
	v_mov_b64_e32 v[20:21], 0
	;; [unrolled: 1-line block ×7, first 2 shown]
	s_branch .LBB548_8
.LBB548_7:                              ;   in Loop: Header=BB548_8 Depth=1
	s_or_b64 exec, exec, s[12:13]
	ds_write_b128 v31, v[0:3]
	s_waitcnt lgkmcnt(0)
	s_barrier
	ds_read_b128 v[0:3], v32
	ds_read_b128 v[34:37], v33
	ds_read_b128 v[38:41], v33 offset:16
	ds_read_b128 v[42:45], v33 offset:32
	;; [unrolled: 1-line block ×4, first 2 shown]
	s_waitcnt lgkmcnt(4)
	v_mul_f64 v[54:55], v[36:37], v[2:3]
	v_fma_f64 v[54:55], v[34:35], v[0:1], -v[54:55]
	v_mul_f64 v[56:57], v[34:35], v[2:3]
	v_fmac_f64_e32 v[56:57], v[36:37], v[0:1]
	v_add_f64 v[54:55], v[26:27], v[54:55]
	s_waitcnt lgkmcnt(0)
	v_mul_f64 v[26:27], v[36:37], v[52:53]
	v_add_f64 v[56:57], v[56:57], v[28:29]
	v_fma_f64 v[58:59], v[34:35], v[50:51], -v[26:27]
	ds_read_b128 v[26:29], v33 offset:2048
	v_mul_f64 v[34:35], v[34:35], v[52:53]
	v_fmac_f64_e32 v[34:35], v[36:37], v[50:51]
	v_add_f64 v[36:37], v[22:23], v[58:59]
	v_add_f64 v[34:35], v[34:35], v[24:25]
	ds_read_b128 v[22:25], v33 offset:2064
	s_waitcnt lgkmcnt(1)
	v_mul_f64 v[58:59], v[28:29], v[2:3]
	v_mul_f64 v[2:3], v[26:27], v[2:3]
	v_fma_f64 v[58:59], v[26:27], v[0:1], -v[58:59]
	v_fmac_f64_e32 v[2:3], v[28:29], v[0:1]
	v_mul_f64 v[0:1], v[28:29], v[52:53]
	v_add_f64 v[18:19], v[18:19], v[58:59]
	v_add_f64 v[20:21], v[2:3], v[20:21]
	v_fma_f64 v[58:59], v[26:27], v[50:51], -v[0:1]
	v_mul_f64 v[26:27], v[26:27], v[52:53]
	ds_read_b128 v[0:3], v32 offset:512
	v_fmac_f64_e32 v[26:27], v[28:29], v[50:51]
	v_add_f64 v[28:29], v[16:17], v[58:59]
	v_add_f64 v[26:27], v[26:27], v[14:15]
	ds_read_b128 v[14:17], v32 offset:768
	s_waitcnt lgkmcnt(1)
	v_mul_f64 v[50:51], v[40:41], v[2:3]
	v_fma_f64 v[50:51], v[38:39], v[0:1], -v[50:51]
	v_add_f64 v[50:51], v[54:55], v[50:51]
	v_mul_f64 v[52:53], v[38:39], v[2:3]
	s_waitcnt lgkmcnt(0)
	v_mul_f64 v[54:55], v[40:41], v[16:17]
	v_fma_f64 v[54:55], v[38:39], v[14:15], -v[54:55]
	v_mul_f64 v[38:39], v[38:39], v[16:17]
	v_fmac_f64_e32 v[38:39], v[40:41], v[14:15]
	v_add_f64 v[34:35], v[38:39], v[34:35]
	v_mul_f64 v[38:39], v[24:25], v[2:3]
	v_mul_f64 v[2:3], v[22:23], v[2:3]
	v_fmac_f64_e32 v[52:53], v[40:41], v[0:1]
	v_fma_f64 v[38:39], v[22:23], v[0:1], -v[38:39]
	v_fmac_f64_e32 v[2:3], v[24:25], v[0:1]
	v_mul_f64 v[0:1], v[24:25], v[16:17]
	v_add_f64 v[38:39], v[18:19], v[38:39]
	v_add_f64 v[40:41], v[2:3], v[20:21]
	v_fma_f64 v[18:19], v[22:23], v[14:15], -v[0:1]
	v_mul_f64 v[16:17], v[22:23], v[16:17]
	ds_read_b128 v[0:3], v32 offset:1024
	v_fmac_f64_e32 v[16:17], v[24:25], v[14:15]
	v_add_f64 v[26:27], v[16:17], v[26:27]
	ds_read_b128 v[14:17], v32 offset:1280
	v_add_f64 v[28:29], v[28:29], v[18:19]
	s_waitcnt lgkmcnt(1)
	v_mul_f64 v[18:19], v[44:45], v[2:3]
	v_fma_f64 v[18:19], v[42:43], v[0:1], -v[18:19]
	v_mul_f64 v[20:21], v[42:43], v[2:3]
	v_add_f64 v[52:53], v[52:53], v[56:57]
	v_fmac_f64_e32 v[20:21], v[44:45], v[0:1]
	v_add_f64 v[50:51], v[50:51], v[18:19]
	s_waitcnt lgkmcnt(0)
	v_mul_f64 v[18:19], v[44:45], v[16:17]
	v_add_f64 v[52:53], v[20:21], v[52:53]
	v_fma_f64 v[22:23], v[42:43], v[14:15], -v[18:19]
	ds_read_b128 v[18:21], v33 offset:2080
	v_mul_f64 v[24:25], v[42:43], v[16:17]
	v_add_f64 v[36:37], v[36:37], v[54:55]
	v_fmac_f64_e32 v[24:25], v[44:45], v[14:15]
	v_add_f64 v[36:37], v[36:37], v[22:23]
	v_add_f64 v[34:35], v[24:25], v[34:35]
	ds_read_b128 v[22:25], v33 offset:2096
	s_waitcnt lgkmcnt(1)
	v_mul_f64 v[42:43], v[20:21], v[2:3]
	v_mul_f64 v[2:3], v[18:19], v[2:3]
	v_fma_f64 v[42:43], v[18:19], v[0:1], -v[42:43]
	v_fmac_f64_e32 v[2:3], v[20:21], v[0:1]
	v_mul_f64 v[0:1], v[20:21], v[16:17]
	v_mul_f64 v[16:17], v[18:19], v[16:17]
	v_fmac_f64_e32 v[16:17], v[20:21], v[14:15]
	v_add_f64 v[38:39], v[38:39], v[42:43]
	v_add_f64 v[40:41], v[2:3], v[40:41]
	v_fma_f64 v[42:43], v[18:19], v[14:15], -v[0:1]
	ds_read_b128 v[0:3], v32 offset:1536
	v_add_f64 v[20:21], v[16:17], v[26:27]
	ds_read_b128 v[14:17], v32 offset:1792
	v_add_f64 v[18:19], v[28:29], v[42:43]
	s_add_u32 s10, s10, 8
	s_waitcnt lgkmcnt(1)
	v_mul_f64 v[26:27], v[48:49], v[2:3]
	v_mul_f64 v[28:29], v[46:47], v[2:3]
	s_waitcnt lgkmcnt(0)
	v_mul_f64 v[42:43], v[48:49], v[16:17]
	v_fma_f64 v[42:43], v[46:47], v[14:15], -v[42:43]
	v_add_f64 v[36:37], v[36:37], v[42:43]
	v_mul_f64 v[42:43], v[24:25], v[2:3]
	v_mul_f64 v[2:3], v[22:23], v[2:3]
	v_fma_f64 v[26:27], v[46:47], v[0:1], -v[26:27]
	v_fmac_f64_e32 v[28:29], v[48:49], v[0:1]
	v_fma_f64 v[42:43], v[22:23], v[0:1], -v[42:43]
	v_fmac_f64_e32 v[2:3], v[24:25], v[0:1]
	v_mul_f64 v[0:1], v[24:25], v[16:17]
	v_mul_f64 v[44:45], v[46:47], v[16:17]
	v_add_f64 v[38:39], v[38:39], v[42:43]
	v_fma_f64 v[42:43], v[22:23], v[14:15], -v[0:1]
	v_mul_f64 v[22:23], v[22:23], v[16:17]
	v_fmac_f64_e32 v[44:45], v[48:49], v[14:15]
	v_add_f64 v[40:41], v[2:3], v[40:41]
	v_fmac_f64_e32 v[22:23], v[24:25], v[14:15]
	ds_read_b128 v[0:3], v33 offset:64
	ds_read_b128 v[14:17], v32 offset:2048
	v_add_f64 v[34:35], v[44:45], v[34:35]
	v_add_f64 v[42:43], v[18:19], v[42:43]
	;; [unrolled: 1-line block ×3, first 2 shown]
	ds_read_b128 v[18:21], v32 offset:2304
	ds_read_b128 v[22:25], v33 offset:80
	s_waitcnt lgkmcnt(2)
	v_mul_f64 v[46:47], v[2:3], v[16:17]
	v_add_f64 v[26:27], v[50:51], v[26:27]
	v_fma_f64 v[46:47], v[0:1], v[14:15], -v[46:47]
	v_mul_f64 v[48:49], v[0:1], v[16:17]
	v_add_f64 v[28:29], v[28:29], v[52:53]
	v_fmac_f64_e32 v[48:49], v[2:3], v[14:15]
	v_add_f64 v[46:47], v[26:27], v[46:47]
	s_waitcnt lgkmcnt(1)
	v_mul_f64 v[26:27], v[2:3], v[20:21]
	v_add_f64 v[48:49], v[48:49], v[28:29]
	v_fma_f64 v[50:51], v[0:1], v[18:19], -v[26:27]
	ds_read_b128 v[26:29], v33 offset:2112
	v_mul_f64 v[0:1], v[0:1], v[20:21]
	v_fmac_f64_e32 v[0:1], v[2:3], v[18:19]
	v_add_f64 v[36:37], v[36:37], v[50:51]
	v_add_f64 v[34:35], v[0:1], v[34:35]
	ds_read_b128 v[0:3], v33 offset:2128
	s_waitcnt lgkmcnt(1)
	v_mul_f64 v[50:51], v[28:29], v[16:17]
	v_mul_f64 v[16:17], v[26:27], v[16:17]
	v_fma_f64 v[50:51], v[26:27], v[14:15], -v[50:51]
	v_fmac_f64_e32 v[16:17], v[28:29], v[14:15]
	v_mul_f64 v[14:15], v[28:29], v[20:21]
	v_add_f64 v[38:39], v[38:39], v[50:51]
	v_add_f64 v[40:41], v[16:17], v[40:41]
	v_fma_f64 v[50:51], v[26:27], v[18:19], -v[14:15]
	v_mul_f64 v[20:21], v[26:27], v[20:21]
	ds_read_b128 v[14:17], v32 offset:2560
	v_fmac_f64_e32 v[20:21], v[28:29], v[18:19]
	v_add_f64 v[28:29], v[20:21], v[44:45]
	ds_read_b128 v[18:21], v32 offset:2816
	v_add_f64 v[26:27], v[42:43], v[50:51]
	s_waitcnt lgkmcnt(1)
	v_mul_f64 v[42:43], v[24:25], v[16:17]
	v_fma_f64 v[42:43], v[22:23], v[14:15], -v[42:43]
	v_add_f64 v[42:43], v[46:47], v[42:43]
	s_waitcnt lgkmcnt(0)
	v_mul_f64 v[46:47], v[24:25], v[20:21]
	v_mul_f64 v[44:45], v[22:23], v[16:17]
	v_fma_f64 v[46:47], v[22:23], v[18:19], -v[46:47]
	v_mul_f64 v[22:23], v[22:23], v[20:21]
	v_fmac_f64_e32 v[22:23], v[24:25], v[18:19]
	v_add_f64 v[34:35], v[22:23], v[34:35]
	v_mul_f64 v[22:23], v[2:3], v[16:17]
	v_mul_f64 v[16:17], v[0:1], v[16:17]
	v_fmac_f64_e32 v[44:45], v[24:25], v[14:15]
	v_fma_f64 v[22:23], v[0:1], v[14:15], -v[22:23]
	v_fmac_f64_e32 v[16:17], v[2:3], v[14:15]
	v_mul_f64 v[14:15], v[2:3], v[20:21]
	v_mul_f64 v[20:21], v[0:1], v[20:21]
	v_add_f64 v[38:39], v[38:39], v[22:23]
	v_add_f64 v[40:41], v[16:17], v[40:41]
	v_fma_f64 v[22:23], v[0:1], v[18:19], -v[14:15]
	v_fmac_f64_e32 v[20:21], v[2:3], v[18:19]
	ds_read_b128 v[0:3], v33 offset:96
	ds_read_b128 v[14:17], v32 offset:3072
	v_add_f64 v[44:45], v[44:45], v[48:49]
	v_add_f64 v[36:37], v[36:37], v[46:47]
	;; [unrolled: 1-line block ×4, first 2 shown]
	ds_read_b128 v[18:21], v32 offset:3328
	ds_read_b128 v[22:25], v33 offset:112
	s_waitcnt lgkmcnt(2)
	v_mul_f64 v[26:27], v[2:3], v[16:17]
	v_fma_f64 v[26:27], v[0:1], v[14:15], -v[26:27]
	v_mul_f64 v[28:29], v[0:1], v[16:17]
	v_fmac_f64_e32 v[28:29], v[2:3], v[14:15]
	v_add_f64 v[42:43], v[42:43], v[26:27]
	s_waitcnt lgkmcnt(1)
	v_mul_f64 v[26:27], v[2:3], v[20:21]
	v_add_f64 v[44:45], v[28:29], v[44:45]
	v_fma_f64 v[50:51], v[0:1], v[18:19], -v[26:27]
	ds_read_b128 v[26:29], v33 offset:2144
	v_mul_f64 v[0:1], v[0:1], v[20:21]
	v_fmac_f64_e32 v[0:1], v[2:3], v[18:19]
	v_add_f64 v[52:53], v[0:1], v[34:35]
	ds_read_b128 v[0:3], v33 offset:2160
	s_waitcnt lgkmcnt(1)
	v_mul_f64 v[34:35], v[28:29], v[16:17]
	v_mul_f64 v[16:17], v[26:27], v[16:17]
	v_fma_f64 v[34:35], v[26:27], v[14:15], -v[34:35]
	v_fmac_f64_e32 v[16:17], v[28:29], v[14:15]
	v_mul_f64 v[14:15], v[28:29], v[20:21]
	v_add_f64 v[38:39], v[38:39], v[34:35]
	v_add_f64 v[40:41], v[16:17], v[40:41]
	v_fma_f64 v[34:35], v[26:27], v[18:19], -v[14:15]
	ds_read_b128 v[14:17], v32 offset:3584
	v_add_f64 v[50:51], v[36:37], v[50:51]
	v_add_f64 v[46:47], v[46:47], v[34:35]
	ds_read_b128 v[34:37], v32 offset:3840
	v_mul_f64 v[20:21], v[26:27], v[20:21]
	v_fmac_f64_e32 v[20:21], v[28:29], v[18:19]
	s_waitcnt lgkmcnt(1)
	v_mul_f64 v[18:19], v[24:25], v[16:17]
	v_fma_f64 v[18:19], v[22:23], v[14:15], -v[18:19]
	v_add_f64 v[48:49], v[20:21], v[48:49]
	v_mul_f64 v[20:21], v[22:23], v[16:17]
	v_add_f64 v[26:27], v[42:43], v[18:19]
	s_waitcnt lgkmcnt(0)
	v_mul_f64 v[18:19], v[24:25], v[36:37]
	v_fmac_f64_e32 v[20:21], v[24:25], v[14:15]
	v_fma_f64 v[18:19], v[22:23], v[34:35], -v[18:19]
	v_add_f64 v[28:29], v[20:21], v[44:45]
	v_mul_f64 v[20:21], v[22:23], v[36:37]
	v_add_f64 v[22:23], v[50:51], v[18:19]
	v_mul_f64 v[18:19], v[2:3], v[16:17]
	v_mul_f64 v[16:17], v[0:1], v[16:17]
	v_fma_f64 v[18:19], v[0:1], v[14:15], -v[18:19]
	v_fmac_f64_e32 v[16:17], v[2:3], v[14:15]
	v_mul_f64 v[14:15], v[2:3], v[36:37]
	v_fma_f64 v[14:15], v[0:1], v[34:35], -v[14:15]
	v_mul_f64 v[0:1], v[0:1], v[36:37]
	v_fmac_f64_e32 v[20:21], v[24:25], v[34:35]
	v_fmac_f64_e32 v[0:1], v[2:3], v[34:35]
	s_addc_u32 s11, s11, 0
	v_add_f64 v[24:25], v[20:21], v[52:53]
	v_add_f64 v[20:21], v[16:17], v[40:41]
	;; [unrolled: 1-line block ×4, first 2 shown]
	v_mov_b64_e32 v[0:1], s[10:11]
	v_cmp_gt_i64_e32 vcc, s[8:9], v[0:1]
	v_add_f64 v[18:19], v[38:39], v[18:19]
	s_barrier
	s_cbranch_vccz .LBB548_14
.LBB548_8:                              ; =>This Inner Loop Header: Depth=1
	v_mov_b64_e32 v[0:1], 0
	v_mov_b64_e32 v[2:3], 0
	s_and_saveexec_b64 s[12:13], s[0:1]
	s_cbranch_execz .LBB548_12
; %bb.9:                                ;   in Loop: Header=BB548_8 Depth=1
	v_add_u32_e32 v12, s10, v6
	v_cmp_gt_u64_e32 vcc, s[8:9], v[12:13]
	v_mov_b64_e32 v[2:3], 0
	v_mov_b64_e32 v[0:1], 0
	s_and_saveexec_b64 s[14:15], vcc
	s_cbranch_execz .LBB548_11
; %bb.10:                               ;   in Loop: Header=BB548_8 Depth=1
	v_lshl_add_u64 v[0:1], v[12:13], 4, v[8:9]
	flat_load_dwordx4 v[0:3], v[0:1]
	s_waitcnt vmcnt(0) lgkmcnt(0)
	v_xor_b32_e32 v3, 0x80000000, v3
.LBB548_11:                             ;   in Loop: Header=BB548_8 Depth=1
	s_or_b64 exec, exec, s[14:15]
.LBB548_12:                             ;   in Loop: Header=BB548_8 Depth=1
	s_or_b64 exec, exec, s[12:13]
	v_add_u32_e32 v12, s10, v4
	v_cmp_gt_u64_e32 vcc, s[8:9], v[12:13]
	ds_write_b128 v30, v[0:3]
	s_and_b64 s[14:15], vcc, s[2:3]
	v_mov_b64_e32 v[0:1], 0
	v_mov_b64_e32 v[2:3], 0
	s_and_saveexec_b64 s[12:13], s[14:15]
	s_cbranch_execz .LBB548_7
; %bb.13:                               ;   in Loop: Header=BB548_8 Depth=1
	v_mad_u64_u32 v[0:1], s[14:15], s20, v12, 0
	v_mov_b32_e32 v2, v1
	v_mad_u64_u32 v[2:3], s[14:15], s21, v12, v[2:3]
	v_mov_b32_e32 v1, v2
	v_lshl_add_u64 v[0:1], v[0:1], 4, v[10:11]
	flat_load_dwordx4 v[0:3], v[0:1]
	s_waitcnt vmcnt(0) lgkmcnt(0)
	v_xor_b32_e32 v3, 0x80000000, v3
	s_branch .LBB548_7
.LBB548_14:
	s_lshl_b64 s[0:1], s[30:31], 4
	v_add_u32_e32 v10, s26, v7
	s_waitcnt lgkmcnt(0)
	s_add_u32 s4, s4, s0
	v_ashrrev_i32_e32 v0, 31, v10
	s_addc_u32 s5, s5, s1
	v_cmp_neq_f64_e64 s[0:1], s[36:37], 0
	s_xor_b64 s[6:7], s[6:7], -1
	v_mul_lo_u32 v2, s28, v0
	v_mul_lo_u32 v3, s29, v10
	v_mad_u64_u32 v[0:1], s[8:9], s28, v10, 0
	v_add_u32_e32 v4, s25, v5
	v_add3_u32 v1, v1, v2, v3
	s_or_b64 s[0:1], s[0:1], s[6:7]
	v_cmp_gt_i32_e64 s[2:3], s24, v10
	v_lshl_add_u64 v[8:9], v[0:1], 4, s[4:5]
	v_cmp_le_i32_e32 vcc, v4, v10
	v_cndmask_b32_e64 v0, 0, 1, s[0:1]
	s_and_b64 s[8:9], s[2:3], vcc
	v_ashrrev_i32_e32 v5, 31, v4
	v_cmp_ne_u32_e64 s[0:1], 1, v0
	s_and_saveexec_b64 s[6:7], s[8:9]
	s_cbranch_execz .LBB548_18
; %bb.15:
	v_mul_f64 v[0:1], s[42:43], v[28:29]
	v_mul_f64 v[2:3], s[40:41], v[28:29]
	v_fma_f64 v[0:1], s[40:41], v[26:27], -v[0:1]
	v_fmac_f64_e32 v[2:3], s[42:43], v[26:27]
	s_and_b64 vcc, exec, s[0:1]
	v_lshl_add_u64 v[6:7], v[4:5], 4, v[8:9]
	s_cbranch_vccnz .LBB548_17
; %bb.16:
	flat_load_dwordx4 v[26:29], v[6:7]
	s_waitcnt vmcnt(0) lgkmcnt(0)
	v_mul_f64 v[12:13], s[38:39], v[28:29]
	v_mul_f64 v[28:29], s[36:37], v[28:29]
	v_fma_f64 v[12:13], s[36:37], v[26:27], -v[12:13]
	v_fmac_f64_e32 v[28:29], s[38:39], v[26:27]
	v_add_f64 v[0:1], v[0:1], v[12:13]
	v_add_f64 v[2:3], v[2:3], v[28:29]
.LBB548_17:
	flat_store_dwordx4 v[6:7], v[0:3]
.LBB548_18:
	s_or_b64 exec, exec, s[6:7]
	v_add_u32_e32 v6, 16, v4
	v_cmp_le_i32_e32 vcc, v6, v10
	s_and_b64 s[6:7], s[2:3], vcc
	v_ashrrev_i32_e32 v7, 31, v6
	s_and_saveexec_b64 s[2:3], s[6:7]
	s_cbranch_execz .LBB548_22
; %bb.19:
	v_mul_f64 v[0:1], s[42:43], v[24:25]
	v_mul_f64 v[2:3], s[40:41], v[24:25]
	v_fma_f64 v[0:1], s[40:41], v[22:23], -v[0:1]
	v_fmac_f64_e32 v[2:3], s[42:43], v[22:23]
	s_and_b64 vcc, exec, s[0:1]
	v_lshl_add_u64 v[8:9], v[6:7], 4, v[8:9]
	s_cbranch_vccnz .LBB548_21
; %bb.20:
	flat_load_dwordx4 v[22:25], v[8:9]
	s_waitcnt vmcnt(0) lgkmcnt(0)
	v_mul_f64 v[12:13], s[38:39], v[24:25]
	v_mul_f64 v[24:25], s[36:37], v[24:25]
	v_fma_f64 v[12:13], s[36:37], v[22:23], -v[12:13]
	v_fmac_f64_e32 v[24:25], s[38:39], v[22:23]
	v_add_f64 v[0:1], v[0:1], v[12:13]
	v_add_f64 v[2:3], v[2:3], v[24:25]
.LBB548_21:
	flat_store_dwordx4 v[8:9], v[0:3]
.LBB548_22:
	s_or_b64 exec, exec, s[2:3]
	v_add_u32_e32 v10, 16, v10
	v_ashrrev_i32_e32 v0, 31, v10
	v_mul_lo_u32 v2, s28, v0
	v_mul_lo_u32 v3, s29, v10
	v_mad_u64_u32 v[0:1], s[6:7], s28, v10, 0
	v_cmp_gt_i32_e64 s[2:3], s24, v10
	v_add3_u32 v1, v1, v2, v3
	v_cmp_le_i32_e32 vcc, v4, v10
	v_lshl_add_u64 v[8:9], v[0:1], 4, s[4:5]
	s_and_b64 s[6:7], s[2:3], vcc
	s_and_saveexec_b64 s[4:5], s[6:7]
	s_cbranch_execz .LBB548_26
; %bb.23:
	v_mul_f64 v[0:1], s[42:43], v[20:21]
	v_mul_f64 v[2:3], s[40:41], v[20:21]
	v_fma_f64 v[0:1], s[40:41], v[18:19], -v[0:1]
	v_fmac_f64_e32 v[2:3], s[42:43], v[18:19]
	s_and_b64 vcc, exec, s[0:1]
	v_lshl_add_u64 v[4:5], v[4:5], 4, v[8:9]
	s_cbranch_vccnz .LBB548_25
; %bb.24:
	flat_load_dwordx4 v[18:21], v[4:5]
	s_waitcnt vmcnt(0) lgkmcnt(0)
	v_mul_f64 v[12:13], s[38:39], v[20:21]
	v_mul_f64 v[20:21], s[36:37], v[20:21]
	v_fma_f64 v[12:13], s[36:37], v[18:19], -v[12:13]
	v_fmac_f64_e32 v[20:21], s[38:39], v[18:19]
	v_add_f64 v[0:1], v[0:1], v[12:13]
	v_add_f64 v[2:3], v[2:3], v[20:21]
.LBB548_25:
	flat_store_dwordx4 v[4:5], v[0:3]
.LBB548_26:
	s_or_b64 exec, exec, s[4:5]
	v_cmp_le_i32_e32 vcc, v6, v10
	s_and_b64 s[2:3], s[2:3], vcc
	s_and_saveexec_b64 s[4:5], s[2:3]
	s_cbranch_execz .LBB548_30
; %bb.27:
	v_mul_f64 v[0:1], s[42:43], v[14:15]
	v_mul_f64 v[2:3], s[40:41], v[14:15]
	v_fma_f64 v[0:1], s[40:41], v[16:17], -v[0:1]
	v_fmac_f64_e32 v[2:3], s[42:43], v[16:17]
	s_and_b64 vcc, exec, s[0:1]
	v_lshl_add_u64 v[4:5], v[6:7], 4, v[8:9]
	s_cbranch_vccnz .LBB548_29
; %bb.28:
	flat_load_dwordx4 v[6:9], v[4:5]
	s_waitcnt vmcnt(0) lgkmcnt(0)
	v_mul_f64 v[10:11], s[38:39], v[8:9]
	v_mul_f64 v[8:9], s[36:37], v[8:9]
	v_fma_f64 v[10:11], s[36:37], v[6:7], -v[10:11]
	v_fmac_f64_e32 v[8:9], s[38:39], v[6:7]
	v_add_f64 v[0:1], v[0:1], v[10:11]
	v_add_f64 v[2:3], v[2:3], v[8:9]
.LBB548_29:
	flat_store_dwordx4 v[4:5], v[0:3]
.LBB548_30:
	s_endpgm
	.section	.rodata,"a",@progbits
	.p2align	6, 0x0
	.amdhsa_kernel _ZL29rocblas_internal_gemmt_kernelIlLi16ELi32ELi8ELc67ELc67ELc85ELb1ELb1E19rocblas_complex_numIdEPKS1_PKS3_PKPS1_EviT_T9_T10_S9_lSB_S9_lSA_T11_S9_li
		.amdhsa_group_segment_fixed_size 8192
		.amdhsa_private_segment_fixed_size 0
		.amdhsa_kernarg_size 108
		.amdhsa_user_sgpr_count 2
		.amdhsa_user_sgpr_dispatch_ptr 0
		.amdhsa_user_sgpr_queue_ptr 0
		.amdhsa_user_sgpr_kernarg_segment_ptr 1
		.amdhsa_user_sgpr_dispatch_id 0
		.amdhsa_user_sgpr_kernarg_preload_length 0
		.amdhsa_user_sgpr_kernarg_preload_offset 0
		.amdhsa_user_sgpr_private_segment_size 0
		.amdhsa_uses_dynamic_stack 0
		.amdhsa_enable_private_segment 0
		.amdhsa_system_sgpr_workgroup_id_x 1
		.amdhsa_system_sgpr_workgroup_id_y 1
		.amdhsa_system_sgpr_workgroup_id_z 1
		.amdhsa_system_sgpr_workgroup_info 0
		.amdhsa_system_vgpr_workitem_id 1
		.amdhsa_next_free_vgpr 60
		.amdhsa_next_free_sgpr 44
		.amdhsa_accum_offset 60
		.amdhsa_reserve_vcc 1
		.amdhsa_float_round_mode_32 0
		.amdhsa_float_round_mode_16_64 0
		.amdhsa_float_denorm_mode_32 3
		.amdhsa_float_denorm_mode_16_64 3
		.amdhsa_dx10_clamp 1
		.amdhsa_ieee_mode 1
		.amdhsa_fp16_overflow 0
		.amdhsa_tg_split 0
		.amdhsa_exception_fp_ieee_invalid_op 0
		.amdhsa_exception_fp_denorm_src 0
		.amdhsa_exception_fp_ieee_div_zero 0
		.amdhsa_exception_fp_ieee_overflow 0
		.amdhsa_exception_fp_ieee_underflow 0
		.amdhsa_exception_fp_ieee_inexact 0
		.amdhsa_exception_int_div_zero 0
	.end_amdhsa_kernel
	.section	.text._ZL29rocblas_internal_gemmt_kernelIlLi16ELi32ELi8ELc67ELc67ELc85ELb1ELb1E19rocblas_complex_numIdEPKS1_PKS3_PKPS1_EviT_T9_T10_S9_lSB_S9_lSA_T11_S9_li,"axG",@progbits,_ZL29rocblas_internal_gemmt_kernelIlLi16ELi32ELi8ELc67ELc67ELc85ELb1ELb1E19rocblas_complex_numIdEPKS1_PKS3_PKPS1_EviT_T9_T10_S9_lSB_S9_lSA_T11_S9_li,comdat
.Lfunc_end548:
	.size	_ZL29rocblas_internal_gemmt_kernelIlLi16ELi32ELi8ELc67ELc67ELc85ELb1ELb1E19rocblas_complex_numIdEPKS1_PKS3_PKPS1_EviT_T9_T10_S9_lSB_S9_lSA_T11_S9_li, .Lfunc_end548-_ZL29rocblas_internal_gemmt_kernelIlLi16ELi32ELi8ELc67ELc67ELc85ELb1ELb1E19rocblas_complex_numIdEPKS1_PKS3_PKPS1_EviT_T9_T10_S9_lSB_S9_lSA_T11_S9_li
                                        ; -- End function
	.set _ZL29rocblas_internal_gemmt_kernelIlLi16ELi32ELi8ELc67ELc67ELc85ELb1ELb1E19rocblas_complex_numIdEPKS1_PKS3_PKPS1_EviT_T9_T10_S9_lSB_S9_lSA_T11_S9_li.num_vgpr, 60
	.set _ZL29rocblas_internal_gemmt_kernelIlLi16ELi32ELi8ELc67ELc67ELc85ELb1ELb1E19rocblas_complex_numIdEPKS1_PKS3_PKPS1_EviT_T9_T10_S9_lSB_S9_lSA_T11_S9_li.num_agpr, 0
	.set _ZL29rocblas_internal_gemmt_kernelIlLi16ELi32ELi8ELc67ELc67ELc85ELb1ELb1E19rocblas_complex_numIdEPKS1_PKS3_PKPS1_EviT_T9_T10_S9_lSB_S9_lSA_T11_S9_li.numbered_sgpr, 44
	.set _ZL29rocblas_internal_gemmt_kernelIlLi16ELi32ELi8ELc67ELc67ELc85ELb1ELb1E19rocblas_complex_numIdEPKS1_PKS3_PKPS1_EviT_T9_T10_S9_lSB_S9_lSA_T11_S9_li.num_named_barrier, 0
	.set _ZL29rocblas_internal_gemmt_kernelIlLi16ELi32ELi8ELc67ELc67ELc85ELb1ELb1E19rocblas_complex_numIdEPKS1_PKS3_PKPS1_EviT_T9_T10_S9_lSB_S9_lSA_T11_S9_li.private_seg_size, 0
	.set _ZL29rocblas_internal_gemmt_kernelIlLi16ELi32ELi8ELc67ELc67ELc85ELb1ELb1E19rocblas_complex_numIdEPKS1_PKS3_PKPS1_EviT_T9_T10_S9_lSB_S9_lSA_T11_S9_li.uses_vcc, 1
	.set _ZL29rocblas_internal_gemmt_kernelIlLi16ELi32ELi8ELc67ELc67ELc85ELb1ELb1E19rocblas_complex_numIdEPKS1_PKS3_PKPS1_EviT_T9_T10_S9_lSB_S9_lSA_T11_S9_li.uses_flat_scratch, 0
	.set _ZL29rocblas_internal_gemmt_kernelIlLi16ELi32ELi8ELc67ELc67ELc85ELb1ELb1E19rocblas_complex_numIdEPKS1_PKS3_PKPS1_EviT_T9_T10_S9_lSB_S9_lSA_T11_S9_li.has_dyn_sized_stack, 0
	.set _ZL29rocblas_internal_gemmt_kernelIlLi16ELi32ELi8ELc67ELc67ELc85ELb1ELb1E19rocblas_complex_numIdEPKS1_PKS3_PKPS1_EviT_T9_T10_S9_lSB_S9_lSA_T11_S9_li.has_recursion, 0
	.set _ZL29rocblas_internal_gemmt_kernelIlLi16ELi32ELi8ELc67ELc67ELc85ELb1ELb1E19rocblas_complex_numIdEPKS1_PKS3_PKPS1_EviT_T9_T10_S9_lSB_S9_lSA_T11_S9_li.has_indirect_call, 0
	.section	.AMDGPU.csdata,"",@progbits
; Kernel info:
; codeLenInByte = 3148
; TotalNumSgprs: 50
; NumVgprs: 60
; NumAgprs: 0
; TotalNumVgprs: 60
; ScratchSize: 0
; MemoryBound: 1
; FloatMode: 240
; IeeeMode: 1
; LDSByteSize: 8192 bytes/workgroup (compile time only)
; SGPRBlocks: 6
; VGPRBlocks: 7
; NumSGPRsForWavesPerEU: 50
; NumVGPRsForWavesPerEU: 60
; AccumOffset: 60
; Occupancy: 8
; WaveLimiterHint : 1
; COMPUTE_PGM_RSRC2:SCRATCH_EN: 0
; COMPUTE_PGM_RSRC2:USER_SGPR: 2
; COMPUTE_PGM_RSRC2:TRAP_HANDLER: 0
; COMPUTE_PGM_RSRC2:TGID_X_EN: 1
; COMPUTE_PGM_RSRC2:TGID_Y_EN: 1
; COMPUTE_PGM_RSRC2:TGID_Z_EN: 1
; COMPUTE_PGM_RSRC2:TIDIG_COMP_CNT: 1
; COMPUTE_PGM_RSRC3_GFX90A:ACCUM_OFFSET: 14
; COMPUTE_PGM_RSRC3_GFX90A:TG_SPLIT: 0
	.section	.text._ZL29rocblas_internal_gemmt_kernelIlLi16ELi32ELi8ELc78ELc78ELc76ELb0ELb0E19rocblas_complex_numIdEPKS1_PKS3_PKPS1_EviT_T9_T10_S9_lSB_S9_lSA_T11_S9_li,"axG",@progbits,_ZL29rocblas_internal_gemmt_kernelIlLi16ELi32ELi8ELc78ELc78ELc76ELb0ELb0E19rocblas_complex_numIdEPKS1_PKS3_PKPS1_EviT_T9_T10_S9_lSB_S9_lSA_T11_S9_li,comdat
	.globl	_ZL29rocblas_internal_gemmt_kernelIlLi16ELi32ELi8ELc78ELc78ELc76ELb0ELb0E19rocblas_complex_numIdEPKS1_PKS3_PKPS1_EviT_T9_T10_S9_lSB_S9_lSA_T11_S9_li ; -- Begin function _ZL29rocblas_internal_gemmt_kernelIlLi16ELi32ELi8ELc78ELc78ELc76ELb0ELb0E19rocblas_complex_numIdEPKS1_PKS3_PKPS1_EviT_T9_T10_S9_lSB_S9_lSA_T11_S9_li
	.p2align	8
	.type	_ZL29rocblas_internal_gemmt_kernelIlLi16ELi32ELi8ELc78ELc78ELc76ELb0ELb0E19rocblas_complex_numIdEPKS1_PKS3_PKPS1_EviT_T9_T10_S9_lSB_S9_lSA_T11_S9_li,@function
_ZL29rocblas_internal_gemmt_kernelIlLi16ELi32ELi8ELc78ELc78ELc76ELb0ELb0E19rocblas_complex_numIdEPKS1_PKS3_PKPS1_EviT_T9_T10_S9_lSB_S9_lSA_T11_S9_li: ; @_ZL29rocblas_internal_gemmt_kernelIlLi16ELi32ELi8ELc78ELc78ELc76ELb0ELb0E19rocblas_complex_numIdEPKS1_PKS3_PKPS1_EviT_T9_T10_S9_lSB_S9_lSA_T11_S9_li
; %bb.0:
	s_load_dwordx8 s[24:31], s[0:1], 0x48
	s_load_dwordx16 s[8:23], s[0:1], 0x8
	s_waitcnt lgkmcnt(0)
	s_load_dwordx4 s[36:39], s[24:25], 0x0
	s_load_dwordx4 s[40:43], s[10:11], 0x0
	s_mov_b64 s[24:25], 0
	s_waitcnt lgkmcnt(0)
	v_cmp_eq_f64_e64 s[10:11], s[36:37], 1.0
	v_cmp_eq_f64_e64 s[6:7], s[38:39], 0
	s_and_b64 s[10:11], s[10:11], s[6:7]
	s_andn2_b64 vcc, exec, s[10:11]
	s_mov_b64 s[10:11], -1
	s_cbranch_vccnz .LBB549_4
; %bb.1:
	s_cmp_lg_u64 s[8:9], 0
	s_cbranch_scc0 .LBB549_3
; %bb.2:
	v_cmp_neq_f64_e64 s[10:11], s[40:41], 0
	v_cmp_neq_f64_e64 s[24:25], s[42:43], 0
	s_or_b64 s[24:25], s[10:11], s[24:25]
.LBB549_3:
	s_mov_b64 s[10:11], s[24:25]
.LBB549_4:
	s_and_b64 vcc, exec, s[10:11]
	s_cbranch_vccz .LBB549_34
; %bb.5:
	s_mov_b32 s5, 0
	s_load_dword s24, s[0:1], 0x0
	s_lshl_b64 s[0:1], s[4:5], 3
	s_add_u32 s4, s26, s0
	s_addc_u32 s5, s27, s1
	s_load_dwordx2 s[4:5], s[4:5], 0x0
	s_lshl_b32 s25, s2, 5
	s_lshl_b32 s26, s3, 5
	v_cmp_eq_f64_e64 s[2:3], s[40:41], 0
	v_cmp_eq_f64_e64 s[10:11], s[42:43], 0
	s_and_b64 s[2:3], s[2:3], s[10:11]
	v_cmp_lt_i64_e64 s[10:11], s[8:9], 1
	s_or_b64 s[2:3], s[2:3], s[10:11]
	v_and_b32_e32 v1, 0x3ff, v0
	v_bfe_u32 v3, v0, 10, 10
	v_mov_b64_e32 v[24:25], 0
	s_and_b64 vcc, exec, s[2:3]
	v_mov_b64_e32 v[26:27], 0
	v_mov_b64_e32 v[20:21], 0
	;; [unrolled: 1-line block ×7, first 2 shown]
	s_cbranch_vccnz .LBB549_18
; %bb.6:
	s_add_u32 s2, s18, s0
	s_addc_u32 s3, s19, s1
	s_load_dwordx2 s[2:3], s[2:3], 0x0
	s_lshl_b64 s[10:11], s[22:23], 4
	v_lshl_add_u32 v4, v3, 4, v1
	v_and_b32_e32 v0, 7, v1
	v_lshrrev_b32_e32 v6, 3, v4
	s_waitcnt lgkmcnt(0)
	s_add_u32 s10, s2, s10
	s_addc_u32 s11, s3, s11
	s_add_u32 s0, s12, s0
	s_addc_u32 s1, s13, s1
	s_load_dwordx2 s[0:1], s[0:1], 0x0
	v_and_b32_e32 v5, 31, v4
	s_lshl_b64 s[2:3], s[16:17], 4
	v_lshlrev_b32_e32 v8, 4, v0
	v_lshrrev_b32_e32 v2, 5, v4
	v_add_u32_e32 v7, s26, v6
	v_or_b32_e32 v4, s25, v5
	s_waitcnt lgkmcnt(0)
	s_add_u32 s12, s0, s2
	v_lshlrev_b32_e32 v5, 4, v5
	v_lshl_or_b32 v6, v6, 7, v8
	s_addc_u32 s13, s1, s3
	v_lshl_or_b32 v28, v2, 9, v5
	v_ashrrev_i32_e32 v5, 31, v4
	v_add_u32_e32 v29, 0x1000, v6
	v_ashrrev_i32_e32 v6, 31, v7
	v_cmp_gt_i32_e64 s[0:1], s24, v4
	v_cmp_le_i32_e64 s[2:3], s24, v4
	v_lshl_add_u64 v[4:5], v[4:5], 4, s[12:13]
	v_cmp_gt_i32_e32 vcc, s24, v7
	v_mul_lo_u32 v8, s20, v6
	v_mul_lo_u32 v9, s21, v7
	v_mad_u64_u32 v[6:7], s[12:13], s20, v7, 0
	v_add3_u32 v7, v7, v8, v9
	v_mov_b32_e32 v8, 0x1000
	v_mov_b32_e32 v9, 0
	v_lshl_add_u64 v[6:7], v[6:7], 4, s[10:11]
	v_lshlrev_b32_e32 v30, 4, v1
	v_lshl_add_u32 v31, v3, 7, v8
	v_mov_b64_e32 v[12:13], 0
	s_mov_b64 s[10:11], 0
	s_xor_b64 s[12:13], vcc, -1
	v_mov_b32_e32 v32, v9
	v_mov_b32_e32 v33, v9
	v_mov_b32_e32 v34, v9
	v_mov_b32_e32 v35, v9
	v_mov_b64_e32 v[14:15], 0
	v_mov_b64_e32 v[18:19], 0
	;; [unrolled: 1-line block ×7, first 2 shown]
                                        ; implicit-def: $vgpr10_vgpr11
	s_branch .LBB549_8
.LBB549_7:                              ;   in Loop: Header=BB549_8 Depth=1
	s_or_b64 exec, exec, s[16:17]
	s_waitcnt lgkmcnt(0)
	s_barrier
	ds_read_b128 v[36:39], v30
	ds_read_b128 v[40:43], v31
	ds_read_b128 v[44:47], v31 offset:16
	ds_read_b128 v[48:51], v31 offset:32
	;; [unrolled: 1-line block ×4, first 2 shown]
	s_waitcnt lgkmcnt(4)
	v_mul_f64 v[60:61], v[42:43], v[38:39]
	v_fma_f64 v[60:61], v[40:41], v[36:37], -v[60:61]
	v_mul_f64 v[62:63], v[40:41], v[38:39]
	v_fmac_f64_e32 v[62:63], v[42:43], v[36:37]
	v_add_f64 v[60:61], v[24:25], v[60:61]
	s_waitcnt lgkmcnt(0)
	v_mul_f64 v[24:25], v[42:43], v[58:59]
	v_add_f64 v[62:63], v[62:63], v[26:27]
	v_fma_f64 v[64:65], v[40:41], v[56:57], -v[24:25]
	ds_read_b128 v[24:27], v31 offset:2048
	v_mul_f64 v[40:41], v[40:41], v[58:59]
	v_fmac_f64_e32 v[40:41], v[42:43], v[56:57]
	v_add_f64 v[42:43], v[20:21], v[64:65]
	v_add_f64 v[40:41], v[40:41], v[22:23]
	ds_read_b128 v[20:23], v31 offset:2064
	s_waitcnt lgkmcnt(1)
	v_mul_f64 v[64:65], v[26:27], v[38:39]
	v_fma_f64 v[64:65], v[24:25], v[36:37], -v[64:65]
	v_mul_f64 v[38:39], v[24:25], v[38:39]
	v_fmac_f64_e32 v[38:39], v[26:27], v[36:37]
	v_add_f64 v[36:37], v[16:17], v[64:65]
	v_mul_f64 v[16:17], v[26:27], v[58:59]
	v_add_f64 v[38:39], v[38:39], v[18:19]
	v_fma_f64 v[64:65], v[24:25], v[56:57], -v[16:17]
	v_mul_f64 v[24:25], v[24:25], v[58:59]
	ds_read_b128 v[16:19], v30 offset:512
	v_fmac_f64_e32 v[24:25], v[26:27], v[56:57]
	v_add_f64 v[26:27], v[14:15], v[64:65]
	v_add_f64 v[24:25], v[24:25], v[12:13]
	ds_read_b128 v[12:15], v30 offset:768
	s_waitcnt lgkmcnt(1)
	v_mul_f64 v[56:57], v[46:47], v[18:19]
	v_fma_f64 v[56:57], v[44:45], v[16:17], -v[56:57]
	v_add_f64 v[56:57], v[60:61], v[56:57]
	v_mul_f64 v[58:59], v[44:45], v[18:19]
	s_waitcnt lgkmcnt(0)
	v_mul_f64 v[60:61], v[46:47], v[14:15]
	v_fma_f64 v[60:61], v[44:45], v[12:13], -v[60:61]
	v_mul_f64 v[44:45], v[44:45], v[14:15]
	v_fmac_f64_e32 v[44:45], v[46:47], v[12:13]
	v_add_f64 v[40:41], v[44:45], v[40:41]
	v_mul_f64 v[44:45], v[22:23], v[18:19]
	v_mul_f64 v[18:19], v[20:21], v[18:19]
	v_fmac_f64_e32 v[58:59], v[46:47], v[16:17]
	v_fma_f64 v[44:45], v[20:21], v[16:17], -v[44:45]
	v_fmac_f64_e32 v[18:19], v[22:23], v[16:17]
	v_mul_f64 v[16:17], v[22:23], v[14:15]
	v_add_f64 v[46:47], v[18:19], v[38:39]
	v_fma_f64 v[18:19], v[20:21], v[12:13], -v[16:17]
	v_mul_f64 v[20:21], v[20:21], v[14:15]
	ds_read_b128 v[14:17], v30 offset:1024
	v_fmac_f64_e32 v[20:21], v[22:23], v[12:13]
	v_add_f64 v[42:43], v[42:43], v[60:61]
	v_add_f64 v[26:27], v[26:27], v[18:19]
	;; [unrolled: 1-line block ×3, first 2 shown]
	ds_read_b128 v[18:21], v30 offset:1280
	s_waitcnt lgkmcnt(1)
	v_mul_f64 v[22:23], v[48:49], v[16:17]
	v_add_f64 v[58:59], v[58:59], v[62:63]
	v_fmac_f64_e32 v[22:23], v[50:51], v[14:15]
	v_add_f64 v[58:59], v[22:23], v[58:59]
	ds_read_b128 v[22:25], v31 offset:2080
	v_mul_f64 v[12:13], v[50:51], v[16:17]
	v_fma_f64 v[12:13], v[48:49], v[14:15], -v[12:13]
	v_add_f64 v[44:45], v[36:37], v[44:45]
	v_add_f64 v[56:57], v[56:57], v[12:13]
	s_waitcnt lgkmcnt(1)
	v_mul_f64 v[12:13], v[50:51], v[20:21]
	v_mul_f64 v[36:37], v[48:49], v[20:21]
	v_fma_f64 v[12:13], v[48:49], v[18:19], -v[12:13]
	v_fmac_f64_e32 v[36:37], v[50:51], v[18:19]
	v_add_f64 v[42:43], v[42:43], v[12:13]
	v_add_f64 v[40:41], v[36:37], v[40:41]
	ds_read_b128 v[36:39], v31 offset:2096
	s_waitcnt lgkmcnt(1)
	v_mul_f64 v[12:13], v[24:25], v[16:17]
	v_fma_f64 v[12:13], v[22:23], v[14:15], -v[12:13]
	v_mul_f64 v[16:17], v[22:23], v[16:17]
	v_fmac_f64_e32 v[16:17], v[24:25], v[14:15]
	v_add_f64 v[44:45], v[44:45], v[12:13]
	v_mul_f64 v[12:13], v[24:25], v[20:21]
	v_add_f64 v[46:47], v[16:17], v[46:47]
	v_fma_f64 v[16:17], v[22:23], v[18:19], -v[12:13]
	ds_read_b128 v[12:15], v30 offset:1536
	v_mul_f64 v[20:21], v[22:23], v[20:21]
	v_fmac_f64_e32 v[20:21], v[24:25], v[18:19]
	v_add_f64 v[22:23], v[26:27], v[16:17]
	ds_read_b128 v[16:19], v30 offset:1792
	s_waitcnt lgkmcnt(1)
	v_mul_f64 v[24:25], v[54:55], v[14:15]
	v_fma_f64 v[24:25], v[52:53], v[12:13], -v[24:25]
	v_mul_f64 v[26:27], v[52:53], v[14:15]
	v_fmac_f64_e32 v[26:27], v[54:55], v[12:13]
	v_add_f64 v[48:49], v[56:57], v[24:25]
	s_waitcnt lgkmcnt(0)
	v_mul_f64 v[24:25], v[54:55], v[18:19]
	v_add_f64 v[50:51], v[26:27], v[58:59]
	v_fma_f64 v[24:25], v[52:53], v[16:17], -v[24:25]
	v_mul_f64 v[26:27], v[52:53], v[18:19]
	v_fmac_f64_e32 v[26:27], v[54:55], v[16:17]
	v_add_f64 v[42:43], v[42:43], v[24:25]
	v_mul_f64 v[24:25], v[38:39], v[14:15]
	v_mul_f64 v[14:15], v[36:37], v[14:15]
	v_add_f64 v[40:41], v[26:27], v[40:41]
	v_fma_f64 v[24:25], v[36:37], v[12:13], -v[24:25]
	v_fmac_f64_e32 v[14:15], v[38:39], v[12:13]
	v_mul_f64 v[12:13], v[38:39], v[18:19]
	v_mul_f64 v[26:27], v[36:37], v[18:19]
	v_add_f64 v[44:45], v[44:45], v[24:25]
	v_add_f64 v[46:47], v[14:15], v[46:47]
	v_fma_f64 v[24:25], v[36:37], v[16:17], -v[12:13]
	v_fmac_f64_e32 v[26:27], v[38:39], v[16:17]
	ds_read_b128 v[12:15], v31 offset:64
	ds_read_b128 v[16:19], v30 offset:2048
	v_add_f64 v[20:21], v[20:21], v[60:61]
	v_add_f64 v[52:53], v[22:23], v[24:25]
	;; [unrolled: 1-line block ×3, first 2 shown]
	ds_read_b128 v[20:23], v30 offset:2304
	ds_read_b128 v[24:27], v31 offset:80
	s_waitcnt lgkmcnt(2)
	v_mul_f64 v[36:37], v[14:15], v[18:19]
	v_fma_f64 v[36:37], v[12:13], v[16:17], -v[36:37]
	v_mul_f64 v[38:39], v[12:13], v[18:19]
	v_fmac_f64_e32 v[38:39], v[14:15], v[16:17]
	v_add_f64 v[48:49], v[48:49], v[36:37]
	s_waitcnt lgkmcnt(1)
	v_mul_f64 v[36:37], v[14:15], v[22:23]
	v_add_f64 v[50:51], v[38:39], v[50:51]
	v_fma_f64 v[56:57], v[12:13], v[20:21], -v[36:37]
	ds_read_b128 v[36:39], v31 offset:2112
	v_mul_f64 v[12:13], v[12:13], v[22:23]
	v_fmac_f64_e32 v[12:13], v[14:15], v[20:21]
	v_add_f64 v[42:43], v[42:43], v[56:57]
	v_add_f64 v[40:41], v[12:13], v[40:41]
	ds_read_b128 v[12:15], v31 offset:2128
	s_waitcnt lgkmcnt(1)
	v_mul_f64 v[56:57], v[38:39], v[18:19]
	v_mul_f64 v[18:19], v[36:37], v[18:19]
	v_fma_f64 v[56:57], v[36:37], v[16:17], -v[56:57]
	v_fmac_f64_e32 v[18:19], v[38:39], v[16:17]
	v_mul_f64 v[16:17], v[38:39], v[22:23]
	v_add_f64 v[44:45], v[44:45], v[56:57]
	v_add_f64 v[46:47], v[18:19], v[46:47]
	v_fma_f64 v[56:57], v[36:37], v[20:21], -v[16:17]
	v_mul_f64 v[22:23], v[36:37], v[22:23]
	ds_read_b128 v[16:19], v30 offset:2560
	v_fmac_f64_e32 v[22:23], v[38:39], v[20:21]
	v_add_f64 v[38:39], v[22:23], v[54:55]
	ds_read_b128 v[20:23], v30 offset:2816
	v_add_f64 v[36:37], v[52:53], v[56:57]
	s_waitcnt lgkmcnt(1)
	v_mul_f64 v[52:53], v[26:27], v[18:19]
	v_fma_f64 v[52:53], v[24:25], v[16:17], -v[52:53]
	v_add_f64 v[48:49], v[48:49], v[52:53]
	s_waitcnt lgkmcnt(0)
	v_mul_f64 v[52:53], v[26:27], v[22:23]
	v_mul_f64 v[54:55], v[24:25], v[18:19]
	v_fma_f64 v[52:53], v[24:25], v[20:21], -v[52:53]
	v_mul_f64 v[24:25], v[24:25], v[22:23]
	v_fmac_f64_e32 v[24:25], v[26:27], v[20:21]
	v_add_f64 v[40:41], v[24:25], v[40:41]
	v_mul_f64 v[24:25], v[14:15], v[18:19]
	v_mul_f64 v[18:19], v[12:13], v[18:19]
	v_fmac_f64_e32 v[54:55], v[26:27], v[16:17]
	v_fma_f64 v[24:25], v[12:13], v[16:17], -v[24:25]
	v_fmac_f64_e32 v[18:19], v[14:15], v[16:17]
	v_mul_f64 v[16:17], v[14:15], v[22:23]
	v_mul_f64 v[22:23], v[12:13], v[22:23]
	v_add_f64 v[44:45], v[44:45], v[24:25]
	v_add_f64 v[46:47], v[18:19], v[46:47]
	v_fma_f64 v[24:25], v[12:13], v[20:21], -v[16:17]
	v_fmac_f64_e32 v[22:23], v[14:15], v[20:21]
	ds_read_b128 v[12:15], v31 offset:96
	ds_read_b128 v[16:19], v30 offset:3072
	v_add_f64 v[50:51], v[54:55], v[50:51]
	v_add_f64 v[42:43], v[42:43], v[52:53]
	;; [unrolled: 1-line block ×4, first 2 shown]
	ds_read_b128 v[20:23], v30 offset:3328
	ds_read_b128 v[36:39], v31 offset:112
	s_waitcnt lgkmcnt(2)
	v_mul_f64 v[24:25], v[14:15], v[18:19]
	v_fma_f64 v[24:25], v[12:13], v[16:17], -v[24:25]
	v_mul_f64 v[26:27], v[12:13], v[18:19]
	v_fmac_f64_e32 v[26:27], v[14:15], v[16:17]
	v_add_f64 v[48:49], v[48:49], v[24:25]
	s_waitcnt lgkmcnt(1)
	v_mul_f64 v[24:25], v[14:15], v[22:23]
	v_add_f64 v[50:51], v[26:27], v[50:51]
	v_fma_f64 v[56:57], v[12:13], v[20:21], -v[24:25]
	ds_read_b128 v[24:27], v31 offset:2144
	v_mul_f64 v[12:13], v[12:13], v[22:23]
	v_fmac_f64_e32 v[12:13], v[14:15], v[20:21]
	v_add_f64 v[58:59], v[12:13], v[40:41]
	ds_read_b128 v[12:15], v31 offset:2160
	s_waitcnt lgkmcnt(1)
	v_mul_f64 v[40:41], v[26:27], v[18:19]
	v_mul_f64 v[18:19], v[24:25], v[18:19]
	v_fma_f64 v[40:41], v[24:25], v[16:17], -v[40:41]
	v_fmac_f64_e32 v[18:19], v[26:27], v[16:17]
	v_mul_f64 v[16:17], v[26:27], v[22:23]
	v_add_f64 v[44:45], v[44:45], v[40:41]
	v_add_f64 v[46:47], v[18:19], v[46:47]
	v_fma_f64 v[40:41], v[24:25], v[20:21], -v[16:17]
	ds_read_b128 v[16:19], v30 offset:3584
	v_add_f64 v[56:57], v[42:43], v[56:57]
	v_add_f64 v[52:53], v[52:53], v[40:41]
	ds_read_b128 v[40:43], v30 offset:3840
	v_mul_f64 v[22:23], v[24:25], v[22:23]
	v_fmac_f64_e32 v[22:23], v[26:27], v[20:21]
	s_waitcnt lgkmcnt(1)
	v_mul_f64 v[20:21], v[38:39], v[18:19]
	v_add_f64 v[54:55], v[22:23], v[54:55]
	v_fma_f64 v[20:21], v[36:37], v[16:17], -v[20:21]
	v_mul_f64 v[22:23], v[36:37], v[18:19]
	v_fmac_f64_e32 v[22:23], v[38:39], v[16:17]
	v_add_f64 v[24:25], v[48:49], v[20:21]
	s_waitcnt lgkmcnt(0)
	v_mul_f64 v[20:21], v[38:39], v[42:43]
	v_add_f64 v[26:27], v[22:23], v[50:51]
	v_fma_f64 v[20:21], v[36:37], v[40:41], -v[20:21]
	v_mul_f64 v[22:23], v[36:37], v[42:43]
	v_mul_f64 v[36:37], v[14:15], v[18:19]
	v_fma_f64 v[36:37], v[12:13], v[16:17], -v[36:37]
	v_mul_f64 v[18:19], v[12:13], v[18:19]
	v_fmac_f64_e32 v[18:19], v[14:15], v[16:17]
	v_add_f64 v[16:17], v[44:45], v[36:37]
	v_mul_f64 v[36:37], v[14:15], v[42:43]
	s_add_u32 s10, s10, 8
	v_fma_f64 v[36:37], v[12:13], v[40:41], -v[36:37]
	v_mul_f64 v[12:13], v[12:13], v[42:43]
	s_addc_u32 s11, s11, 0
	v_fmac_f64_e32 v[12:13], v[14:15], v[40:41]
	v_add_f64 v[14:15], v[52:53], v[36:37]
	v_mov_b64_e32 v[36:37], s[10:11]
	v_fmac_f64_e32 v[22:23], v[38:39], v[40:41]
	v_cmp_gt_i64_e32 vcc, s[8:9], v[36:37]
	v_add_f64 v[20:21], v[56:57], v[20:21]
	v_add_f64 v[22:23], v[22:23], v[58:59]
	;; [unrolled: 1-line block ×4, first 2 shown]
	s_barrier
	s_cbranch_vccz .LBB549_18
.LBB549_8:                              ; =>This Inner Loop Header: Depth=1
	s_mov_b64 s[20:21], s[2:3]
	s_mov_b64 s[16:17], 0
	s_and_saveexec_b64 s[18:19], s[0:1]
	s_cbranch_execnz .LBB549_16
; %bb.9:                                ;   in Loop: Header=BB549_8 Depth=1
	s_or_b64 exec, exec, s[18:19]
	s_and_saveexec_b64 s[18:19], s[20:21]
	s_xor_b64 s[18:19], exec, s[18:19]
	s_cbranch_execnz .LBB549_17
.LBB549_10:                             ;   in Loop: Header=BB549_8 Depth=1
	s_or_b64 exec, exec, s[18:19]
	s_and_saveexec_b64 s[18:19], s[16:17]
	s_cbranch_execz .LBB549_12
.LBB549_11:                             ;   in Loop: Header=BB549_8 Depth=1
	v_mul_lo_u32 v8, s15, v10
	v_mul_lo_u32 v38, s14, v11
	v_mad_u64_u32 v[36:37], s[16:17], s14, v10, 0
	v_add3_u32 v37, v37, v38, v8
	v_lshl_add_u64 v[36:37], v[36:37], 4, v[4:5]
	flat_load_dwordx4 v[36:39], v[36:37]
	s_waitcnt vmcnt(0) lgkmcnt(0)
	ds_write2_b64 v28, v[36:37], v[38:39] offset1:1
.LBB549_12:                             ;   in Loop: Header=BB549_8 Depth=1
	s_or_b64 exec, exec, s[18:19]
	v_add_u32_e32 v8, s10, v0
	v_cmp_le_u64_e32 vcc, s[8:9], v[8:9]
	s_or_b64 s[16:17], vcc, s[12:13]
	s_and_saveexec_b64 s[18:19], s[16:17]
	s_xor_b64 s[16:17], exec, s[18:19]
; %bb.13:                               ;   in Loop: Header=BB549_8 Depth=1
	ds_write_b128 v29, v[32:35]
; %bb.14:                               ;   in Loop: Header=BB549_8 Depth=1
	s_andn2_saveexec_b64 s[16:17], s[16:17]
	s_cbranch_execz .LBB549_7
; %bb.15:                               ;   in Loop: Header=BB549_8 Depth=1
	v_lshl_add_u64 v[36:37], v[8:9], 4, v[6:7]
	flat_load_dwordx4 v[36:39], v[36:37]
	s_waitcnt vmcnt(0) lgkmcnt(0)
	ds_write2_b64 v29, v[36:37], v[38:39] offset1:1
	s_branch .LBB549_7
.LBB549_16:                             ;   in Loop: Header=BB549_8 Depth=1
	v_add_u32_e32 v8, s10, v2
	v_cmp_le_u64_e32 vcc, s[8:9], v[8:9]
	s_andn2_b64 s[20:21], s[2:3], exec
	s_and_b64 s[22:23], vcc, exec
	s_mov_b64 s[16:17], exec
	s_or_b64 s[20:21], s[20:21], s[22:23]
	v_mov_b64_e32 v[10:11], v[8:9]
	s_or_b64 exec, exec, s[18:19]
	s_and_saveexec_b64 s[18:19], s[20:21]
	s_xor_b64 s[18:19], exec, s[18:19]
	s_cbranch_execz .LBB549_10
.LBB549_17:                             ;   in Loop: Header=BB549_8 Depth=1
	ds_write_b128 v28, v[32:35]
	s_andn2_b64 s[16:17], s[16:17], exec
	s_or_b64 exec, exec, s[18:19]
	s_and_saveexec_b64 s[18:19], s[16:17]
	s_cbranch_execnz .LBB549_11
	s_branch .LBB549_12
.LBB549_18:
	s_lshl_b64 s[0:1], s[30:31], 4
	v_add_u32_e32 v10, s26, v3
	s_waitcnt lgkmcnt(0)
	s_add_u32 s8, s4, s0
	v_ashrrev_i32_e32 v0, 31, v10
	s_addc_u32 s9, s5, s1
	v_add_u32_e32 v4, s25, v1
	v_cmp_neq_f64_e64 s[0:1], s[36:37], 0
	s_xor_b64 s[4:5], s[6:7], -1
	v_mul_lo_u32 v2, s28, v0
	v_mul_lo_u32 v3, s29, v10
	v_mad_u64_u32 v[0:1], s[2:3], s28, v10, 0
	v_add3_u32 v1, v1, v2, v3
	s_or_b64 s[0:1], s[0:1], s[4:5]
	v_lshl_add_u64 v[8:9], v[0:1], 4, s[8:9]
	v_cmp_le_i32_e32 vcc, v10, v4
	v_cmp_gt_i32_e64 s[2:3], s24, v4
	v_cndmask_b32_e64 v0, 0, 1, s[0:1]
	s_and_b64 s[6:7], vcc, s[2:3]
	v_ashrrev_i32_e32 v5, 31, v4
	v_cmp_ne_u32_e64 s[0:1], 1, v0
	s_and_saveexec_b64 s[4:5], s[6:7]
	s_cbranch_execz .LBB549_22
; %bb.19:
	v_mul_f64 v[0:1], s[42:43], v[26:27]
	v_mul_f64 v[2:3], s[40:41], v[26:27]
	v_fma_f64 v[0:1], s[40:41], v[24:25], -v[0:1]
	v_fmac_f64_e32 v[2:3], s[42:43], v[24:25]
	s_and_b64 vcc, exec, s[0:1]
	v_lshl_add_u64 v[6:7], v[4:5], 4, v[8:9]
	s_cbranch_vccnz .LBB549_21
; %bb.20:
	flat_load_dwordx4 v[24:27], v[6:7]
	s_waitcnt vmcnt(0) lgkmcnt(0)
	v_mul_f64 v[28:29], s[38:39], v[26:27]
	v_mul_f64 v[26:27], s[36:37], v[26:27]
	v_fma_f64 v[28:29], s[36:37], v[24:25], -v[28:29]
	v_fmac_f64_e32 v[26:27], s[38:39], v[24:25]
	v_add_f64 v[0:1], v[0:1], v[28:29]
	v_add_f64 v[2:3], v[2:3], v[26:27]
.LBB549_21:
	flat_store_dwordx4 v[6:7], v[0:3]
.LBB549_22:
	s_or_b64 exec, exec, s[4:5]
	v_add_u32_e32 v6, 16, v4
	v_cmp_le_i32_e32 vcc, v10, v6
	v_cmp_gt_i32_e64 s[4:5], s24, v6
	s_and_b64 s[10:11], vcc, s[4:5]
	v_ashrrev_i32_e32 v7, 31, v6
	s_and_saveexec_b64 s[6:7], s[10:11]
	s_cbranch_execz .LBB549_26
; %bb.23:
	v_mul_f64 v[0:1], s[42:43], v[22:23]
	v_mul_f64 v[2:3], s[40:41], v[22:23]
	v_fma_f64 v[0:1], s[40:41], v[20:21], -v[0:1]
	v_fmac_f64_e32 v[2:3], s[42:43], v[20:21]
	s_and_b64 vcc, exec, s[0:1]
	v_lshl_add_u64 v[8:9], v[6:7], 4, v[8:9]
	s_cbranch_vccnz .LBB549_25
; %bb.24:
	flat_load_dwordx4 v[20:23], v[8:9]
	s_waitcnt vmcnt(0) lgkmcnt(0)
	v_mul_f64 v[24:25], s[38:39], v[22:23]
	v_mul_f64 v[22:23], s[36:37], v[22:23]
	v_fma_f64 v[24:25], s[36:37], v[20:21], -v[24:25]
	v_fmac_f64_e32 v[22:23], s[38:39], v[20:21]
	v_add_f64 v[0:1], v[0:1], v[24:25]
	v_add_f64 v[2:3], v[2:3], v[22:23]
.LBB549_25:
	flat_store_dwordx4 v[8:9], v[0:3]
.LBB549_26:
	s_or_b64 exec, exec, s[6:7]
	v_add_u32_e32 v10, 16, v10
	v_ashrrev_i32_e32 v0, 31, v10
	v_mul_lo_u32 v2, s28, v0
	v_mul_lo_u32 v3, s29, v10
	v_mad_u64_u32 v[0:1], s[6:7], s28, v10, 0
	v_add3_u32 v1, v1, v2, v3
	v_cmp_le_i32_e32 vcc, v10, v4
	v_lshl_add_u64 v[8:9], v[0:1], 4, s[8:9]
	s_and_b64 s[6:7], vcc, s[2:3]
	s_and_saveexec_b64 s[2:3], s[6:7]
	s_cbranch_execz .LBB549_30
; %bb.27:
	v_mul_f64 v[0:1], s[42:43], v[18:19]
	v_mul_f64 v[2:3], s[40:41], v[18:19]
	v_fma_f64 v[0:1], s[40:41], v[16:17], -v[0:1]
	v_fmac_f64_e32 v[2:3], s[42:43], v[16:17]
	s_and_b64 vcc, exec, s[0:1]
	v_lshl_add_u64 v[4:5], v[4:5], 4, v[8:9]
	s_cbranch_vccnz .LBB549_29
; %bb.28:
	flat_load_dwordx4 v[16:19], v[4:5]
	s_waitcnt vmcnt(0) lgkmcnt(0)
	v_mul_f64 v[20:21], s[38:39], v[18:19]
	v_mul_f64 v[18:19], s[36:37], v[18:19]
	v_fma_f64 v[20:21], s[36:37], v[16:17], -v[20:21]
	v_fmac_f64_e32 v[18:19], s[38:39], v[16:17]
	v_add_f64 v[0:1], v[0:1], v[20:21]
	v_add_f64 v[2:3], v[2:3], v[18:19]
.LBB549_29:
	flat_store_dwordx4 v[4:5], v[0:3]
.LBB549_30:
	s_or_b64 exec, exec, s[2:3]
	v_cmp_le_i32_e32 vcc, v10, v6
	s_and_b64 s[2:3], vcc, s[4:5]
	s_and_saveexec_b64 s[4:5], s[2:3]
	s_cbranch_execz .LBB549_34
; %bb.31:
	v_mul_f64 v[0:1], s[42:43], v[12:13]
	v_mul_f64 v[2:3], s[40:41], v[12:13]
	v_fma_f64 v[0:1], s[40:41], v[14:15], -v[0:1]
	v_fmac_f64_e32 v[2:3], s[42:43], v[14:15]
	s_and_b64 vcc, exec, s[0:1]
	v_lshl_add_u64 v[4:5], v[6:7], 4, v[8:9]
	s_cbranch_vccnz .LBB549_33
; %bb.32:
	flat_load_dwordx4 v[6:9], v[4:5]
	s_waitcnt vmcnt(0) lgkmcnt(0)
	v_mul_f64 v[10:11], s[38:39], v[8:9]
	v_mul_f64 v[8:9], s[36:37], v[8:9]
	v_fma_f64 v[10:11], s[36:37], v[6:7], -v[10:11]
	v_fmac_f64_e32 v[8:9], s[38:39], v[6:7]
	v_add_f64 v[0:1], v[0:1], v[10:11]
	v_add_f64 v[2:3], v[2:3], v[8:9]
.LBB549_33:
	flat_store_dwordx4 v[4:5], v[0:3]
.LBB549_34:
	s_endpgm
	.section	.rodata,"a",@progbits
	.p2align	6, 0x0
	.amdhsa_kernel _ZL29rocblas_internal_gemmt_kernelIlLi16ELi32ELi8ELc78ELc78ELc76ELb0ELb0E19rocblas_complex_numIdEPKS1_PKS3_PKPS1_EviT_T9_T10_S9_lSB_S9_lSA_T11_S9_li
		.amdhsa_group_segment_fixed_size 8192
		.amdhsa_private_segment_fixed_size 0
		.amdhsa_kernarg_size 108
		.amdhsa_user_sgpr_count 2
		.amdhsa_user_sgpr_dispatch_ptr 0
		.amdhsa_user_sgpr_queue_ptr 0
		.amdhsa_user_sgpr_kernarg_segment_ptr 1
		.amdhsa_user_sgpr_dispatch_id 0
		.amdhsa_user_sgpr_kernarg_preload_length 0
		.amdhsa_user_sgpr_kernarg_preload_offset 0
		.amdhsa_user_sgpr_private_segment_size 0
		.amdhsa_uses_dynamic_stack 0
		.amdhsa_enable_private_segment 0
		.amdhsa_system_sgpr_workgroup_id_x 1
		.amdhsa_system_sgpr_workgroup_id_y 1
		.amdhsa_system_sgpr_workgroup_id_z 1
		.amdhsa_system_sgpr_workgroup_info 0
		.amdhsa_system_vgpr_workitem_id 1
		.amdhsa_next_free_vgpr 66
		.amdhsa_next_free_sgpr 44
		.amdhsa_accum_offset 68
		.amdhsa_reserve_vcc 1
		.amdhsa_float_round_mode_32 0
		.amdhsa_float_round_mode_16_64 0
		.amdhsa_float_denorm_mode_32 3
		.amdhsa_float_denorm_mode_16_64 3
		.amdhsa_dx10_clamp 1
		.amdhsa_ieee_mode 1
		.amdhsa_fp16_overflow 0
		.amdhsa_tg_split 0
		.amdhsa_exception_fp_ieee_invalid_op 0
		.amdhsa_exception_fp_denorm_src 0
		.amdhsa_exception_fp_ieee_div_zero 0
		.amdhsa_exception_fp_ieee_overflow 0
		.amdhsa_exception_fp_ieee_underflow 0
		.amdhsa_exception_fp_ieee_inexact 0
		.amdhsa_exception_int_div_zero 0
	.end_amdhsa_kernel
	.section	.text._ZL29rocblas_internal_gemmt_kernelIlLi16ELi32ELi8ELc78ELc78ELc76ELb0ELb0E19rocblas_complex_numIdEPKS1_PKS3_PKPS1_EviT_T9_T10_S9_lSB_S9_lSA_T11_S9_li,"axG",@progbits,_ZL29rocblas_internal_gemmt_kernelIlLi16ELi32ELi8ELc78ELc78ELc76ELb0ELb0E19rocblas_complex_numIdEPKS1_PKS3_PKPS1_EviT_T9_T10_S9_lSB_S9_lSA_T11_S9_li,comdat
.Lfunc_end549:
	.size	_ZL29rocblas_internal_gemmt_kernelIlLi16ELi32ELi8ELc78ELc78ELc76ELb0ELb0E19rocblas_complex_numIdEPKS1_PKS3_PKPS1_EviT_T9_T10_S9_lSB_S9_lSA_T11_S9_li, .Lfunc_end549-_ZL29rocblas_internal_gemmt_kernelIlLi16ELi32ELi8ELc78ELc78ELc76ELb0ELb0E19rocblas_complex_numIdEPKS1_PKS3_PKPS1_EviT_T9_T10_S9_lSB_S9_lSA_T11_S9_li
                                        ; -- End function
	.set _ZL29rocblas_internal_gemmt_kernelIlLi16ELi32ELi8ELc78ELc78ELc76ELb0ELb0E19rocblas_complex_numIdEPKS1_PKS3_PKPS1_EviT_T9_T10_S9_lSB_S9_lSA_T11_S9_li.num_vgpr, 66
	.set _ZL29rocblas_internal_gemmt_kernelIlLi16ELi32ELi8ELc78ELc78ELc76ELb0ELb0E19rocblas_complex_numIdEPKS1_PKS3_PKPS1_EviT_T9_T10_S9_lSB_S9_lSA_T11_S9_li.num_agpr, 0
	.set _ZL29rocblas_internal_gemmt_kernelIlLi16ELi32ELi8ELc78ELc78ELc76ELb0ELb0E19rocblas_complex_numIdEPKS1_PKS3_PKPS1_EviT_T9_T10_S9_lSB_S9_lSA_T11_S9_li.numbered_sgpr, 44
	.set _ZL29rocblas_internal_gemmt_kernelIlLi16ELi32ELi8ELc78ELc78ELc76ELb0ELb0E19rocblas_complex_numIdEPKS1_PKS3_PKPS1_EviT_T9_T10_S9_lSB_S9_lSA_T11_S9_li.num_named_barrier, 0
	.set _ZL29rocblas_internal_gemmt_kernelIlLi16ELi32ELi8ELc78ELc78ELc76ELb0ELb0E19rocblas_complex_numIdEPKS1_PKS3_PKPS1_EviT_T9_T10_S9_lSB_S9_lSA_T11_S9_li.private_seg_size, 0
	.set _ZL29rocblas_internal_gemmt_kernelIlLi16ELi32ELi8ELc78ELc78ELc76ELb0ELb0E19rocblas_complex_numIdEPKS1_PKS3_PKPS1_EviT_T9_T10_S9_lSB_S9_lSA_T11_S9_li.uses_vcc, 1
	.set _ZL29rocblas_internal_gemmt_kernelIlLi16ELi32ELi8ELc78ELc78ELc76ELb0ELb0E19rocblas_complex_numIdEPKS1_PKS3_PKPS1_EviT_T9_T10_S9_lSB_S9_lSA_T11_S9_li.uses_flat_scratch, 0
	.set _ZL29rocblas_internal_gemmt_kernelIlLi16ELi32ELi8ELc78ELc78ELc76ELb0ELb0E19rocblas_complex_numIdEPKS1_PKS3_PKPS1_EviT_T9_T10_S9_lSB_S9_lSA_T11_S9_li.has_dyn_sized_stack, 0
	.set _ZL29rocblas_internal_gemmt_kernelIlLi16ELi32ELi8ELc78ELc78ELc76ELb0ELb0E19rocblas_complex_numIdEPKS1_PKS3_PKPS1_EviT_T9_T10_S9_lSB_S9_lSA_T11_S9_li.has_recursion, 0
	.set _ZL29rocblas_internal_gemmt_kernelIlLi16ELi32ELi8ELc78ELc78ELc76ELb0ELb0E19rocblas_complex_numIdEPKS1_PKS3_PKPS1_EviT_T9_T10_S9_lSB_S9_lSA_T11_S9_li.has_indirect_call, 0
	.section	.AMDGPU.csdata,"",@progbits
; Kernel info:
; codeLenInByte = 3248
; TotalNumSgprs: 50
; NumVgprs: 66
; NumAgprs: 0
; TotalNumVgprs: 66
; ScratchSize: 0
; MemoryBound: 0
; FloatMode: 240
; IeeeMode: 1
; LDSByteSize: 8192 bytes/workgroup (compile time only)
; SGPRBlocks: 6
; VGPRBlocks: 8
; NumSGPRsForWavesPerEU: 50
; NumVGPRsForWavesPerEU: 66
; AccumOffset: 68
; Occupancy: 7
; WaveLimiterHint : 1
; COMPUTE_PGM_RSRC2:SCRATCH_EN: 0
; COMPUTE_PGM_RSRC2:USER_SGPR: 2
; COMPUTE_PGM_RSRC2:TRAP_HANDLER: 0
; COMPUTE_PGM_RSRC2:TGID_X_EN: 1
; COMPUTE_PGM_RSRC2:TGID_Y_EN: 1
; COMPUTE_PGM_RSRC2:TGID_Z_EN: 1
; COMPUTE_PGM_RSRC2:TIDIG_COMP_CNT: 1
; COMPUTE_PGM_RSRC3_GFX90A:ACCUM_OFFSET: 16
; COMPUTE_PGM_RSRC3_GFX90A:TG_SPLIT: 0
	.section	.text._ZL29rocblas_internal_gemmt_kernelIlLi16ELi32ELi8ELc78ELc84ELc76ELb0ELb0E19rocblas_complex_numIdEPKS1_PKS3_PKPS1_EviT_T9_T10_S9_lSB_S9_lSA_T11_S9_li,"axG",@progbits,_ZL29rocblas_internal_gemmt_kernelIlLi16ELi32ELi8ELc78ELc84ELc76ELb0ELb0E19rocblas_complex_numIdEPKS1_PKS3_PKPS1_EviT_T9_T10_S9_lSB_S9_lSA_T11_S9_li,comdat
	.globl	_ZL29rocblas_internal_gemmt_kernelIlLi16ELi32ELi8ELc78ELc84ELc76ELb0ELb0E19rocblas_complex_numIdEPKS1_PKS3_PKPS1_EviT_T9_T10_S9_lSB_S9_lSA_T11_S9_li ; -- Begin function _ZL29rocblas_internal_gemmt_kernelIlLi16ELi32ELi8ELc78ELc84ELc76ELb0ELb0E19rocblas_complex_numIdEPKS1_PKS3_PKPS1_EviT_T9_T10_S9_lSB_S9_lSA_T11_S9_li
	.p2align	8
	.type	_ZL29rocblas_internal_gemmt_kernelIlLi16ELi32ELi8ELc78ELc84ELc76ELb0ELb0E19rocblas_complex_numIdEPKS1_PKS3_PKPS1_EviT_T9_T10_S9_lSB_S9_lSA_T11_S9_li,@function
_ZL29rocblas_internal_gemmt_kernelIlLi16ELi32ELi8ELc78ELc84ELc76ELb0ELb0E19rocblas_complex_numIdEPKS1_PKS3_PKPS1_EviT_T9_T10_S9_lSB_S9_lSA_T11_S9_li: ; @_ZL29rocblas_internal_gemmt_kernelIlLi16ELi32ELi8ELc78ELc84ELc76ELb0ELb0E19rocblas_complex_numIdEPKS1_PKS3_PKPS1_EviT_T9_T10_S9_lSB_S9_lSA_T11_S9_li
; %bb.0:
	s_load_dwordx8 s[24:31], s[0:1], 0x48
	s_load_dwordx16 s[8:23], s[0:1], 0x8
	s_waitcnt lgkmcnt(0)
	s_load_dwordx4 s[36:39], s[24:25], 0x0
	s_load_dwordx4 s[40:43], s[10:11], 0x0
	s_mov_b64 s[24:25], 0
	s_waitcnt lgkmcnt(0)
	v_cmp_eq_f64_e64 s[10:11], s[36:37], 1.0
	v_cmp_eq_f64_e64 s[6:7], s[38:39], 0
	s_and_b64 s[10:11], s[10:11], s[6:7]
	s_andn2_b64 vcc, exec, s[10:11]
	s_mov_b64 s[10:11], -1
	s_cbranch_vccnz .LBB550_4
; %bb.1:
	s_cmp_lg_u64 s[8:9], 0
	s_cbranch_scc0 .LBB550_3
; %bb.2:
	v_cmp_neq_f64_e64 s[10:11], s[40:41], 0
	v_cmp_neq_f64_e64 s[24:25], s[42:43], 0
	s_or_b64 s[24:25], s[10:11], s[24:25]
.LBB550_3:
	s_mov_b64 s[10:11], s[24:25]
.LBB550_4:
	s_and_b64 vcc, exec, s[10:11]
	s_cbranch_vccz .LBB550_34
; %bb.5:
	s_mov_b32 s5, 0
	s_load_dword s24, s[0:1], 0x0
	s_lshl_b64 s[0:1], s[4:5], 3
	s_add_u32 s4, s26, s0
	s_addc_u32 s5, s27, s1
	s_load_dwordx2 s[4:5], s[4:5], 0x0
	s_lshl_b32 s25, s2, 5
	s_lshl_b32 s26, s3, 5
	v_cmp_eq_f64_e64 s[2:3], s[40:41], 0
	v_cmp_eq_f64_e64 s[10:11], s[42:43], 0
	s_and_b64 s[2:3], s[2:3], s[10:11]
	v_cmp_lt_i64_e64 s[10:11], s[8:9], 1
	s_or_b64 s[2:3], s[2:3], s[10:11]
	v_and_b32_e32 v1, 0x3ff, v0
	v_bfe_u32 v3, v0, 10, 10
	v_mov_b64_e32 v[24:25], 0
	s_and_b64 vcc, exec, s[2:3]
	v_mov_b64_e32 v[26:27], 0
	v_mov_b64_e32 v[20:21], 0
	;; [unrolled: 1-line block ×7, first 2 shown]
	s_cbranch_vccnz .LBB550_18
; %bb.6:
	s_add_u32 s2, s18, s0
	s_addc_u32 s3, s19, s1
	s_load_dwordx2 s[2:3], s[2:3], 0x0
	s_lshl_b64 s[10:11], s[22:23], 4
	v_lshl_add_u32 v4, v3, 4, v1
	v_and_b32_e32 v0, 7, v1
	v_lshrrev_b32_e32 v7, 3, v4
	s_waitcnt lgkmcnt(0)
	s_add_u32 s10, s2, s10
	s_addc_u32 s11, s3, s11
	s_add_u32 s0, s12, s0
	s_addc_u32 s1, s13, s1
	s_load_dwordx2 s[0:1], s[0:1], 0x0
	v_and_b32_e32 v5, 31, v4
	s_lshl_b64 s[2:3], s[16:17], 4
	v_lshlrev_b32_e32 v8, 4, v0
	v_lshrrev_b32_e32 v2, 5, v4
	v_add_u32_e32 v6, s26, v7
	v_or_b32_e32 v4, s25, v5
	s_waitcnt lgkmcnt(0)
	s_add_u32 s12, s0, s2
	v_lshlrev_b32_e32 v5, 4, v5
	v_lshl_or_b32 v7, v7, 7, v8
	s_addc_u32 s13, s1, s3
	v_lshl_or_b32 v28, v2, 9, v5
	v_ashrrev_i32_e32 v5, 31, v4
	v_cmp_gt_i32_e32 vcc, s24, v6
	v_add_u32_e32 v29, 0x1000, v7
	v_ashrrev_i32_e32 v7, 31, v6
	v_mov_b32_e32 v8, 0x1000
	v_mov_b32_e32 v9, 0
	v_cmp_gt_i32_e64 s[0:1], s24, v4
	v_cmp_le_i32_e64 s[2:3], s24, v4
	v_lshl_add_u64 v[4:5], v[4:5], 4, s[12:13]
	v_lshl_add_u64 v[6:7], v[6:7], 4, s[10:11]
	v_lshlrev_b32_e32 v30, 4, v1
	v_lshl_add_u32 v31, v3, 7, v8
	v_mov_b64_e32 v[12:13], 0
	s_mov_b64 s[10:11], 0
	s_xor_b64 s[12:13], vcc, -1
	v_mov_b32_e32 v32, v9
	v_mov_b32_e32 v33, v9
	;; [unrolled: 1-line block ×4, first 2 shown]
	v_mov_b64_e32 v[14:15], 0
	v_mov_b64_e32 v[18:19], 0
	;; [unrolled: 1-line block ×7, first 2 shown]
                                        ; implicit-def: $vgpr10_vgpr11
	s_branch .LBB550_8
.LBB550_7:                              ;   in Loop: Header=BB550_8 Depth=1
	s_or_b64 exec, exec, s[16:17]
	s_waitcnt lgkmcnt(0)
	s_barrier
	ds_read_b128 v[36:39], v30
	ds_read_b128 v[40:43], v31
	ds_read_b128 v[44:47], v31 offset:16
	ds_read_b128 v[48:51], v31 offset:32
	;; [unrolled: 1-line block ×4, first 2 shown]
	s_waitcnt lgkmcnt(4)
	v_mul_f64 v[60:61], v[42:43], v[38:39]
	v_fma_f64 v[60:61], v[40:41], v[36:37], -v[60:61]
	v_mul_f64 v[62:63], v[40:41], v[38:39]
	v_fmac_f64_e32 v[62:63], v[42:43], v[36:37]
	v_add_f64 v[60:61], v[24:25], v[60:61]
	s_waitcnt lgkmcnt(0)
	v_mul_f64 v[24:25], v[42:43], v[58:59]
	v_add_f64 v[62:63], v[62:63], v[26:27]
	v_fma_f64 v[64:65], v[40:41], v[56:57], -v[24:25]
	ds_read_b128 v[24:27], v31 offset:2048
	v_mul_f64 v[40:41], v[40:41], v[58:59]
	v_fmac_f64_e32 v[40:41], v[42:43], v[56:57]
	v_add_f64 v[42:43], v[20:21], v[64:65]
	v_add_f64 v[40:41], v[40:41], v[22:23]
	ds_read_b128 v[20:23], v31 offset:2064
	s_waitcnt lgkmcnt(1)
	v_mul_f64 v[64:65], v[26:27], v[38:39]
	v_fma_f64 v[64:65], v[24:25], v[36:37], -v[64:65]
	v_mul_f64 v[38:39], v[24:25], v[38:39]
	v_fmac_f64_e32 v[38:39], v[26:27], v[36:37]
	v_add_f64 v[36:37], v[16:17], v[64:65]
	v_mul_f64 v[16:17], v[26:27], v[58:59]
	v_add_f64 v[38:39], v[38:39], v[18:19]
	v_fma_f64 v[64:65], v[24:25], v[56:57], -v[16:17]
	v_mul_f64 v[24:25], v[24:25], v[58:59]
	ds_read_b128 v[16:19], v30 offset:512
	v_fmac_f64_e32 v[24:25], v[26:27], v[56:57]
	v_add_f64 v[26:27], v[14:15], v[64:65]
	v_add_f64 v[24:25], v[24:25], v[12:13]
	ds_read_b128 v[12:15], v30 offset:768
	s_waitcnt lgkmcnt(1)
	v_mul_f64 v[56:57], v[46:47], v[18:19]
	v_fma_f64 v[56:57], v[44:45], v[16:17], -v[56:57]
	v_add_f64 v[56:57], v[60:61], v[56:57]
	v_mul_f64 v[58:59], v[44:45], v[18:19]
	s_waitcnt lgkmcnt(0)
	v_mul_f64 v[60:61], v[46:47], v[14:15]
	v_fma_f64 v[60:61], v[44:45], v[12:13], -v[60:61]
	v_mul_f64 v[44:45], v[44:45], v[14:15]
	v_fmac_f64_e32 v[44:45], v[46:47], v[12:13]
	v_add_f64 v[40:41], v[44:45], v[40:41]
	v_mul_f64 v[44:45], v[22:23], v[18:19]
	v_mul_f64 v[18:19], v[20:21], v[18:19]
	v_fmac_f64_e32 v[58:59], v[46:47], v[16:17]
	v_fma_f64 v[44:45], v[20:21], v[16:17], -v[44:45]
	v_fmac_f64_e32 v[18:19], v[22:23], v[16:17]
	v_mul_f64 v[16:17], v[22:23], v[14:15]
	v_add_f64 v[46:47], v[18:19], v[38:39]
	v_fma_f64 v[18:19], v[20:21], v[12:13], -v[16:17]
	v_mul_f64 v[20:21], v[20:21], v[14:15]
	ds_read_b128 v[14:17], v30 offset:1024
	v_fmac_f64_e32 v[20:21], v[22:23], v[12:13]
	v_add_f64 v[42:43], v[42:43], v[60:61]
	v_add_f64 v[26:27], v[26:27], v[18:19]
	;; [unrolled: 1-line block ×3, first 2 shown]
	ds_read_b128 v[18:21], v30 offset:1280
	s_waitcnt lgkmcnt(1)
	v_mul_f64 v[22:23], v[48:49], v[16:17]
	v_add_f64 v[58:59], v[58:59], v[62:63]
	v_fmac_f64_e32 v[22:23], v[50:51], v[14:15]
	v_add_f64 v[58:59], v[22:23], v[58:59]
	ds_read_b128 v[22:25], v31 offset:2080
	v_mul_f64 v[12:13], v[50:51], v[16:17]
	v_fma_f64 v[12:13], v[48:49], v[14:15], -v[12:13]
	v_add_f64 v[44:45], v[36:37], v[44:45]
	v_add_f64 v[56:57], v[56:57], v[12:13]
	s_waitcnt lgkmcnt(1)
	v_mul_f64 v[12:13], v[50:51], v[20:21]
	v_mul_f64 v[36:37], v[48:49], v[20:21]
	v_fma_f64 v[12:13], v[48:49], v[18:19], -v[12:13]
	v_fmac_f64_e32 v[36:37], v[50:51], v[18:19]
	v_add_f64 v[42:43], v[42:43], v[12:13]
	v_add_f64 v[40:41], v[36:37], v[40:41]
	ds_read_b128 v[36:39], v31 offset:2096
	s_waitcnt lgkmcnt(1)
	v_mul_f64 v[12:13], v[24:25], v[16:17]
	v_fma_f64 v[12:13], v[22:23], v[14:15], -v[12:13]
	v_mul_f64 v[16:17], v[22:23], v[16:17]
	v_fmac_f64_e32 v[16:17], v[24:25], v[14:15]
	v_add_f64 v[44:45], v[44:45], v[12:13]
	v_mul_f64 v[12:13], v[24:25], v[20:21]
	v_add_f64 v[46:47], v[16:17], v[46:47]
	v_fma_f64 v[16:17], v[22:23], v[18:19], -v[12:13]
	ds_read_b128 v[12:15], v30 offset:1536
	v_mul_f64 v[20:21], v[22:23], v[20:21]
	v_fmac_f64_e32 v[20:21], v[24:25], v[18:19]
	v_add_f64 v[22:23], v[26:27], v[16:17]
	ds_read_b128 v[16:19], v30 offset:1792
	s_waitcnt lgkmcnt(1)
	v_mul_f64 v[24:25], v[54:55], v[14:15]
	v_fma_f64 v[24:25], v[52:53], v[12:13], -v[24:25]
	v_mul_f64 v[26:27], v[52:53], v[14:15]
	v_fmac_f64_e32 v[26:27], v[54:55], v[12:13]
	v_add_f64 v[48:49], v[56:57], v[24:25]
	s_waitcnt lgkmcnt(0)
	v_mul_f64 v[24:25], v[54:55], v[18:19]
	v_add_f64 v[50:51], v[26:27], v[58:59]
	v_fma_f64 v[24:25], v[52:53], v[16:17], -v[24:25]
	v_mul_f64 v[26:27], v[52:53], v[18:19]
	v_fmac_f64_e32 v[26:27], v[54:55], v[16:17]
	v_add_f64 v[42:43], v[42:43], v[24:25]
	v_mul_f64 v[24:25], v[38:39], v[14:15]
	v_mul_f64 v[14:15], v[36:37], v[14:15]
	v_add_f64 v[40:41], v[26:27], v[40:41]
	v_fma_f64 v[24:25], v[36:37], v[12:13], -v[24:25]
	v_fmac_f64_e32 v[14:15], v[38:39], v[12:13]
	v_mul_f64 v[12:13], v[38:39], v[18:19]
	v_mul_f64 v[26:27], v[36:37], v[18:19]
	v_add_f64 v[44:45], v[44:45], v[24:25]
	v_add_f64 v[46:47], v[14:15], v[46:47]
	v_fma_f64 v[24:25], v[36:37], v[16:17], -v[12:13]
	v_fmac_f64_e32 v[26:27], v[38:39], v[16:17]
	ds_read_b128 v[12:15], v31 offset:64
	ds_read_b128 v[16:19], v30 offset:2048
	v_add_f64 v[20:21], v[20:21], v[60:61]
	v_add_f64 v[52:53], v[22:23], v[24:25]
	;; [unrolled: 1-line block ×3, first 2 shown]
	ds_read_b128 v[20:23], v30 offset:2304
	ds_read_b128 v[24:27], v31 offset:80
	s_waitcnt lgkmcnt(2)
	v_mul_f64 v[36:37], v[14:15], v[18:19]
	v_fma_f64 v[36:37], v[12:13], v[16:17], -v[36:37]
	v_mul_f64 v[38:39], v[12:13], v[18:19]
	v_fmac_f64_e32 v[38:39], v[14:15], v[16:17]
	v_add_f64 v[48:49], v[48:49], v[36:37]
	s_waitcnt lgkmcnt(1)
	v_mul_f64 v[36:37], v[14:15], v[22:23]
	v_add_f64 v[50:51], v[38:39], v[50:51]
	v_fma_f64 v[56:57], v[12:13], v[20:21], -v[36:37]
	ds_read_b128 v[36:39], v31 offset:2112
	v_mul_f64 v[12:13], v[12:13], v[22:23]
	v_fmac_f64_e32 v[12:13], v[14:15], v[20:21]
	v_add_f64 v[42:43], v[42:43], v[56:57]
	v_add_f64 v[40:41], v[12:13], v[40:41]
	ds_read_b128 v[12:15], v31 offset:2128
	s_waitcnt lgkmcnt(1)
	v_mul_f64 v[56:57], v[38:39], v[18:19]
	v_mul_f64 v[18:19], v[36:37], v[18:19]
	v_fma_f64 v[56:57], v[36:37], v[16:17], -v[56:57]
	v_fmac_f64_e32 v[18:19], v[38:39], v[16:17]
	v_mul_f64 v[16:17], v[38:39], v[22:23]
	v_add_f64 v[44:45], v[44:45], v[56:57]
	v_add_f64 v[46:47], v[18:19], v[46:47]
	v_fma_f64 v[56:57], v[36:37], v[20:21], -v[16:17]
	v_mul_f64 v[22:23], v[36:37], v[22:23]
	ds_read_b128 v[16:19], v30 offset:2560
	v_fmac_f64_e32 v[22:23], v[38:39], v[20:21]
	v_add_f64 v[38:39], v[22:23], v[54:55]
	ds_read_b128 v[20:23], v30 offset:2816
	v_add_f64 v[36:37], v[52:53], v[56:57]
	s_waitcnt lgkmcnt(1)
	v_mul_f64 v[52:53], v[26:27], v[18:19]
	v_fma_f64 v[52:53], v[24:25], v[16:17], -v[52:53]
	v_add_f64 v[48:49], v[48:49], v[52:53]
	s_waitcnt lgkmcnt(0)
	v_mul_f64 v[52:53], v[26:27], v[22:23]
	v_mul_f64 v[54:55], v[24:25], v[18:19]
	v_fma_f64 v[52:53], v[24:25], v[20:21], -v[52:53]
	v_mul_f64 v[24:25], v[24:25], v[22:23]
	v_fmac_f64_e32 v[24:25], v[26:27], v[20:21]
	v_add_f64 v[40:41], v[24:25], v[40:41]
	v_mul_f64 v[24:25], v[14:15], v[18:19]
	v_mul_f64 v[18:19], v[12:13], v[18:19]
	v_fmac_f64_e32 v[54:55], v[26:27], v[16:17]
	v_fma_f64 v[24:25], v[12:13], v[16:17], -v[24:25]
	v_fmac_f64_e32 v[18:19], v[14:15], v[16:17]
	v_mul_f64 v[16:17], v[14:15], v[22:23]
	v_mul_f64 v[22:23], v[12:13], v[22:23]
	v_add_f64 v[44:45], v[44:45], v[24:25]
	v_add_f64 v[46:47], v[18:19], v[46:47]
	v_fma_f64 v[24:25], v[12:13], v[20:21], -v[16:17]
	v_fmac_f64_e32 v[22:23], v[14:15], v[20:21]
	ds_read_b128 v[12:15], v31 offset:96
	ds_read_b128 v[16:19], v30 offset:3072
	v_add_f64 v[50:51], v[54:55], v[50:51]
	v_add_f64 v[42:43], v[42:43], v[52:53]
	;; [unrolled: 1-line block ×4, first 2 shown]
	ds_read_b128 v[20:23], v30 offset:3328
	ds_read_b128 v[36:39], v31 offset:112
	s_waitcnt lgkmcnt(2)
	v_mul_f64 v[24:25], v[14:15], v[18:19]
	v_fma_f64 v[24:25], v[12:13], v[16:17], -v[24:25]
	v_mul_f64 v[26:27], v[12:13], v[18:19]
	v_fmac_f64_e32 v[26:27], v[14:15], v[16:17]
	v_add_f64 v[48:49], v[48:49], v[24:25]
	s_waitcnt lgkmcnt(1)
	v_mul_f64 v[24:25], v[14:15], v[22:23]
	v_add_f64 v[50:51], v[26:27], v[50:51]
	v_fma_f64 v[56:57], v[12:13], v[20:21], -v[24:25]
	ds_read_b128 v[24:27], v31 offset:2144
	v_mul_f64 v[12:13], v[12:13], v[22:23]
	v_fmac_f64_e32 v[12:13], v[14:15], v[20:21]
	v_add_f64 v[58:59], v[12:13], v[40:41]
	ds_read_b128 v[12:15], v31 offset:2160
	s_waitcnt lgkmcnt(1)
	v_mul_f64 v[40:41], v[26:27], v[18:19]
	v_mul_f64 v[18:19], v[24:25], v[18:19]
	v_fma_f64 v[40:41], v[24:25], v[16:17], -v[40:41]
	v_fmac_f64_e32 v[18:19], v[26:27], v[16:17]
	v_mul_f64 v[16:17], v[26:27], v[22:23]
	v_add_f64 v[44:45], v[44:45], v[40:41]
	v_add_f64 v[46:47], v[18:19], v[46:47]
	v_fma_f64 v[40:41], v[24:25], v[20:21], -v[16:17]
	ds_read_b128 v[16:19], v30 offset:3584
	v_add_f64 v[56:57], v[42:43], v[56:57]
	v_add_f64 v[52:53], v[52:53], v[40:41]
	ds_read_b128 v[40:43], v30 offset:3840
	v_mul_f64 v[22:23], v[24:25], v[22:23]
	v_fmac_f64_e32 v[22:23], v[26:27], v[20:21]
	s_waitcnt lgkmcnt(1)
	v_mul_f64 v[20:21], v[38:39], v[18:19]
	v_add_f64 v[54:55], v[22:23], v[54:55]
	v_fma_f64 v[20:21], v[36:37], v[16:17], -v[20:21]
	v_mul_f64 v[22:23], v[36:37], v[18:19]
	v_fmac_f64_e32 v[22:23], v[38:39], v[16:17]
	v_add_f64 v[24:25], v[48:49], v[20:21]
	s_waitcnt lgkmcnt(0)
	v_mul_f64 v[20:21], v[38:39], v[42:43]
	v_add_f64 v[26:27], v[22:23], v[50:51]
	v_fma_f64 v[20:21], v[36:37], v[40:41], -v[20:21]
	v_mul_f64 v[22:23], v[36:37], v[42:43]
	v_mul_f64 v[36:37], v[14:15], v[18:19]
	v_fma_f64 v[36:37], v[12:13], v[16:17], -v[36:37]
	v_mul_f64 v[18:19], v[12:13], v[18:19]
	v_fmac_f64_e32 v[18:19], v[14:15], v[16:17]
	v_add_f64 v[16:17], v[44:45], v[36:37]
	v_mul_f64 v[36:37], v[14:15], v[42:43]
	s_add_u32 s10, s10, 8
	v_fma_f64 v[36:37], v[12:13], v[40:41], -v[36:37]
	v_mul_f64 v[12:13], v[12:13], v[42:43]
	s_addc_u32 s11, s11, 0
	v_fmac_f64_e32 v[12:13], v[14:15], v[40:41]
	v_add_f64 v[14:15], v[52:53], v[36:37]
	v_mov_b64_e32 v[36:37], s[10:11]
	v_fmac_f64_e32 v[22:23], v[38:39], v[40:41]
	v_cmp_gt_i64_e32 vcc, s[8:9], v[36:37]
	v_add_f64 v[20:21], v[56:57], v[20:21]
	v_add_f64 v[22:23], v[22:23], v[58:59]
	;; [unrolled: 1-line block ×4, first 2 shown]
	s_barrier
	s_cbranch_vccz .LBB550_18
.LBB550_8:                              ; =>This Inner Loop Header: Depth=1
	s_mov_b64 s[22:23], s[2:3]
	s_mov_b64 s[16:17], 0
	s_and_saveexec_b64 s[18:19], s[0:1]
	s_cbranch_execnz .LBB550_16
; %bb.9:                                ;   in Loop: Header=BB550_8 Depth=1
	s_or_b64 exec, exec, s[18:19]
	s_and_saveexec_b64 s[18:19], s[22:23]
	s_xor_b64 s[18:19], exec, s[18:19]
	s_cbranch_execnz .LBB550_17
.LBB550_10:                             ;   in Loop: Header=BB550_8 Depth=1
	s_or_b64 exec, exec, s[18:19]
	s_and_saveexec_b64 s[18:19], s[16:17]
	s_cbranch_execz .LBB550_12
.LBB550_11:                             ;   in Loop: Header=BB550_8 Depth=1
	v_mul_lo_u32 v8, s15, v10
	v_mul_lo_u32 v38, s14, v11
	v_mad_u64_u32 v[36:37], s[16:17], s14, v10, 0
	v_add3_u32 v37, v37, v38, v8
	v_lshl_add_u64 v[36:37], v[36:37], 4, v[4:5]
	flat_load_dwordx4 v[36:39], v[36:37]
	s_waitcnt vmcnt(0) lgkmcnt(0)
	ds_write2_b64 v28, v[36:37], v[38:39] offset1:1
.LBB550_12:                             ;   in Loop: Header=BB550_8 Depth=1
	s_or_b64 exec, exec, s[18:19]
	v_add_u32_e32 v8, s10, v0
	v_cmp_le_u64_e32 vcc, s[8:9], v[8:9]
	s_or_b64 s[16:17], vcc, s[12:13]
	s_and_saveexec_b64 s[18:19], s[16:17]
	s_xor_b64 s[16:17], exec, s[18:19]
; %bb.13:                               ;   in Loop: Header=BB550_8 Depth=1
	ds_write_b128 v29, v[32:35]
; %bb.14:                               ;   in Loop: Header=BB550_8 Depth=1
	s_andn2_saveexec_b64 s[16:17], s[16:17]
	s_cbranch_execz .LBB550_7
; %bb.15:                               ;   in Loop: Header=BB550_8 Depth=1
	v_mad_u64_u32 v[36:37], s[18:19], s20, v8, 0
	v_mov_b32_e32 v38, v37
	v_mad_u64_u32 v[38:39], s[18:19], s21, v8, v[38:39]
	v_mov_b32_e32 v37, v38
	v_lshl_add_u64 v[36:37], v[36:37], 4, v[6:7]
	flat_load_dwordx4 v[36:39], v[36:37]
	s_waitcnt vmcnt(0) lgkmcnt(0)
	ds_write2_b64 v29, v[36:37], v[38:39] offset1:1
	s_branch .LBB550_7
.LBB550_16:                             ;   in Loop: Header=BB550_8 Depth=1
	v_add_u32_e32 v8, s10, v2
	v_cmp_le_u64_e32 vcc, s[8:9], v[8:9]
	s_andn2_b64 s[22:23], s[2:3], exec
	s_and_b64 s[34:35], vcc, exec
	s_mov_b64 s[16:17], exec
	s_or_b64 s[22:23], s[22:23], s[34:35]
	v_mov_b64_e32 v[10:11], v[8:9]
	s_or_b64 exec, exec, s[18:19]
	s_and_saveexec_b64 s[18:19], s[22:23]
	s_xor_b64 s[18:19], exec, s[18:19]
	s_cbranch_execz .LBB550_10
.LBB550_17:                             ;   in Loop: Header=BB550_8 Depth=1
	ds_write_b128 v28, v[32:35]
	s_andn2_b64 s[16:17], s[16:17], exec
	s_or_b64 exec, exec, s[18:19]
	s_and_saveexec_b64 s[18:19], s[16:17]
	s_cbranch_execnz .LBB550_11
	s_branch .LBB550_12
.LBB550_18:
	s_lshl_b64 s[0:1], s[30:31], 4
	v_add_u32_e32 v10, s26, v3
	s_waitcnt lgkmcnt(0)
	s_add_u32 s8, s4, s0
	v_ashrrev_i32_e32 v0, 31, v10
	s_addc_u32 s9, s5, s1
	v_add_u32_e32 v4, s25, v1
	v_cmp_neq_f64_e64 s[0:1], s[36:37], 0
	s_xor_b64 s[4:5], s[6:7], -1
	v_mul_lo_u32 v2, s28, v0
	v_mul_lo_u32 v3, s29, v10
	v_mad_u64_u32 v[0:1], s[2:3], s28, v10, 0
	v_add3_u32 v1, v1, v2, v3
	s_or_b64 s[0:1], s[0:1], s[4:5]
	v_lshl_add_u64 v[8:9], v[0:1], 4, s[8:9]
	v_cmp_le_i32_e32 vcc, v10, v4
	v_cmp_gt_i32_e64 s[2:3], s24, v4
	v_cndmask_b32_e64 v0, 0, 1, s[0:1]
	s_and_b64 s[6:7], vcc, s[2:3]
	v_ashrrev_i32_e32 v5, 31, v4
	v_cmp_ne_u32_e64 s[0:1], 1, v0
	s_and_saveexec_b64 s[4:5], s[6:7]
	s_cbranch_execz .LBB550_22
; %bb.19:
	v_mul_f64 v[0:1], s[42:43], v[26:27]
	v_mul_f64 v[2:3], s[40:41], v[26:27]
	v_fma_f64 v[0:1], s[40:41], v[24:25], -v[0:1]
	v_fmac_f64_e32 v[2:3], s[42:43], v[24:25]
	s_and_b64 vcc, exec, s[0:1]
	v_lshl_add_u64 v[6:7], v[4:5], 4, v[8:9]
	s_cbranch_vccnz .LBB550_21
; %bb.20:
	flat_load_dwordx4 v[24:27], v[6:7]
	s_waitcnt vmcnt(0) lgkmcnt(0)
	v_mul_f64 v[28:29], s[38:39], v[26:27]
	v_mul_f64 v[26:27], s[36:37], v[26:27]
	v_fma_f64 v[28:29], s[36:37], v[24:25], -v[28:29]
	v_fmac_f64_e32 v[26:27], s[38:39], v[24:25]
	v_add_f64 v[0:1], v[0:1], v[28:29]
	v_add_f64 v[2:3], v[2:3], v[26:27]
.LBB550_21:
	flat_store_dwordx4 v[6:7], v[0:3]
.LBB550_22:
	s_or_b64 exec, exec, s[4:5]
	v_add_u32_e32 v6, 16, v4
	v_cmp_le_i32_e32 vcc, v10, v6
	v_cmp_gt_i32_e64 s[4:5], s24, v6
	s_and_b64 s[10:11], vcc, s[4:5]
	v_ashrrev_i32_e32 v7, 31, v6
	s_and_saveexec_b64 s[6:7], s[10:11]
	s_cbranch_execz .LBB550_26
; %bb.23:
	v_mul_f64 v[0:1], s[42:43], v[22:23]
	v_mul_f64 v[2:3], s[40:41], v[22:23]
	v_fma_f64 v[0:1], s[40:41], v[20:21], -v[0:1]
	v_fmac_f64_e32 v[2:3], s[42:43], v[20:21]
	s_and_b64 vcc, exec, s[0:1]
	v_lshl_add_u64 v[8:9], v[6:7], 4, v[8:9]
	s_cbranch_vccnz .LBB550_25
; %bb.24:
	flat_load_dwordx4 v[20:23], v[8:9]
	s_waitcnt vmcnt(0) lgkmcnt(0)
	v_mul_f64 v[24:25], s[38:39], v[22:23]
	v_mul_f64 v[22:23], s[36:37], v[22:23]
	v_fma_f64 v[24:25], s[36:37], v[20:21], -v[24:25]
	v_fmac_f64_e32 v[22:23], s[38:39], v[20:21]
	v_add_f64 v[0:1], v[0:1], v[24:25]
	v_add_f64 v[2:3], v[2:3], v[22:23]
.LBB550_25:
	flat_store_dwordx4 v[8:9], v[0:3]
.LBB550_26:
	s_or_b64 exec, exec, s[6:7]
	v_add_u32_e32 v10, 16, v10
	v_ashrrev_i32_e32 v0, 31, v10
	v_mul_lo_u32 v2, s28, v0
	v_mul_lo_u32 v3, s29, v10
	v_mad_u64_u32 v[0:1], s[6:7], s28, v10, 0
	v_add3_u32 v1, v1, v2, v3
	v_cmp_le_i32_e32 vcc, v10, v4
	v_lshl_add_u64 v[8:9], v[0:1], 4, s[8:9]
	s_and_b64 s[6:7], vcc, s[2:3]
	s_and_saveexec_b64 s[2:3], s[6:7]
	s_cbranch_execz .LBB550_30
; %bb.27:
	v_mul_f64 v[0:1], s[42:43], v[18:19]
	v_mul_f64 v[2:3], s[40:41], v[18:19]
	v_fma_f64 v[0:1], s[40:41], v[16:17], -v[0:1]
	v_fmac_f64_e32 v[2:3], s[42:43], v[16:17]
	s_and_b64 vcc, exec, s[0:1]
	v_lshl_add_u64 v[4:5], v[4:5], 4, v[8:9]
	s_cbranch_vccnz .LBB550_29
; %bb.28:
	flat_load_dwordx4 v[16:19], v[4:5]
	s_waitcnt vmcnt(0) lgkmcnt(0)
	v_mul_f64 v[20:21], s[38:39], v[18:19]
	v_mul_f64 v[18:19], s[36:37], v[18:19]
	v_fma_f64 v[20:21], s[36:37], v[16:17], -v[20:21]
	v_fmac_f64_e32 v[18:19], s[38:39], v[16:17]
	v_add_f64 v[0:1], v[0:1], v[20:21]
	v_add_f64 v[2:3], v[2:3], v[18:19]
.LBB550_29:
	flat_store_dwordx4 v[4:5], v[0:3]
.LBB550_30:
	s_or_b64 exec, exec, s[2:3]
	v_cmp_le_i32_e32 vcc, v10, v6
	s_and_b64 s[2:3], vcc, s[4:5]
	s_and_saveexec_b64 s[4:5], s[2:3]
	s_cbranch_execz .LBB550_34
; %bb.31:
	v_mul_f64 v[0:1], s[42:43], v[12:13]
	v_mul_f64 v[2:3], s[40:41], v[12:13]
	v_fma_f64 v[0:1], s[40:41], v[14:15], -v[0:1]
	v_fmac_f64_e32 v[2:3], s[42:43], v[14:15]
	s_and_b64 vcc, exec, s[0:1]
	v_lshl_add_u64 v[4:5], v[6:7], 4, v[8:9]
	s_cbranch_vccnz .LBB550_33
; %bb.32:
	flat_load_dwordx4 v[6:9], v[4:5]
	s_waitcnt vmcnt(0) lgkmcnt(0)
	v_mul_f64 v[10:11], s[38:39], v[8:9]
	v_mul_f64 v[8:9], s[36:37], v[8:9]
	v_fma_f64 v[10:11], s[36:37], v[6:7], -v[10:11]
	v_fmac_f64_e32 v[8:9], s[38:39], v[6:7]
	v_add_f64 v[0:1], v[0:1], v[10:11]
	v_add_f64 v[2:3], v[2:3], v[8:9]
.LBB550_33:
	flat_store_dwordx4 v[4:5], v[0:3]
.LBB550_34:
	s_endpgm
	.section	.rodata,"a",@progbits
	.p2align	6, 0x0
	.amdhsa_kernel _ZL29rocblas_internal_gemmt_kernelIlLi16ELi32ELi8ELc78ELc84ELc76ELb0ELb0E19rocblas_complex_numIdEPKS1_PKS3_PKPS1_EviT_T9_T10_S9_lSB_S9_lSA_T11_S9_li
		.amdhsa_group_segment_fixed_size 8192
		.amdhsa_private_segment_fixed_size 0
		.amdhsa_kernarg_size 108
		.amdhsa_user_sgpr_count 2
		.amdhsa_user_sgpr_dispatch_ptr 0
		.amdhsa_user_sgpr_queue_ptr 0
		.amdhsa_user_sgpr_kernarg_segment_ptr 1
		.amdhsa_user_sgpr_dispatch_id 0
		.amdhsa_user_sgpr_kernarg_preload_length 0
		.amdhsa_user_sgpr_kernarg_preload_offset 0
		.amdhsa_user_sgpr_private_segment_size 0
		.amdhsa_uses_dynamic_stack 0
		.amdhsa_enable_private_segment 0
		.amdhsa_system_sgpr_workgroup_id_x 1
		.amdhsa_system_sgpr_workgroup_id_y 1
		.amdhsa_system_sgpr_workgroup_id_z 1
		.amdhsa_system_sgpr_workgroup_info 0
		.amdhsa_system_vgpr_workitem_id 1
		.amdhsa_next_free_vgpr 66
		.amdhsa_next_free_sgpr 44
		.amdhsa_accum_offset 68
		.amdhsa_reserve_vcc 1
		.amdhsa_float_round_mode_32 0
		.amdhsa_float_round_mode_16_64 0
		.amdhsa_float_denorm_mode_32 3
		.amdhsa_float_denorm_mode_16_64 3
		.amdhsa_dx10_clamp 1
		.amdhsa_ieee_mode 1
		.amdhsa_fp16_overflow 0
		.amdhsa_tg_split 0
		.amdhsa_exception_fp_ieee_invalid_op 0
		.amdhsa_exception_fp_denorm_src 0
		.amdhsa_exception_fp_ieee_div_zero 0
		.amdhsa_exception_fp_ieee_overflow 0
		.amdhsa_exception_fp_ieee_underflow 0
		.amdhsa_exception_fp_ieee_inexact 0
		.amdhsa_exception_int_div_zero 0
	.end_amdhsa_kernel
	.section	.text._ZL29rocblas_internal_gemmt_kernelIlLi16ELi32ELi8ELc78ELc84ELc76ELb0ELb0E19rocblas_complex_numIdEPKS1_PKS3_PKPS1_EviT_T9_T10_S9_lSB_S9_lSA_T11_S9_li,"axG",@progbits,_ZL29rocblas_internal_gemmt_kernelIlLi16ELi32ELi8ELc78ELc84ELc76ELb0ELb0E19rocblas_complex_numIdEPKS1_PKS3_PKPS1_EviT_T9_T10_S9_lSB_S9_lSA_T11_S9_li,comdat
.Lfunc_end550:
	.size	_ZL29rocblas_internal_gemmt_kernelIlLi16ELi32ELi8ELc78ELc84ELc76ELb0ELb0E19rocblas_complex_numIdEPKS1_PKS3_PKPS1_EviT_T9_T10_S9_lSB_S9_lSA_T11_S9_li, .Lfunc_end550-_ZL29rocblas_internal_gemmt_kernelIlLi16ELi32ELi8ELc78ELc84ELc76ELb0ELb0E19rocblas_complex_numIdEPKS1_PKS3_PKPS1_EviT_T9_T10_S9_lSB_S9_lSA_T11_S9_li
                                        ; -- End function
	.set _ZL29rocblas_internal_gemmt_kernelIlLi16ELi32ELi8ELc78ELc84ELc76ELb0ELb0E19rocblas_complex_numIdEPKS1_PKS3_PKPS1_EviT_T9_T10_S9_lSB_S9_lSA_T11_S9_li.num_vgpr, 66
	.set _ZL29rocblas_internal_gemmt_kernelIlLi16ELi32ELi8ELc78ELc84ELc76ELb0ELb0E19rocblas_complex_numIdEPKS1_PKS3_PKPS1_EviT_T9_T10_S9_lSB_S9_lSA_T11_S9_li.num_agpr, 0
	.set _ZL29rocblas_internal_gemmt_kernelIlLi16ELi32ELi8ELc78ELc84ELc76ELb0ELb0E19rocblas_complex_numIdEPKS1_PKS3_PKPS1_EviT_T9_T10_S9_lSB_S9_lSA_T11_S9_li.numbered_sgpr, 44
	.set _ZL29rocblas_internal_gemmt_kernelIlLi16ELi32ELi8ELc78ELc84ELc76ELb0ELb0E19rocblas_complex_numIdEPKS1_PKS3_PKPS1_EviT_T9_T10_S9_lSB_S9_lSA_T11_S9_li.num_named_barrier, 0
	.set _ZL29rocblas_internal_gemmt_kernelIlLi16ELi32ELi8ELc78ELc84ELc76ELb0ELb0E19rocblas_complex_numIdEPKS1_PKS3_PKPS1_EviT_T9_T10_S9_lSB_S9_lSA_T11_S9_li.private_seg_size, 0
	.set _ZL29rocblas_internal_gemmt_kernelIlLi16ELi32ELi8ELc78ELc84ELc76ELb0ELb0E19rocblas_complex_numIdEPKS1_PKS3_PKPS1_EviT_T9_T10_S9_lSB_S9_lSA_T11_S9_li.uses_vcc, 1
	.set _ZL29rocblas_internal_gemmt_kernelIlLi16ELi32ELi8ELc78ELc84ELc76ELb0ELb0E19rocblas_complex_numIdEPKS1_PKS3_PKPS1_EviT_T9_T10_S9_lSB_S9_lSA_T11_S9_li.uses_flat_scratch, 0
	.set _ZL29rocblas_internal_gemmt_kernelIlLi16ELi32ELi8ELc78ELc84ELc76ELb0ELb0E19rocblas_complex_numIdEPKS1_PKS3_PKPS1_EviT_T9_T10_S9_lSB_S9_lSA_T11_S9_li.has_dyn_sized_stack, 0
	.set _ZL29rocblas_internal_gemmt_kernelIlLi16ELi32ELi8ELc78ELc84ELc76ELb0ELb0E19rocblas_complex_numIdEPKS1_PKS3_PKPS1_EviT_T9_T10_S9_lSB_S9_lSA_T11_S9_li.has_recursion, 0
	.set _ZL29rocblas_internal_gemmt_kernelIlLi16ELi32ELi8ELc78ELc84ELc76ELb0ELb0E19rocblas_complex_numIdEPKS1_PKS3_PKPS1_EviT_T9_T10_S9_lSB_S9_lSA_T11_S9_li.has_indirect_call, 0
	.section	.AMDGPU.csdata,"",@progbits
; Kernel info:
; codeLenInByte = 3240
; TotalNumSgprs: 50
; NumVgprs: 66
; NumAgprs: 0
; TotalNumVgprs: 66
; ScratchSize: 0
; MemoryBound: 0
; FloatMode: 240
; IeeeMode: 1
; LDSByteSize: 8192 bytes/workgroup (compile time only)
; SGPRBlocks: 6
; VGPRBlocks: 8
; NumSGPRsForWavesPerEU: 50
; NumVGPRsForWavesPerEU: 66
; AccumOffset: 68
; Occupancy: 7
; WaveLimiterHint : 1
; COMPUTE_PGM_RSRC2:SCRATCH_EN: 0
; COMPUTE_PGM_RSRC2:USER_SGPR: 2
; COMPUTE_PGM_RSRC2:TRAP_HANDLER: 0
; COMPUTE_PGM_RSRC2:TGID_X_EN: 1
; COMPUTE_PGM_RSRC2:TGID_Y_EN: 1
; COMPUTE_PGM_RSRC2:TGID_Z_EN: 1
; COMPUTE_PGM_RSRC2:TIDIG_COMP_CNT: 1
; COMPUTE_PGM_RSRC3_GFX90A:ACCUM_OFFSET: 16
; COMPUTE_PGM_RSRC3_GFX90A:TG_SPLIT: 0
	.section	.text._ZL29rocblas_internal_gemmt_kernelIlLi16ELi32ELi8ELc78ELc67ELc76ELb0ELb1E19rocblas_complex_numIdEPKS1_PKS3_PKPS1_EviT_T9_T10_S9_lSB_S9_lSA_T11_S9_li,"axG",@progbits,_ZL29rocblas_internal_gemmt_kernelIlLi16ELi32ELi8ELc78ELc67ELc76ELb0ELb1E19rocblas_complex_numIdEPKS1_PKS3_PKPS1_EviT_T9_T10_S9_lSB_S9_lSA_T11_S9_li,comdat
	.globl	_ZL29rocblas_internal_gemmt_kernelIlLi16ELi32ELi8ELc78ELc67ELc76ELb0ELb1E19rocblas_complex_numIdEPKS1_PKS3_PKPS1_EviT_T9_T10_S9_lSB_S9_lSA_T11_S9_li ; -- Begin function _ZL29rocblas_internal_gemmt_kernelIlLi16ELi32ELi8ELc78ELc67ELc76ELb0ELb1E19rocblas_complex_numIdEPKS1_PKS3_PKPS1_EviT_T9_T10_S9_lSB_S9_lSA_T11_S9_li
	.p2align	8
	.type	_ZL29rocblas_internal_gemmt_kernelIlLi16ELi32ELi8ELc78ELc67ELc76ELb0ELb1E19rocblas_complex_numIdEPKS1_PKS3_PKPS1_EviT_T9_T10_S9_lSB_S9_lSA_T11_S9_li,@function
_ZL29rocblas_internal_gemmt_kernelIlLi16ELi32ELi8ELc78ELc67ELc76ELb0ELb1E19rocblas_complex_numIdEPKS1_PKS3_PKPS1_EviT_T9_T10_S9_lSB_S9_lSA_T11_S9_li: ; @_ZL29rocblas_internal_gemmt_kernelIlLi16ELi32ELi8ELc78ELc67ELc76ELb0ELb1E19rocblas_complex_numIdEPKS1_PKS3_PKPS1_EviT_T9_T10_S9_lSB_S9_lSA_T11_S9_li
; %bb.0:
	s_load_dwordx8 s[24:31], s[0:1], 0x48
	s_load_dwordx16 s[8:23], s[0:1], 0x8
	s_waitcnt lgkmcnt(0)
	s_load_dwordx4 s[36:39], s[24:25], 0x0
	s_load_dwordx4 s[40:43], s[10:11], 0x0
	s_mov_b64 s[24:25], 0
	s_waitcnt lgkmcnt(0)
	v_cmp_eq_f64_e64 s[10:11], s[36:37], 1.0
	v_cmp_eq_f64_e64 s[6:7], s[38:39], 0
	s_and_b64 s[10:11], s[10:11], s[6:7]
	s_andn2_b64 vcc, exec, s[10:11]
	s_mov_b64 s[10:11], -1
	s_cbranch_vccnz .LBB551_4
; %bb.1:
	s_cmp_lg_u64 s[8:9], 0
	s_cbranch_scc0 .LBB551_3
; %bb.2:
	v_cmp_neq_f64_e64 s[10:11], s[40:41], 0
	v_cmp_neq_f64_e64 s[24:25], s[42:43], 0
	s_or_b64 s[24:25], s[10:11], s[24:25]
.LBB551_3:
	s_mov_b64 s[10:11], s[24:25]
.LBB551_4:
	s_and_b64 vcc, exec, s[10:11]
	s_cbranch_vccz .LBB551_32
; %bb.5:
	s_mov_b32 s5, 0
	s_load_dword s24, s[0:1], 0x0
	s_lshl_b64 s[0:1], s[4:5], 3
	s_add_u32 s4, s26, s0
	s_addc_u32 s5, s27, s1
	s_load_dwordx2 s[4:5], s[4:5], 0x0
	s_lshl_b32 s25, s2, 5
	s_lshl_b32 s26, s3, 5
	v_cmp_eq_f64_e64 s[2:3], s[40:41], 0
	v_cmp_eq_f64_e64 s[10:11], s[42:43], 0
	s_and_b64 s[2:3], s[2:3], s[10:11]
	v_cmp_lt_i64_e64 s[10:11], s[8:9], 1
	s_or_b64 s[2:3], s[2:3], s[10:11]
	v_and_b32_e32 v5, 0x3ff, v0
	v_bfe_u32 v7, v0, 10, 10
	v_mov_b64_e32 v[28:29], 0
	s_and_b64 vcc, exec, s[2:3]
	v_mov_b64_e32 v[30:31], 0
	v_mov_b64_e32 v[24:25], 0
	;; [unrolled: 1-line block ×7, first 2 shown]
	s_cbranch_vccnz .LBB551_16
; %bb.6:
	s_add_u32 s2, s18, s0
	s_addc_u32 s3, s19, s1
	s_load_dwordx2 s[2:3], s[2:3], 0x0
	s_lshl_b64 s[10:11], s[22:23], 4
	v_lshl_add_u32 v1, v7, 4, v5
	v_lshrrev_b32_e32 v6, 5, v1
	v_lshrrev_b32_e32 v10, 3, v1
	s_waitcnt lgkmcnt(0)
	s_add_u32 s18, s2, s10
	s_addc_u32 s19, s3, s11
	s_add_u32 s0, s12, s0
	s_addc_u32 s1, s13, s1
	s_load_dwordx2 s[0:1], s[0:1], 0x0
	v_and_b32_e32 v1, 31, v1
	v_and_b32_e32 v4, 7, v5
	v_or_b32_e32 v2, s25, v1
	v_lshlrev_b32_e32 v1, 4, v1
	s_lshl_b64 s[2:3], s[16:17], 4
	v_lshl_or_b32 v32, v6, 9, v1
	v_lshlrev_b32_e32 v1, 4, v4
	v_add_u32_e32 v0, s26, v10
	s_waitcnt lgkmcnt(0)
	s_add_u32 s2, s0, s2
	v_lshl_or_b32 v1, v10, 7, v1
	s_addc_u32 s3, s1, s3
	v_ashrrev_i32_e32 v3, 31, v2
	v_add_u32_e32 v33, 0x1000, v1
	v_ashrrev_i32_e32 v1, 31, v0
	v_lshl_add_u64 v[8:9], v[2:3], 4, s[2:3]
	v_cmp_gt_i32_e64 s[2:3], s24, v0
	v_lshl_add_u64 v[10:11], v[0:1], 4, s[18:19]
	v_mov_b32_e32 v0, 0x1000
	v_mov_b32_e32 v13, 0
	v_cmp_gt_i32_e64 s[0:1], s24, v2
	v_cmp_le_i32_e64 s[10:11], s24, v2
	v_lshlrev_b32_e32 v34, 4, v5
	v_lshl_add_u32 v35, v7, 7, v0
	v_mov_b64_e32 v[16:17], 0
	s_mov_b64 s[12:13], 0
	v_mov_b32_e32 v36, v13
	v_mov_b32_e32 v37, v13
	;; [unrolled: 1-line block ×4, first 2 shown]
	v_mov_b64_e32 v[18:19], 0
	v_mov_b64_e32 v[22:23], 0
	v_mov_b64_e32 v[20:21], 0
	v_mov_b64_e32 v[26:27], 0
	v_mov_b64_e32 v[24:25], 0
	v_mov_b64_e32 v[30:31], 0
	v_mov_b64_e32 v[28:29], 0
                                        ; implicit-def: $vgpr14_vgpr15
	s_branch .LBB551_8
.LBB551_7:                              ;   in Loop: Header=BB551_8 Depth=1
	s_or_b64 exec, exec, s[16:17]
	ds_write_b128 v33, v[0:3]
	s_waitcnt lgkmcnt(0)
	s_barrier
	ds_read_b128 v[0:3], v34
	ds_read_b128 v[40:43], v35
	ds_read_b128 v[44:47], v35 offset:16
	ds_read_b128 v[48:51], v35 offset:32
	;; [unrolled: 1-line block ×4, first 2 shown]
	s_waitcnt lgkmcnt(4)
	v_mul_f64 v[60:61], v[42:43], v[2:3]
	v_fma_f64 v[60:61], v[40:41], v[0:1], -v[60:61]
	v_mul_f64 v[62:63], v[40:41], v[2:3]
	v_fmac_f64_e32 v[62:63], v[42:43], v[0:1]
	v_add_f64 v[60:61], v[28:29], v[60:61]
	s_waitcnt lgkmcnt(0)
	v_mul_f64 v[28:29], v[42:43], v[58:59]
	v_add_f64 v[62:63], v[62:63], v[30:31]
	v_fma_f64 v[64:65], v[40:41], v[56:57], -v[28:29]
	ds_read_b128 v[28:31], v35 offset:2048
	v_mul_f64 v[40:41], v[40:41], v[58:59]
	v_fmac_f64_e32 v[40:41], v[42:43], v[56:57]
	v_add_f64 v[42:43], v[24:25], v[64:65]
	v_add_f64 v[40:41], v[40:41], v[26:27]
	ds_read_b128 v[24:27], v35 offset:2064
	s_waitcnt lgkmcnt(1)
	v_mul_f64 v[64:65], v[30:31], v[2:3]
	v_mul_f64 v[2:3], v[28:29], v[2:3]
	v_fma_f64 v[64:65], v[28:29], v[0:1], -v[64:65]
	v_fmac_f64_e32 v[2:3], v[30:31], v[0:1]
	v_mul_f64 v[0:1], v[30:31], v[58:59]
	v_add_f64 v[20:21], v[20:21], v[64:65]
	v_add_f64 v[22:23], v[2:3], v[22:23]
	v_fma_f64 v[64:65], v[28:29], v[56:57], -v[0:1]
	v_mul_f64 v[28:29], v[28:29], v[58:59]
	ds_read_b128 v[0:3], v34 offset:512
	v_fmac_f64_e32 v[28:29], v[30:31], v[56:57]
	v_add_f64 v[30:31], v[18:19], v[64:65]
	v_add_f64 v[28:29], v[28:29], v[16:17]
	ds_read_b128 v[16:19], v34 offset:768
	s_waitcnt lgkmcnt(1)
	v_mul_f64 v[56:57], v[46:47], v[2:3]
	v_fma_f64 v[56:57], v[44:45], v[0:1], -v[56:57]
	v_add_f64 v[56:57], v[60:61], v[56:57]
	v_mul_f64 v[58:59], v[44:45], v[2:3]
	s_waitcnt lgkmcnt(0)
	v_mul_f64 v[60:61], v[46:47], v[18:19]
	v_fma_f64 v[60:61], v[44:45], v[16:17], -v[60:61]
	v_mul_f64 v[44:45], v[44:45], v[18:19]
	v_fmac_f64_e32 v[44:45], v[46:47], v[16:17]
	v_add_f64 v[40:41], v[44:45], v[40:41]
	v_mul_f64 v[44:45], v[26:27], v[2:3]
	v_mul_f64 v[2:3], v[24:25], v[2:3]
	v_fmac_f64_e32 v[58:59], v[46:47], v[0:1]
	v_fma_f64 v[44:45], v[24:25], v[0:1], -v[44:45]
	v_fmac_f64_e32 v[2:3], v[26:27], v[0:1]
	v_mul_f64 v[0:1], v[26:27], v[18:19]
	v_add_f64 v[44:45], v[20:21], v[44:45]
	v_add_f64 v[46:47], v[2:3], v[22:23]
	v_fma_f64 v[20:21], v[24:25], v[16:17], -v[0:1]
	v_mul_f64 v[18:19], v[24:25], v[18:19]
	ds_read_b128 v[0:3], v34 offset:1024
	v_fmac_f64_e32 v[18:19], v[26:27], v[16:17]
	v_add_f64 v[28:29], v[18:19], v[28:29]
	ds_read_b128 v[16:19], v34 offset:1280
	v_add_f64 v[30:31], v[30:31], v[20:21]
	s_waitcnt lgkmcnt(1)
	v_mul_f64 v[20:21], v[50:51], v[2:3]
	v_fma_f64 v[20:21], v[48:49], v[0:1], -v[20:21]
	v_mul_f64 v[22:23], v[48:49], v[2:3]
	v_add_f64 v[58:59], v[58:59], v[62:63]
	v_fmac_f64_e32 v[22:23], v[50:51], v[0:1]
	v_add_f64 v[56:57], v[56:57], v[20:21]
	s_waitcnt lgkmcnt(0)
	v_mul_f64 v[20:21], v[50:51], v[18:19]
	v_add_f64 v[58:59], v[22:23], v[58:59]
	v_fma_f64 v[24:25], v[48:49], v[16:17], -v[20:21]
	ds_read_b128 v[20:23], v35 offset:2080
	v_mul_f64 v[26:27], v[48:49], v[18:19]
	v_add_f64 v[42:43], v[42:43], v[60:61]
	v_fmac_f64_e32 v[26:27], v[50:51], v[16:17]
	v_add_f64 v[42:43], v[42:43], v[24:25]
	v_add_f64 v[40:41], v[26:27], v[40:41]
	ds_read_b128 v[24:27], v35 offset:2096
	s_waitcnt lgkmcnt(1)
	v_mul_f64 v[48:49], v[22:23], v[2:3]
	v_mul_f64 v[2:3], v[20:21], v[2:3]
	v_fma_f64 v[48:49], v[20:21], v[0:1], -v[48:49]
	v_fmac_f64_e32 v[2:3], v[22:23], v[0:1]
	v_mul_f64 v[0:1], v[22:23], v[18:19]
	v_mul_f64 v[18:19], v[20:21], v[18:19]
	v_fmac_f64_e32 v[18:19], v[22:23], v[16:17]
	v_add_f64 v[44:45], v[44:45], v[48:49]
	v_add_f64 v[46:47], v[2:3], v[46:47]
	v_fma_f64 v[48:49], v[20:21], v[16:17], -v[0:1]
	ds_read_b128 v[0:3], v34 offset:1536
	v_add_f64 v[22:23], v[18:19], v[28:29]
	ds_read_b128 v[16:19], v34 offset:1792
	v_add_f64 v[20:21], v[30:31], v[48:49]
	s_add_u32 s12, s12, 8
	s_waitcnt lgkmcnt(1)
	v_mul_f64 v[28:29], v[54:55], v[2:3]
	v_mul_f64 v[30:31], v[52:53], v[2:3]
	s_waitcnt lgkmcnt(0)
	v_mul_f64 v[48:49], v[54:55], v[18:19]
	v_fma_f64 v[48:49], v[52:53], v[16:17], -v[48:49]
	v_add_f64 v[42:43], v[42:43], v[48:49]
	v_mul_f64 v[48:49], v[26:27], v[2:3]
	v_mul_f64 v[2:3], v[24:25], v[2:3]
	v_fma_f64 v[28:29], v[52:53], v[0:1], -v[28:29]
	v_fmac_f64_e32 v[30:31], v[54:55], v[0:1]
	v_fma_f64 v[48:49], v[24:25], v[0:1], -v[48:49]
	v_fmac_f64_e32 v[2:3], v[26:27], v[0:1]
	v_mul_f64 v[0:1], v[26:27], v[18:19]
	v_mul_f64 v[50:51], v[52:53], v[18:19]
	v_add_f64 v[44:45], v[44:45], v[48:49]
	v_fma_f64 v[48:49], v[24:25], v[16:17], -v[0:1]
	v_mul_f64 v[24:25], v[24:25], v[18:19]
	v_fmac_f64_e32 v[50:51], v[54:55], v[16:17]
	v_add_f64 v[46:47], v[2:3], v[46:47]
	v_fmac_f64_e32 v[24:25], v[26:27], v[16:17]
	ds_read_b128 v[0:3], v35 offset:64
	ds_read_b128 v[16:19], v34 offset:2048
	v_add_f64 v[40:41], v[50:51], v[40:41]
	v_add_f64 v[48:49], v[20:21], v[48:49]
	;; [unrolled: 1-line block ×3, first 2 shown]
	ds_read_b128 v[20:23], v34 offset:2304
	ds_read_b128 v[24:27], v35 offset:80
	s_waitcnt lgkmcnt(2)
	v_mul_f64 v[52:53], v[2:3], v[18:19]
	v_add_f64 v[28:29], v[56:57], v[28:29]
	v_fma_f64 v[52:53], v[0:1], v[16:17], -v[52:53]
	v_mul_f64 v[54:55], v[0:1], v[18:19]
	v_add_f64 v[30:31], v[30:31], v[58:59]
	v_fmac_f64_e32 v[54:55], v[2:3], v[16:17]
	v_add_f64 v[52:53], v[28:29], v[52:53]
	s_waitcnt lgkmcnt(1)
	v_mul_f64 v[28:29], v[2:3], v[22:23]
	v_add_f64 v[54:55], v[54:55], v[30:31]
	v_fma_f64 v[56:57], v[0:1], v[20:21], -v[28:29]
	ds_read_b128 v[28:31], v35 offset:2112
	v_mul_f64 v[0:1], v[0:1], v[22:23]
	v_fmac_f64_e32 v[0:1], v[2:3], v[20:21]
	v_add_f64 v[42:43], v[42:43], v[56:57]
	v_add_f64 v[40:41], v[0:1], v[40:41]
	ds_read_b128 v[0:3], v35 offset:2128
	s_waitcnt lgkmcnt(1)
	v_mul_f64 v[56:57], v[30:31], v[18:19]
	v_mul_f64 v[18:19], v[28:29], v[18:19]
	v_fma_f64 v[56:57], v[28:29], v[16:17], -v[56:57]
	v_fmac_f64_e32 v[18:19], v[30:31], v[16:17]
	v_mul_f64 v[16:17], v[30:31], v[22:23]
	v_add_f64 v[44:45], v[44:45], v[56:57]
	v_add_f64 v[46:47], v[18:19], v[46:47]
	v_fma_f64 v[56:57], v[28:29], v[20:21], -v[16:17]
	v_mul_f64 v[22:23], v[28:29], v[22:23]
	ds_read_b128 v[16:19], v34 offset:2560
	v_fmac_f64_e32 v[22:23], v[30:31], v[20:21]
	v_add_f64 v[30:31], v[22:23], v[50:51]
	ds_read_b128 v[20:23], v34 offset:2816
	v_add_f64 v[28:29], v[48:49], v[56:57]
	s_waitcnt lgkmcnt(1)
	v_mul_f64 v[48:49], v[26:27], v[18:19]
	v_fma_f64 v[48:49], v[24:25], v[16:17], -v[48:49]
	v_add_f64 v[48:49], v[52:53], v[48:49]
	s_waitcnt lgkmcnt(0)
	v_mul_f64 v[52:53], v[26:27], v[22:23]
	v_mul_f64 v[50:51], v[24:25], v[18:19]
	v_fma_f64 v[52:53], v[24:25], v[20:21], -v[52:53]
	v_mul_f64 v[24:25], v[24:25], v[22:23]
	v_fmac_f64_e32 v[24:25], v[26:27], v[20:21]
	v_add_f64 v[40:41], v[24:25], v[40:41]
	v_mul_f64 v[24:25], v[2:3], v[18:19]
	v_mul_f64 v[18:19], v[0:1], v[18:19]
	v_fmac_f64_e32 v[50:51], v[26:27], v[16:17]
	v_fma_f64 v[24:25], v[0:1], v[16:17], -v[24:25]
	v_fmac_f64_e32 v[18:19], v[2:3], v[16:17]
	v_mul_f64 v[16:17], v[2:3], v[22:23]
	v_mul_f64 v[22:23], v[0:1], v[22:23]
	v_add_f64 v[44:45], v[44:45], v[24:25]
	v_add_f64 v[46:47], v[18:19], v[46:47]
	v_fma_f64 v[24:25], v[0:1], v[20:21], -v[16:17]
	v_fmac_f64_e32 v[22:23], v[2:3], v[20:21]
	ds_read_b128 v[0:3], v35 offset:96
	ds_read_b128 v[16:19], v34 offset:3072
	v_add_f64 v[50:51], v[50:51], v[54:55]
	v_add_f64 v[42:43], v[42:43], v[52:53]
	;; [unrolled: 1-line block ×4, first 2 shown]
	ds_read_b128 v[20:23], v34 offset:3328
	ds_read_b128 v[24:27], v35 offset:112
	s_waitcnt lgkmcnt(2)
	v_mul_f64 v[28:29], v[2:3], v[18:19]
	v_fma_f64 v[28:29], v[0:1], v[16:17], -v[28:29]
	v_mul_f64 v[30:31], v[0:1], v[18:19]
	v_fmac_f64_e32 v[30:31], v[2:3], v[16:17]
	v_add_f64 v[48:49], v[48:49], v[28:29]
	s_waitcnt lgkmcnt(1)
	v_mul_f64 v[28:29], v[2:3], v[22:23]
	v_add_f64 v[50:51], v[30:31], v[50:51]
	v_fma_f64 v[56:57], v[0:1], v[20:21], -v[28:29]
	ds_read_b128 v[28:31], v35 offset:2144
	v_mul_f64 v[0:1], v[0:1], v[22:23]
	v_fmac_f64_e32 v[0:1], v[2:3], v[20:21]
	v_add_f64 v[58:59], v[0:1], v[40:41]
	ds_read_b128 v[0:3], v35 offset:2160
	s_waitcnt lgkmcnt(1)
	v_mul_f64 v[40:41], v[30:31], v[18:19]
	v_mul_f64 v[18:19], v[28:29], v[18:19]
	v_fma_f64 v[40:41], v[28:29], v[16:17], -v[40:41]
	v_fmac_f64_e32 v[18:19], v[30:31], v[16:17]
	v_mul_f64 v[16:17], v[30:31], v[22:23]
	v_add_f64 v[44:45], v[44:45], v[40:41]
	v_add_f64 v[46:47], v[18:19], v[46:47]
	v_fma_f64 v[40:41], v[28:29], v[20:21], -v[16:17]
	ds_read_b128 v[16:19], v34 offset:3584
	v_add_f64 v[56:57], v[42:43], v[56:57]
	v_add_f64 v[52:53], v[52:53], v[40:41]
	ds_read_b128 v[40:43], v34 offset:3840
	v_mul_f64 v[22:23], v[28:29], v[22:23]
	v_fmac_f64_e32 v[22:23], v[30:31], v[20:21]
	s_waitcnt lgkmcnt(1)
	v_mul_f64 v[20:21], v[26:27], v[18:19]
	v_fma_f64 v[20:21], v[24:25], v[16:17], -v[20:21]
	v_add_f64 v[54:55], v[22:23], v[54:55]
	v_mul_f64 v[22:23], v[24:25], v[18:19]
	v_add_f64 v[28:29], v[48:49], v[20:21]
	s_waitcnt lgkmcnt(0)
	v_mul_f64 v[20:21], v[26:27], v[42:43]
	v_fmac_f64_e32 v[22:23], v[26:27], v[16:17]
	v_fma_f64 v[20:21], v[24:25], v[40:41], -v[20:21]
	v_add_f64 v[30:31], v[22:23], v[50:51]
	v_mul_f64 v[22:23], v[24:25], v[42:43]
	v_add_f64 v[24:25], v[56:57], v[20:21]
	v_mul_f64 v[20:21], v[2:3], v[18:19]
	v_mul_f64 v[18:19], v[0:1], v[18:19]
	v_fma_f64 v[20:21], v[0:1], v[16:17], -v[20:21]
	v_fmac_f64_e32 v[18:19], v[2:3], v[16:17]
	v_mul_f64 v[16:17], v[2:3], v[42:43]
	v_fma_f64 v[16:17], v[0:1], v[40:41], -v[16:17]
	v_mul_f64 v[0:1], v[0:1], v[42:43]
	v_fmac_f64_e32 v[22:23], v[26:27], v[40:41]
	v_fmac_f64_e32 v[0:1], v[2:3], v[40:41]
	s_addc_u32 s13, s13, 0
	v_add_f64 v[26:27], v[22:23], v[58:59]
	v_add_f64 v[22:23], v[18:19], v[46:47]
	;; [unrolled: 1-line block ×4, first 2 shown]
	v_mov_b64_e32 v[0:1], s[12:13]
	v_cmp_gt_i64_e32 vcc, s[8:9], v[0:1]
	v_add_f64 v[20:21], v[44:45], v[20:21]
	s_barrier
	s_cbranch_vccz .LBB551_16
.LBB551_8:                              ; =>This Inner Loop Header: Depth=1
	s_mov_b64 s[22:23], s[10:11]
	s_mov_b64 s[16:17], 0
	s_and_saveexec_b64 s[18:19], s[0:1]
	s_cbranch_execnz .LBB551_14
; %bb.9:                                ;   in Loop: Header=BB551_8 Depth=1
	s_or_b64 exec, exec, s[18:19]
	s_and_saveexec_b64 s[18:19], s[22:23]
	s_xor_b64 s[18:19], exec, s[18:19]
	s_cbranch_execnz .LBB551_15
.LBB551_10:                             ;   in Loop: Header=BB551_8 Depth=1
	s_or_b64 exec, exec, s[18:19]
	s_and_saveexec_b64 s[18:19], s[16:17]
	s_cbranch_execz .LBB551_12
.LBB551_11:                             ;   in Loop: Header=BB551_8 Depth=1
	v_mul_lo_u32 v2, s15, v14
	v_mul_lo_u32 v3, s14, v15
	v_mad_u64_u32 v[0:1], s[16:17], s14, v14, 0
	v_add3_u32 v1, v1, v3, v2
	v_lshl_add_u64 v[0:1], v[0:1], 4, v[8:9]
	flat_load_dwordx4 v[0:3], v[0:1]
	s_waitcnt vmcnt(0) lgkmcnt(0)
	ds_write2_b64 v32, v[0:1], v[2:3] offset1:1
.LBB551_12:                             ;   in Loop: Header=BB551_8 Depth=1
	s_or_b64 exec, exec, s[18:19]
	v_add_u32_e32 v12, s12, v4
	v_cmp_gt_u64_e32 vcc, s[8:9], v[12:13]
	s_and_b64 s[18:19], vcc, s[2:3]
	v_mov_b64_e32 v[0:1], 0
	v_mov_b64_e32 v[2:3], 0
	s_and_saveexec_b64 s[16:17], s[18:19]
	s_cbranch_execz .LBB551_7
; %bb.13:                               ;   in Loop: Header=BB551_8 Depth=1
	v_mad_u64_u32 v[0:1], s[18:19], s20, v12, 0
	v_mov_b32_e32 v2, v1
	v_mad_u64_u32 v[2:3], s[18:19], s21, v12, v[2:3]
	v_mov_b32_e32 v1, v2
	v_lshl_add_u64 v[0:1], v[0:1], 4, v[10:11]
	flat_load_dwordx4 v[0:3], v[0:1]
	s_waitcnt vmcnt(0) lgkmcnt(0)
	v_xor_b32_e32 v3, 0x80000000, v3
	s_branch .LBB551_7
.LBB551_14:                             ;   in Loop: Header=BB551_8 Depth=1
	v_add_u32_e32 v12, s12, v6
	v_cmp_le_u64_e32 vcc, s[8:9], v[12:13]
	s_andn2_b64 s[22:23], s[10:11], exec
	s_and_b64 s[34:35], vcc, exec
	s_mov_b64 s[16:17], exec
	s_or_b64 s[22:23], s[22:23], s[34:35]
	v_mov_b64_e32 v[14:15], v[12:13]
	s_or_b64 exec, exec, s[18:19]
	s_and_saveexec_b64 s[18:19], s[22:23]
	s_xor_b64 s[18:19], exec, s[18:19]
	s_cbranch_execz .LBB551_10
.LBB551_15:                             ;   in Loop: Header=BB551_8 Depth=1
	ds_write_b128 v32, v[36:39]
	s_andn2_b64 s[16:17], s[16:17], exec
	s_or_b64 exec, exec, s[18:19]
	s_and_saveexec_b64 s[18:19], s[16:17]
	s_cbranch_execnz .LBB551_11
	s_branch .LBB551_12
.LBB551_16:
	s_lshl_b64 s[0:1], s[30:31], 4
	v_add_u32_e32 v10, s26, v7
	s_waitcnt lgkmcnt(0)
	s_add_u32 s8, s4, s0
	v_ashrrev_i32_e32 v0, 31, v10
	s_addc_u32 s9, s5, s1
	v_cmp_neq_f64_e64 s[0:1], s[36:37], 0
	s_xor_b64 s[4:5], s[6:7], -1
	v_mul_lo_u32 v2, s28, v0
	v_mul_lo_u32 v3, s29, v10
	v_mad_u64_u32 v[0:1], s[2:3], s28, v10, 0
	v_add_u32_e32 v4, s25, v5
	v_add3_u32 v1, v1, v2, v3
	s_or_b64 s[0:1], s[0:1], s[4:5]
	v_lshl_add_u64 v[8:9], v[0:1], 4, s[8:9]
	v_cmp_le_i32_e32 vcc, v10, v4
	v_cmp_gt_i32_e64 s[2:3], s24, v4
	v_cndmask_b32_e64 v0, 0, 1, s[0:1]
	s_and_b64 s[6:7], vcc, s[2:3]
	v_ashrrev_i32_e32 v5, 31, v4
	v_cmp_ne_u32_e64 s[0:1], 1, v0
	s_and_saveexec_b64 s[4:5], s[6:7]
	s_cbranch_execz .LBB551_20
; %bb.17:
	v_mul_f64 v[0:1], s[42:43], v[30:31]
	v_mul_f64 v[2:3], s[40:41], v[30:31]
	v_fma_f64 v[0:1], s[40:41], v[28:29], -v[0:1]
	v_fmac_f64_e32 v[2:3], s[42:43], v[28:29]
	s_and_b64 vcc, exec, s[0:1]
	v_lshl_add_u64 v[6:7], v[4:5], 4, v[8:9]
	s_cbranch_vccnz .LBB551_19
; %bb.18:
	flat_load_dwordx4 v[12:15], v[6:7]
	s_waitcnt vmcnt(0) lgkmcnt(0)
	v_mul_f64 v[28:29], s[38:39], v[14:15]
	v_mul_f64 v[14:15], s[36:37], v[14:15]
	v_fma_f64 v[28:29], s[36:37], v[12:13], -v[28:29]
	v_fmac_f64_e32 v[14:15], s[38:39], v[12:13]
	v_add_f64 v[0:1], v[0:1], v[28:29]
	v_add_f64 v[2:3], v[2:3], v[14:15]
.LBB551_19:
	flat_store_dwordx4 v[6:7], v[0:3]
.LBB551_20:
	s_or_b64 exec, exec, s[4:5]
	v_add_u32_e32 v6, 16, v4
	v_cmp_le_i32_e32 vcc, v10, v6
	v_cmp_gt_i32_e64 s[4:5], s24, v6
	s_and_b64 s[10:11], vcc, s[4:5]
	v_ashrrev_i32_e32 v7, 31, v6
	s_and_saveexec_b64 s[6:7], s[10:11]
	s_cbranch_execz .LBB551_24
; %bb.21:
	v_mul_f64 v[0:1], s[42:43], v[26:27]
	v_mul_f64 v[2:3], s[40:41], v[26:27]
	v_fma_f64 v[0:1], s[40:41], v[24:25], -v[0:1]
	v_fmac_f64_e32 v[2:3], s[42:43], v[24:25]
	s_and_b64 vcc, exec, s[0:1]
	v_lshl_add_u64 v[8:9], v[6:7], 4, v[8:9]
	s_cbranch_vccnz .LBB551_23
; %bb.22:
	flat_load_dwordx4 v[12:15], v[8:9]
	s_waitcnt vmcnt(0) lgkmcnt(0)
	v_mul_f64 v[24:25], s[38:39], v[14:15]
	v_mul_f64 v[14:15], s[36:37], v[14:15]
	v_fma_f64 v[24:25], s[36:37], v[12:13], -v[24:25]
	v_fmac_f64_e32 v[14:15], s[38:39], v[12:13]
	v_add_f64 v[0:1], v[0:1], v[24:25]
	v_add_f64 v[2:3], v[2:3], v[14:15]
.LBB551_23:
	flat_store_dwordx4 v[8:9], v[0:3]
.LBB551_24:
	s_or_b64 exec, exec, s[6:7]
	v_add_u32_e32 v10, 16, v10
	v_ashrrev_i32_e32 v0, 31, v10
	v_mul_lo_u32 v2, s28, v0
	v_mul_lo_u32 v3, s29, v10
	v_mad_u64_u32 v[0:1], s[6:7], s28, v10, 0
	v_add3_u32 v1, v1, v2, v3
	v_cmp_le_i32_e32 vcc, v10, v4
	v_lshl_add_u64 v[8:9], v[0:1], 4, s[8:9]
	s_and_b64 s[6:7], vcc, s[2:3]
	s_and_saveexec_b64 s[2:3], s[6:7]
	s_cbranch_execz .LBB551_28
; %bb.25:
	v_mul_f64 v[0:1], s[42:43], v[22:23]
	v_mul_f64 v[2:3], s[40:41], v[22:23]
	v_fma_f64 v[0:1], s[40:41], v[20:21], -v[0:1]
	v_fmac_f64_e32 v[2:3], s[42:43], v[20:21]
	s_and_b64 vcc, exec, s[0:1]
	v_lshl_add_u64 v[4:5], v[4:5], 4, v[8:9]
	s_cbranch_vccnz .LBB551_27
; %bb.26:
	flat_load_dwordx4 v[12:15], v[4:5]
	s_waitcnt vmcnt(0) lgkmcnt(0)
	v_mul_f64 v[20:21], s[38:39], v[14:15]
	v_mul_f64 v[14:15], s[36:37], v[14:15]
	v_fma_f64 v[20:21], s[36:37], v[12:13], -v[20:21]
	v_fmac_f64_e32 v[14:15], s[38:39], v[12:13]
	v_add_f64 v[0:1], v[0:1], v[20:21]
	v_add_f64 v[2:3], v[2:3], v[14:15]
.LBB551_27:
	flat_store_dwordx4 v[4:5], v[0:3]
.LBB551_28:
	s_or_b64 exec, exec, s[2:3]
	v_cmp_le_i32_e32 vcc, v10, v6
	s_and_b64 s[2:3], vcc, s[4:5]
	s_and_saveexec_b64 s[4:5], s[2:3]
	s_cbranch_execz .LBB551_32
; %bb.29:
	v_mul_f64 v[0:1], s[42:43], v[16:17]
	v_mul_f64 v[2:3], s[40:41], v[16:17]
	v_fma_f64 v[0:1], s[40:41], v[18:19], -v[0:1]
	v_fmac_f64_e32 v[2:3], s[42:43], v[18:19]
	s_and_b64 vcc, exec, s[0:1]
	v_lshl_add_u64 v[4:5], v[6:7], 4, v[8:9]
	s_cbranch_vccnz .LBB551_31
; %bb.30:
	flat_load_dwordx4 v[6:9], v[4:5]
	s_waitcnt vmcnt(0) lgkmcnt(0)
	v_mul_f64 v[10:11], s[38:39], v[8:9]
	v_mul_f64 v[8:9], s[36:37], v[8:9]
	v_fma_f64 v[10:11], s[36:37], v[6:7], -v[10:11]
	v_fmac_f64_e32 v[8:9], s[38:39], v[6:7]
	v_add_f64 v[0:1], v[0:1], v[10:11]
	v_add_f64 v[2:3], v[2:3], v[8:9]
.LBB551_31:
	flat_store_dwordx4 v[4:5], v[0:3]
.LBB551_32:
	s_endpgm
	.section	.rodata,"a",@progbits
	.p2align	6, 0x0
	.amdhsa_kernel _ZL29rocblas_internal_gemmt_kernelIlLi16ELi32ELi8ELc78ELc67ELc76ELb0ELb1E19rocblas_complex_numIdEPKS1_PKS3_PKPS1_EviT_T9_T10_S9_lSB_S9_lSA_T11_S9_li
		.amdhsa_group_segment_fixed_size 8192
		.amdhsa_private_segment_fixed_size 0
		.amdhsa_kernarg_size 108
		.amdhsa_user_sgpr_count 2
		.amdhsa_user_sgpr_dispatch_ptr 0
		.amdhsa_user_sgpr_queue_ptr 0
		.amdhsa_user_sgpr_kernarg_segment_ptr 1
		.amdhsa_user_sgpr_dispatch_id 0
		.amdhsa_user_sgpr_kernarg_preload_length 0
		.amdhsa_user_sgpr_kernarg_preload_offset 0
		.amdhsa_user_sgpr_private_segment_size 0
		.amdhsa_uses_dynamic_stack 0
		.amdhsa_enable_private_segment 0
		.amdhsa_system_sgpr_workgroup_id_x 1
		.amdhsa_system_sgpr_workgroup_id_y 1
		.amdhsa_system_sgpr_workgroup_id_z 1
		.amdhsa_system_sgpr_workgroup_info 0
		.amdhsa_system_vgpr_workitem_id 1
		.amdhsa_next_free_vgpr 66
		.amdhsa_next_free_sgpr 44
		.amdhsa_accum_offset 68
		.amdhsa_reserve_vcc 1
		.amdhsa_float_round_mode_32 0
		.amdhsa_float_round_mode_16_64 0
		.amdhsa_float_denorm_mode_32 3
		.amdhsa_float_denorm_mode_16_64 3
		.amdhsa_dx10_clamp 1
		.amdhsa_ieee_mode 1
		.amdhsa_fp16_overflow 0
		.amdhsa_tg_split 0
		.amdhsa_exception_fp_ieee_invalid_op 0
		.amdhsa_exception_fp_denorm_src 0
		.amdhsa_exception_fp_ieee_div_zero 0
		.amdhsa_exception_fp_ieee_overflow 0
		.amdhsa_exception_fp_ieee_underflow 0
		.amdhsa_exception_fp_ieee_inexact 0
		.amdhsa_exception_int_div_zero 0
	.end_amdhsa_kernel
	.section	.text._ZL29rocblas_internal_gemmt_kernelIlLi16ELi32ELi8ELc78ELc67ELc76ELb0ELb1E19rocblas_complex_numIdEPKS1_PKS3_PKPS1_EviT_T9_T10_S9_lSB_S9_lSA_T11_S9_li,"axG",@progbits,_ZL29rocblas_internal_gemmt_kernelIlLi16ELi32ELi8ELc78ELc67ELc76ELb0ELb1E19rocblas_complex_numIdEPKS1_PKS3_PKPS1_EviT_T9_T10_S9_lSB_S9_lSA_T11_S9_li,comdat
.Lfunc_end551:
	.size	_ZL29rocblas_internal_gemmt_kernelIlLi16ELi32ELi8ELc78ELc67ELc76ELb0ELb1E19rocblas_complex_numIdEPKS1_PKS3_PKPS1_EviT_T9_T10_S9_lSB_S9_lSA_T11_S9_li, .Lfunc_end551-_ZL29rocblas_internal_gemmt_kernelIlLi16ELi32ELi8ELc78ELc67ELc76ELb0ELb1E19rocblas_complex_numIdEPKS1_PKS3_PKPS1_EviT_T9_T10_S9_lSB_S9_lSA_T11_S9_li
                                        ; -- End function
	.set _ZL29rocblas_internal_gemmt_kernelIlLi16ELi32ELi8ELc78ELc67ELc76ELb0ELb1E19rocblas_complex_numIdEPKS1_PKS3_PKPS1_EviT_T9_T10_S9_lSB_S9_lSA_T11_S9_li.num_vgpr, 66
	.set _ZL29rocblas_internal_gemmt_kernelIlLi16ELi32ELi8ELc78ELc67ELc76ELb0ELb1E19rocblas_complex_numIdEPKS1_PKS3_PKPS1_EviT_T9_T10_S9_lSB_S9_lSA_T11_S9_li.num_agpr, 0
	.set _ZL29rocblas_internal_gemmt_kernelIlLi16ELi32ELi8ELc78ELc67ELc76ELb0ELb1E19rocblas_complex_numIdEPKS1_PKS3_PKPS1_EviT_T9_T10_S9_lSB_S9_lSA_T11_S9_li.numbered_sgpr, 44
	.set _ZL29rocblas_internal_gemmt_kernelIlLi16ELi32ELi8ELc78ELc67ELc76ELb0ELb1E19rocblas_complex_numIdEPKS1_PKS3_PKPS1_EviT_T9_T10_S9_lSB_S9_lSA_T11_S9_li.num_named_barrier, 0
	.set _ZL29rocblas_internal_gemmt_kernelIlLi16ELi32ELi8ELc78ELc67ELc76ELb0ELb1E19rocblas_complex_numIdEPKS1_PKS3_PKPS1_EviT_T9_T10_S9_lSB_S9_lSA_T11_S9_li.private_seg_size, 0
	.set _ZL29rocblas_internal_gemmt_kernelIlLi16ELi32ELi8ELc78ELc67ELc76ELb0ELb1E19rocblas_complex_numIdEPKS1_PKS3_PKPS1_EviT_T9_T10_S9_lSB_S9_lSA_T11_S9_li.uses_vcc, 1
	.set _ZL29rocblas_internal_gemmt_kernelIlLi16ELi32ELi8ELc78ELc67ELc76ELb0ELb1E19rocblas_complex_numIdEPKS1_PKS3_PKPS1_EviT_T9_T10_S9_lSB_S9_lSA_T11_S9_li.uses_flat_scratch, 0
	.set _ZL29rocblas_internal_gemmt_kernelIlLi16ELi32ELi8ELc78ELc67ELc76ELb0ELb1E19rocblas_complex_numIdEPKS1_PKS3_PKPS1_EviT_T9_T10_S9_lSB_S9_lSA_T11_S9_li.has_dyn_sized_stack, 0
	.set _ZL29rocblas_internal_gemmt_kernelIlLi16ELi32ELi8ELc78ELc67ELc76ELb0ELb1E19rocblas_complex_numIdEPKS1_PKS3_PKPS1_EviT_T9_T10_S9_lSB_S9_lSA_T11_S9_li.has_recursion, 0
	.set _ZL29rocblas_internal_gemmt_kernelIlLi16ELi32ELi8ELc78ELc67ELc76ELb0ELb1E19rocblas_complex_numIdEPKS1_PKS3_PKPS1_EviT_T9_T10_S9_lSB_S9_lSA_T11_S9_li.has_indirect_call, 0
	.section	.AMDGPU.csdata,"",@progbits
; Kernel info:
; codeLenInByte = 3240
; TotalNumSgprs: 50
; NumVgprs: 66
; NumAgprs: 0
; TotalNumVgprs: 66
; ScratchSize: 0
; MemoryBound: 1
; FloatMode: 240
; IeeeMode: 1
; LDSByteSize: 8192 bytes/workgroup (compile time only)
; SGPRBlocks: 6
; VGPRBlocks: 8
; NumSGPRsForWavesPerEU: 50
; NumVGPRsForWavesPerEU: 66
; AccumOffset: 68
; Occupancy: 7
; WaveLimiterHint : 1
; COMPUTE_PGM_RSRC2:SCRATCH_EN: 0
; COMPUTE_PGM_RSRC2:USER_SGPR: 2
; COMPUTE_PGM_RSRC2:TRAP_HANDLER: 0
; COMPUTE_PGM_RSRC2:TGID_X_EN: 1
; COMPUTE_PGM_RSRC2:TGID_Y_EN: 1
; COMPUTE_PGM_RSRC2:TGID_Z_EN: 1
; COMPUTE_PGM_RSRC2:TIDIG_COMP_CNT: 1
; COMPUTE_PGM_RSRC3_GFX90A:ACCUM_OFFSET: 16
; COMPUTE_PGM_RSRC3_GFX90A:TG_SPLIT: 0
	.section	.text._ZL29rocblas_internal_gemmt_kernelIlLi16ELi32ELi8ELc84ELc78ELc76ELb0ELb0E19rocblas_complex_numIdEPKS1_PKS3_PKPS1_EviT_T9_T10_S9_lSB_S9_lSA_T11_S9_li,"axG",@progbits,_ZL29rocblas_internal_gemmt_kernelIlLi16ELi32ELi8ELc84ELc78ELc76ELb0ELb0E19rocblas_complex_numIdEPKS1_PKS3_PKPS1_EviT_T9_T10_S9_lSB_S9_lSA_T11_S9_li,comdat
	.globl	_ZL29rocblas_internal_gemmt_kernelIlLi16ELi32ELi8ELc84ELc78ELc76ELb0ELb0E19rocblas_complex_numIdEPKS1_PKS3_PKPS1_EviT_T9_T10_S9_lSB_S9_lSA_T11_S9_li ; -- Begin function _ZL29rocblas_internal_gemmt_kernelIlLi16ELi32ELi8ELc84ELc78ELc76ELb0ELb0E19rocblas_complex_numIdEPKS1_PKS3_PKPS1_EviT_T9_T10_S9_lSB_S9_lSA_T11_S9_li
	.p2align	8
	.type	_ZL29rocblas_internal_gemmt_kernelIlLi16ELi32ELi8ELc84ELc78ELc76ELb0ELb0E19rocblas_complex_numIdEPKS1_PKS3_PKPS1_EviT_T9_T10_S9_lSB_S9_lSA_T11_S9_li,@function
_ZL29rocblas_internal_gemmt_kernelIlLi16ELi32ELi8ELc84ELc78ELc76ELb0ELb0E19rocblas_complex_numIdEPKS1_PKS3_PKPS1_EviT_T9_T10_S9_lSB_S9_lSA_T11_S9_li: ; @_ZL29rocblas_internal_gemmt_kernelIlLi16ELi32ELi8ELc84ELc78ELc76ELb0ELb0E19rocblas_complex_numIdEPKS1_PKS3_PKPS1_EviT_T9_T10_S9_lSB_S9_lSA_T11_S9_li
; %bb.0:
	s_load_dwordx8 s[24:31], s[0:1], 0x48
	s_load_dwordx16 s[8:23], s[0:1], 0x8
	s_waitcnt lgkmcnt(0)
	s_load_dwordx4 s[36:39], s[24:25], 0x0
	s_load_dwordx4 s[40:43], s[10:11], 0x0
	s_mov_b64 s[24:25], 0
	s_waitcnt lgkmcnt(0)
	v_cmp_eq_f64_e64 s[10:11], s[36:37], 1.0
	v_cmp_eq_f64_e64 s[6:7], s[38:39], 0
	s_and_b64 s[10:11], s[10:11], s[6:7]
	s_andn2_b64 vcc, exec, s[10:11]
	s_mov_b64 s[10:11], -1
	s_cbranch_vccnz .LBB552_4
; %bb.1:
	s_cmp_lg_u64 s[8:9], 0
	s_cbranch_scc0 .LBB552_3
; %bb.2:
	v_cmp_neq_f64_e64 s[10:11], s[40:41], 0
	v_cmp_neq_f64_e64 s[24:25], s[42:43], 0
	s_or_b64 s[24:25], s[10:11], s[24:25]
.LBB552_3:
	s_mov_b64 s[10:11], s[24:25]
.LBB552_4:
	s_and_b64 vcc, exec, s[10:11]
	s_cbranch_vccz .LBB552_34
; %bb.5:
	s_mov_b32 s5, 0
	s_load_dword s24, s[0:1], 0x0
	s_lshl_b64 s[0:1], s[4:5], 3
	s_add_u32 s4, s26, s0
	s_addc_u32 s5, s27, s1
	s_load_dwordx2 s[4:5], s[4:5], 0x0
	s_lshl_b32 s25, s2, 5
	s_lshl_b32 s26, s3, 5
	v_cmp_eq_f64_e64 s[2:3], s[40:41], 0
	v_cmp_eq_f64_e64 s[10:11], s[42:43], 0
	s_and_b64 s[2:3], s[2:3], s[10:11]
	v_cmp_lt_i64_e64 s[10:11], s[8:9], 1
	s_or_b64 s[2:3], s[2:3], s[10:11]
	v_and_b32_e32 v1, 0x3ff, v0
	v_bfe_u32 v3, v0, 10, 10
	v_mov_b64_e32 v[24:25], 0
	s_and_b64 vcc, exec, s[2:3]
	v_mov_b64_e32 v[26:27], 0
	v_mov_b64_e32 v[20:21], 0
	;; [unrolled: 1-line block ×7, first 2 shown]
	s_cbranch_vccnz .LBB552_18
; %bb.6:
	s_add_u32 s2, s18, s0
	s_addc_u32 s3, s19, s1
	s_load_dwordx2 s[2:3], s[2:3], 0x0
	s_lshl_b64 s[10:11], s[22:23], 4
	v_lshl_add_u32 v4, v3, 4, v1
	v_lshrrev_b32_e32 v2, 5, v4
	v_lshrrev_b32_e32 v6, 3, v4
	s_waitcnt lgkmcnt(0)
	s_add_u32 s10, s2, s10
	s_addc_u32 s11, s3, s11
	s_add_u32 s0, s12, s0
	s_addc_u32 s1, s13, s1
	s_load_dwordx2 s[0:1], s[0:1], 0x0
	s_lshl_b64 s[2:3], s[16:17], 4
	v_and_b32_e32 v4, 31, v4
	v_or_b32_e32 v5, s25, v4
	v_lshlrev_b32_e32 v4, 4, v4
	s_waitcnt lgkmcnt(0)
	s_add_u32 s12, s0, s2
	s_addc_u32 s13, s1, s3
	s_ashr_i32 s18, s25, 31
	v_and_b32_e32 v0, 7, v1
	v_cmp_gt_i32_e64 s[0:1], s24, v5
	v_cmp_le_i32_e64 s[2:3], s24, v5
	v_lshl_or_b32 v28, v2, 9, v4
	v_mul_lo_u32 v8, s15, v5
	v_mad_u64_u32 v[4:5], s[16:17], s14, v5, 0
	s_mul_i32 s14, s14, s18
	v_add3_u32 v5, v5, s14, v8
	v_lshlrev_b32_e32 v8, 4, v0
	v_add_u32_e32 v7, s26, v6
	v_lshl_or_b32 v6, v6, 7, v8
	v_add_u32_e32 v29, 0x1000, v6
	v_ashrrev_i32_e32 v6, 31, v7
	v_lshl_add_u64 v[4:5], v[4:5], 4, s[12:13]
	v_cmp_gt_i32_e32 vcc, s24, v7
	v_mul_lo_u32 v8, s20, v6
	v_mul_lo_u32 v9, s21, v7
	v_mad_u64_u32 v[6:7], s[12:13], s20, v7, 0
	v_add3_u32 v7, v7, v8, v9
	v_mov_b32_e32 v8, 0x1000
	v_mov_b32_e32 v9, 0
	v_lshl_add_u64 v[6:7], v[6:7], 4, s[10:11]
	v_lshlrev_b32_e32 v30, 4, v1
	v_lshl_add_u32 v31, v3, 7, v8
	v_mov_b64_e32 v[12:13], 0
	s_mov_b64 s[10:11], 0
	s_xor_b64 s[12:13], vcc, -1
	v_mov_b32_e32 v32, v9
	v_mov_b32_e32 v33, v9
	;; [unrolled: 1-line block ×4, first 2 shown]
	v_mov_b64_e32 v[14:15], 0
	v_mov_b64_e32 v[18:19], 0
	;; [unrolled: 1-line block ×7, first 2 shown]
                                        ; implicit-def: $vgpr10_vgpr11
	s_branch .LBB552_8
.LBB552_7:                              ;   in Loop: Header=BB552_8 Depth=1
	s_or_b64 exec, exec, s[14:15]
	s_waitcnt lgkmcnt(0)
	s_barrier
	ds_read_b128 v[36:39], v30
	ds_read_b128 v[40:43], v31
	ds_read_b128 v[44:47], v31 offset:16
	ds_read_b128 v[48:51], v31 offset:32
	;; [unrolled: 1-line block ×4, first 2 shown]
	s_waitcnt lgkmcnt(4)
	v_mul_f64 v[60:61], v[42:43], v[38:39]
	v_fma_f64 v[60:61], v[40:41], v[36:37], -v[60:61]
	v_mul_f64 v[62:63], v[40:41], v[38:39]
	v_fmac_f64_e32 v[62:63], v[42:43], v[36:37]
	v_add_f64 v[60:61], v[24:25], v[60:61]
	s_waitcnt lgkmcnt(0)
	v_mul_f64 v[24:25], v[42:43], v[58:59]
	v_add_f64 v[62:63], v[62:63], v[26:27]
	v_fma_f64 v[64:65], v[40:41], v[56:57], -v[24:25]
	ds_read_b128 v[24:27], v31 offset:2048
	v_mul_f64 v[40:41], v[40:41], v[58:59]
	v_fmac_f64_e32 v[40:41], v[42:43], v[56:57]
	v_add_f64 v[42:43], v[20:21], v[64:65]
	v_add_f64 v[40:41], v[40:41], v[22:23]
	ds_read_b128 v[20:23], v31 offset:2064
	s_waitcnt lgkmcnt(1)
	v_mul_f64 v[64:65], v[26:27], v[38:39]
	v_fma_f64 v[64:65], v[24:25], v[36:37], -v[64:65]
	v_mul_f64 v[38:39], v[24:25], v[38:39]
	v_fmac_f64_e32 v[38:39], v[26:27], v[36:37]
	v_add_f64 v[36:37], v[16:17], v[64:65]
	v_mul_f64 v[16:17], v[26:27], v[58:59]
	v_add_f64 v[38:39], v[38:39], v[18:19]
	v_fma_f64 v[64:65], v[24:25], v[56:57], -v[16:17]
	v_mul_f64 v[24:25], v[24:25], v[58:59]
	ds_read_b128 v[16:19], v30 offset:512
	v_fmac_f64_e32 v[24:25], v[26:27], v[56:57]
	v_add_f64 v[26:27], v[14:15], v[64:65]
	v_add_f64 v[24:25], v[24:25], v[12:13]
	ds_read_b128 v[12:15], v30 offset:768
	s_waitcnt lgkmcnt(1)
	v_mul_f64 v[56:57], v[46:47], v[18:19]
	v_fma_f64 v[56:57], v[44:45], v[16:17], -v[56:57]
	v_add_f64 v[56:57], v[60:61], v[56:57]
	v_mul_f64 v[58:59], v[44:45], v[18:19]
	s_waitcnt lgkmcnt(0)
	v_mul_f64 v[60:61], v[46:47], v[14:15]
	v_fma_f64 v[60:61], v[44:45], v[12:13], -v[60:61]
	v_mul_f64 v[44:45], v[44:45], v[14:15]
	v_fmac_f64_e32 v[44:45], v[46:47], v[12:13]
	v_add_f64 v[40:41], v[44:45], v[40:41]
	v_mul_f64 v[44:45], v[22:23], v[18:19]
	v_mul_f64 v[18:19], v[20:21], v[18:19]
	v_fmac_f64_e32 v[58:59], v[46:47], v[16:17]
	v_fma_f64 v[44:45], v[20:21], v[16:17], -v[44:45]
	v_fmac_f64_e32 v[18:19], v[22:23], v[16:17]
	v_mul_f64 v[16:17], v[22:23], v[14:15]
	v_add_f64 v[46:47], v[18:19], v[38:39]
	v_fma_f64 v[18:19], v[20:21], v[12:13], -v[16:17]
	v_mul_f64 v[20:21], v[20:21], v[14:15]
	ds_read_b128 v[14:17], v30 offset:1024
	v_fmac_f64_e32 v[20:21], v[22:23], v[12:13]
	v_add_f64 v[42:43], v[42:43], v[60:61]
	v_add_f64 v[26:27], v[26:27], v[18:19]
	;; [unrolled: 1-line block ×3, first 2 shown]
	ds_read_b128 v[18:21], v30 offset:1280
	s_waitcnt lgkmcnt(1)
	v_mul_f64 v[22:23], v[48:49], v[16:17]
	v_add_f64 v[58:59], v[58:59], v[62:63]
	v_fmac_f64_e32 v[22:23], v[50:51], v[14:15]
	v_add_f64 v[58:59], v[22:23], v[58:59]
	ds_read_b128 v[22:25], v31 offset:2080
	v_mul_f64 v[12:13], v[50:51], v[16:17]
	v_fma_f64 v[12:13], v[48:49], v[14:15], -v[12:13]
	v_add_f64 v[44:45], v[36:37], v[44:45]
	v_add_f64 v[56:57], v[56:57], v[12:13]
	s_waitcnt lgkmcnt(1)
	v_mul_f64 v[12:13], v[50:51], v[20:21]
	v_mul_f64 v[36:37], v[48:49], v[20:21]
	v_fma_f64 v[12:13], v[48:49], v[18:19], -v[12:13]
	v_fmac_f64_e32 v[36:37], v[50:51], v[18:19]
	v_add_f64 v[42:43], v[42:43], v[12:13]
	v_add_f64 v[40:41], v[36:37], v[40:41]
	ds_read_b128 v[36:39], v31 offset:2096
	s_waitcnt lgkmcnt(1)
	v_mul_f64 v[12:13], v[24:25], v[16:17]
	v_fma_f64 v[12:13], v[22:23], v[14:15], -v[12:13]
	v_mul_f64 v[16:17], v[22:23], v[16:17]
	v_fmac_f64_e32 v[16:17], v[24:25], v[14:15]
	v_add_f64 v[44:45], v[44:45], v[12:13]
	v_mul_f64 v[12:13], v[24:25], v[20:21]
	v_add_f64 v[46:47], v[16:17], v[46:47]
	v_fma_f64 v[16:17], v[22:23], v[18:19], -v[12:13]
	ds_read_b128 v[12:15], v30 offset:1536
	v_mul_f64 v[20:21], v[22:23], v[20:21]
	v_fmac_f64_e32 v[20:21], v[24:25], v[18:19]
	v_add_f64 v[22:23], v[26:27], v[16:17]
	ds_read_b128 v[16:19], v30 offset:1792
	s_waitcnt lgkmcnt(1)
	v_mul_f64 v[24:25], v[54:55], v[14:15]
	v_fma_f64 v[24:25], v[52:53], v[12:13], -v[24:25]
	v_mul_f64 v[26:27], v[52:53], v[14:15]
	v_fmac_f64_e32 v[26:27], v[54:55], v[12:13]
	v_add_f64 v[48:49], v[56:57], v[24:25]
	s_waitcnt lgkmcnt(0)
	v_mul_f64 v[24:25], v[54:55], v[18:19]
	v_add_f64 v[50:51], v[26:27], v[58:59]
	v_fma_f64 v[24:25], v[52:53], v[16:17], -v[24:25]
	v_mul_f64 v[26:27], v[52:53], v[18:19]
	v_fmac_f64_e32 v[26:27], v[54:55], v[16:17]
	v_add_f64 v[42:43], v[42:43], v[24:25]
	v_mul_f64 v[24:25], v[38:39], v[14:15]
	v_mul_f64 v[14:15], v[36:37], v[14:15]
	v_add_f64 v[40:41], v[26:27], v[40:41]
	v_fma_f64 v[24:25], v[36:37], v[12:13], -v[24:25]
	v_fmac_f64_e32 v[14:15], v[38:39], v[12:13]
	v_mul_f64 v[12:13], v[38:39], v[18:19]
	v_mul_f64 v[26:27], v[36:37], v[18:19]
	v_add_f64 v[44:45], v[44:45], v[24:25]
	v_add_f64 v[46:47], v[14:15], v[46:47]
	v_fma_f64 v[24:25], v[36:37], v[16:17], -v[12:13]
	v_fmac_f64_e32 v[26:27], v[38:39], v[16:17]
	ds_read_b128 v[12:15], v31 offset:64
	ds_read_b128 v[16:19], v30 offset:2048
	v_add_f64 v[20:21], v[20:21], v[60:61]
	v_add_f64 v[52:53], v[22:23], v[24:25]
	;; [unrolled: 1-line block ×3, first 2 shown]
	ds_read_b128 v[20:23], v30 offset:2304
	ds_read_b128 v[24:27], v31 offset:80
	s_waitcnt lgkmcnt(2)
	v_mul_f64 v[36:37], v[14:15], v[18:19]
	v_fma_f64 v[36:37], v[12:13], v[16:17], -v[36:37]
	v_mul_f64 v[38:39], v[12:13], v[18:19]
	v_fmac_f64_e32 v[38:39], v[14:15], v[16:17]
	v_add_f64 v[48:49], v[48:49], v[36:37]
	s_waitcnt lgkmcnt(1)
	v_mul_f64 v[36:37], v[14:15], v[22:23]
	v_add_f64 v[50:51], v[38:39], v[50:51]
	v_fma_f64 v[56:57], v[12:13], v[20:21], -v[36:37]
	ds_read_b128 v[36:39], v31 offset:2112
	v_mul_f64 v[12:13], v[12:13], v[22:23]
	v_fmac_f64_e32 v[12:13], v[14:15], v[20:21]
	v_add_f64 v[42:43], v[42:43], v[56:57]
	v_add_f64 v[40:41], v[12:13], v[40:41]
	ds_read_b128 v[12:15], v31 offset:2128
	s_waitcnt lgkmcnt(1)
	v_mul_f64 v[56:57], v[38:39], v[18:19]
	v_mul_f64 v[18:19], v[36:37], v[18:19]
	v_fma_f64 v[56:57], v[36:37], v[16:17], -v[56:57]
	v_fmac_f64_e32 v[18:19], v[38:39], v[16:17]
	v_mul_f64 v[16:17], v[38:39], v[22:23]
	v_add_f64 v[44:45], v[44:45], v[56:57]
	v_add_f64 v[46:47], v[18:19], v[46:47]
	v_fma_f64 v[56:57], v[36:37], v[20:21], -v[16:17]
	v_mul_f64 v[22:23], v[36:37], v[22:23]
	ds_read_b128 v[16:19], v30 offset:2560
	v_fmac_f64_e32 v[22:23], v[38:39], v[20:21]
	v_add_f64 v[38:39], v[22:23], v[54:55]
	ds_read_b128 v[20:23], v30 offset:2816
	v_add_f64 v[36:37], v[52:53], v[56:57]
	s_waitcnt lgkmcnt(1)
	v_mul_f64 v[52:53], v[26:27], v[18:19]
	v_fma_f64 v[52:53], v[24:25], v[16:17], -v[52:53]
	v_add_f64 v[48:49], v[48:49], v[52:53]
	s_waitcnt lgkmcnt(0)
	v_mul_f64 v[52:53], v[26:27], v[22:23]
	v_mul_f64 v[54:55], v[24:25], v[18:19]
	v_fma_f64 v[52:53], v[24:25], v[20:21], -v[52:53]
	v_mul_f64 v[24:25], v[24:25], v[22:23]
	v_fmac_f64_e32 v[24:25], v[26:27], v[20:21]
	v_add_f64 v[40:41], v[24:25], v[40:41]
	v_mul_f64 v[24:25], v[14:15], v[18:19]
	v_mul_f64 v[18:19], v[12:13], v[18:19]
	v_fmac_f64_e32 v[54:55], v[26:27], v[16:17]
	v_fma_f64 v[24:25], v[12:13], v[16:17], -v[24:25]
	v_fmac_f64_e32 v[18:19], v[14:15], v[16:17]
	v_mul_f64 v[16:17], v[14:15], v[22:23]
	v_mul_f64 v[22:23], v[12:13], v[22:23]
	v_add_f64 v[44:45], v[44:45], v[24:25]
	v_add_f64 v[46:47], v[18:19], v[46:47]
	v_fma_f64 v[24:25], v[12:13], v[20:21], -v[16:17]
	v_fmac_f64_e32 v[22:23], v[14:15], v[20:21]
	ds_read_b128 v[12:15], v31 offset:96
	ds_read_b128 v[16:19], v30 offset:3072
	v_add_f64 v[50:51], v[54:55], v[50:51]
	v_add_f64 v[42:43], v[42:43], v[52:53]
	;; [unrolled: 1-line block ×4, first 2 shown]
	ds_read_b128 v[20:23], v30 offset:3328
	ds_read_b128 v[36:39], v31 offset:112
	s_waitcnt lgkmcnt(2)
	v_mul_f64 v[24:25], v[14:15], v[18:19]
	v_fma_f64 v[24:25], v[12:13], v[16:17], -v[24:25]
	v_mul_f64 v[26:27], v[12:13], v[18:19]
	v_fmac_f64_e32 v[26:27], v[14:15], v[16:17]
	v_add_f64 v[48:49], v[48:49], v[24:25]
	s_waitcnt lgkmcnt(1)
	v_mul_f64 v[24:25], v[14:15], v[22:23]
	v_add_f64 v[50:51], v[26:27], v[50:51]
	v_fma_f64 v[56:57], v[12:13], v[20:21], -v[24:25]
	ds_read_b128 v[24:27], v31 offset:2144
	v_mul_f64 v[12:13], v[12:13], v[22:23]
	v_fmac_f64_e32 v[12:13], v[14:15], v[20:21]
	v_add_f64 v[58:59], v[12:13], v[40:41]
	ds_read_b128 v[12:15], v31 offset:2160
	s_waitcnt lgkmcnt(1)
	v_mul_f64 v[40:41], v[26:27], v[18:19]
	v_mul_f64 v[18:19], v[24:25], v[18:19]
	v_fma_f64 v[40:41], v[24:25], v[16:17], -v[40:41]
	v_fmac_f64_e32 v[18:19], v[26:27], v[16:17]
	v_mul_f64 v[16:17], v[26:27], v[22:23]
	v_add_f64 v[44:45], v[44:45], v[40:41]
	v_add_f64 v[46:47], v[18:19], v[46:47]
	v_fma_f64 v[40:41], v[24:25], v[20:21], -v[16:17]
	ds_read_b128 v[16:19], v30 offset:3584
	v_add_f64 v[56:57], v[42:43], v[56:57]
	v_add_f64 v[52:53], v[52:53], v[40:41]
	ds_read_b128 v[40:43], v30 offset:3840
	v_mul_f64 v[22:23], v[24:25], v[22:23]
	v_fmac_f64_e32 v[22:23], v[26:27], v[20:21]
	s_waitcnt lgkmcnt(1)
	v_mul_f64 v[20:21], v[38:39], v[18:19]
	v_add_f64 v[54:55], v[22:23], v[54:55]
	v_fma_f64 v[20:21], v[36:37], v[16:17], -v[20:21]
	v_mul_f64 v[22:23], v[36:37], v[18:19]
	v_fmac_f64_e32 v[22:23], v[38:39], v[16:17]
	v_add_f64 v[24:25], v[48:49], v[20:21]
	s_waitcnt lgkmcnt(0)
	v_mul_f64 v[20:21], v[38:39], v[42:43]
	v_add_f64 v[26:27], v[22:23], v[50:51]
	v_fma_f64 v[20:21], v[36:37], v[40:41], -v[20:21]
	v_mul_f64 v[22:23], v[36:37], v[42:43]
	v_mul_f64 v[36:37], v[14:15], v[18:19]
	v_fma_f64 v[36:37], v[12:13], v[16:17], -v[36:37]
	v_mul_f64 v[18:19], v[12:13], v[18:19]
	v_fmac_f64_e32 v[18:19], v[14:15], v[16:17]
	v_add_f64 v[16:17], v[44:45], v[36:37]
	v_mul_f64 v[36:37], v[14:15], v[42:43]
	s_add_u32 s10, s10, 8
	v_fma_f64 v[36:37], v[12:13], v[40:41], -v[36:37]
	v_mul_f64 v[12:13], v[12:13], v[42:43]
	s_addc_u32 s11, s11, 0
	v_fmac_f64_e32 v[12:13], v[14:15], v[40:41]
	v_add_f64 v[14:15], v[52:53], v[36:37]
	v_mov_b64_e32 v[36:37], s[10:11]
	v_fmac_f64_e32 v[22:23], v[38:39], v[40:41]
	v_cmp_gt_i64_e32 vcc, s[8:9], v[36:37]
	v_add_f64 v[20:21], v[56:57], v[20:21]
	v_add_f64 v[22:23], v[22:23], v[58:59]
	;; [unrolled: 1-line block ×4, first 2 shown]
	s_barrier
	s_cbranch_vccz .LBB552_18
.LBB552_8:                              ; =>This Inner Loop Header: Depth=1
	s_mov_b64 s[18:19], s[2:3]
	s_mov_b64 s[14:15], 0
	s_and_saveexec_b64 s[16:17], s[0:1]
	s_cbranch_execnz .LBB552_16
; %bb.9:                                ;   in Loop: Header=BB552_8 Depth=1
	s_or_b64 exec, exec, s[16:17]
	s_and_saveexec_b64 s[16:17], s[18:19]
	s_xor_b64 s[16:17], exec, s[16:17]
	s_cbranch_execnz .LBB552_17
.LBB552_10:                             ;   in Loop: Header=BB552_8 Depth=1
	s_or_b64 exec, exec, s[16:17]
	s_and_saveexec_b64 s[16:17], s[14:15]
	s_cbranch_execz .LBB552_12
.LBB552_11:                             ;   in Loop: Header=BB552_8 Depth=1
	v_lshl_add_u64 v[36:37], v[10:11], 4, v[4:5]
	flat_load_dwordx4 v[36:39], v[36:37]
	s_waitcnt vmcnt(0) lgkmcnt(0)
	ds_write2_b64 v28, v[36:37], v[38:39] offset1:1
.LBB552_12:                             ;   in Loop: Header=BB552_8 Depth=1
	s_or_b64 exec, exec, s[16:17]
	v_add_u32_e32 v8, s10, v0
	v_cmp_le_u64_e32 vcc, s[8:9], v[8:9]
	s_or_b64 s[14:15], vcc, s[12:13]
	s_and_saveexec_b64 s[16:17], s[14:15]
	s_xor_b64 s[14:15], exec, s[16:17]
; %bb.13:                               ;   in Loop: Header=BB552_8 Depth=1
	ds_write_b128 v29, v[32:35]
; %bb.14:                               ;   in Loop: Header=BB552_8 Depth=1
	s_andn2_saveexec_b64 s[14:15], s[14:15]
	s_cbranch_execz .LBB552_7
; %bb.15:                               ;   in Loop: Header=BB552_8 Depth=1
	v_lshl_add_u64 v[36:37], v[8:9], 4, v[6:7]
	flat_load_dwordx4 v[36:39], v[36:37]
	s_waitcnt vmcnt(0) lgkmcnt(0)
	ds_write2_b64 v29, v[36:37], v[38:39] offset1:1
	s_branch .LBB552_7
.LBB552_16:                             ;   in Loop: Header=BB552_8 Depth=1
	v_add_u32_e32 v8, s10, v2
	v_cmp_le_u64_e32 vcc, s[8:9], v[8:9]
	s_andn2_b64 s[18:19], s[2:3], exec
	s_and_b64 s[20:21], vcc, exec
	s_mov_b64 s[14:15], exec
	s_or_b64 s[18:19], s[18:19], s[20:21]
	v_mov_b64_e32 v[10:11], v[8:9]
	s_or_b64 exec, exec, s[16:17]
	s_and_saveexec_b64 s[16:17], s[18:19]
	s_xor_b64 s[16:17], exec, s[16:17]
	s_cbranch_execz .LBB552_10
.LBB552_17:                             ;   in Loop: Header=BB552_8 Depth=1
	ds_write_b128 v28, v[32:35]
	s_andn2_b64 s[14:15], s[14:15], exec
	s_or_b64 exec, exec, s[16:17]
	s_and_saveexec_b64 s[16:17], s[14:15]
	s_cbranch_execnz .LBB552_11
	s_branch .LBB552_12
.LBB552_18:
	s_lshl_b64 s[0:1], s[30:31], 4
	v_add_u32_e32 v10, s26, v3
	s_waitcnt lgkmcnt(0)
	s_add_u32 s8, s4, s0
	v_ashrrev_i32_e32 v0, 31, v10
	s_addc_u32 s9, s5, s1
	v_add_u32_e32 v4, s25, v1
	v_cmp_neq_f64_e64 s[0:1], s[36:37], 0
	s_xor_b64 s[4:5], s[6:7], -1
	v_mul_lo_u32 v2, s28, v0
	v_mul_lo_u32 v3, s29, v10
	v_mad_u64_u32 v[0:1], s[2:3], s28, v10, 0
	v_add3_u32 v1, v1, v2, v3
	s_or_b64 s[0:1], s[0:1], s[4:5]
	v_lshl_add_u64 v[8:9], v[0:1], 4, s[8:9]
	v_cmp_le_i32_e32 vcc, v10, v4
	v_cmp_gt_i32_e64 s[2:3], s24, v4
	v_cndmask_b32_e64 v0, 0, 1, s[0:1]
	s_and_b64 s[6:7], vcc, s[2:3]
	v_ashrrev_i32_e32 v5, 31, v4
	v_cmp_ne_u32_e64 s[0:1], 1, v0
	s_and_saveexec_b64 s[4:5], s[6:7]
	s_cbranch_execz .LBB552_22
; %bb.19:
	v_mul_f64 v[0:1], s[42:43], v[26:27]
	v_mul_f64 v[2:3], s[40:41], v[26:27]
	v_fma_f64 v[0:1], s[40:41], v[24:25], -v[0:1]
	v_fmac_f64_e32 v[2:3], s[42:43], v[24:25]
	s_and_b64 vcc, exec, s[0:1]
	v_lshl_add_u64 v[6:7], v[4:5], 4, v[8:9]
	s_cbranch_vccnz .LBB552_21
; %bb.20:
	flat_load_dwordx4 v[24:27], v[6:7]
	s_waitcnt vmcnt(0) lgkmcnt(0)
	v_mul_f64 v[28:29], s[38:39], v[26:27]
	v_mul_f64 v[26:27], s[36:37], v[26:27]
	v_fma_f64 v[28:29], s[36:37], v[24:25], -v[28:29]
	v_fmac_f64_e32 v[26:27], s[38:39], v[24:25]
	v_add_f64 v[0:1], v[0:1], v[28:29]
	v_add_f64 v[2:3], v[2:3], v[26:27]
.LBB552_21:
	flat_store_dwordx4 v[6:7], v[0:3]
.LBB552_22:
	s_or_b64 exec, exec, s[4:5]
	v_add_u32_e32 v6, 16, v4
	v_cmp_le_i32_e32 vcc, v10, v6
	v_cmp_gt_i32_e64 s[4:5], s24, v6
	s_and_b64 s[10:11], vcc, s[4:5]
	v_ashrrev_i32_e32 v7, 31, v6
	s_and_saveexec_b64 s[6:7], s[10:11]
	s_cbranch_execz .LBB552_26
; %bb.23:
	v_mul_f64 v[0:1], s[42:43], v[22:23]
	v_mul_f64 v[2:3], s[40:41], v[22:23]
	v_fma_f64 v[0:1], s[40:41], v[20:21], -v[0:1]
	v_fmac_f64_e32 v[2:3], s[42:43], v[20:21]
	s_and_b64 vcc, exec, s[0:1]
	v_lshl_add_u64 v[8:9], v[6:7], 4, v[8:9]
	s_cbranch_vccnz .LBB552_25
; %bb.24:
	flat_load_dwordx4 v[20:23], v[8:9]
	s_waitcnt vmcnt(0) lgkmcnt(0)
	v_mul_f64 v[24:25], s[38:39], v[22:23]
	v_mul_f64 v[22:23], s[36:37], v[22:23]
	v_fma_f64 v[24:25], s[36:37], v[20:21], -v[24:25]
	v_fmac_f64_e32 v[22:23], s[38:39], v[20:21]
	v_add_f64 v[0:1], v[0:1], v[24:25]
	v_add_f64 v[2:3], v[2:3], v[22:23]
.LBB552_25:
	flat_store_dwordx4 v[8:9], v[0:3]
.LBB552_26:
	s_or_b64 exec, exec, s[6:7]
	v_add_u32_e32 v10, 16, v10
	v_ashrrev_i32_e32 v0, 31, v10
	v_mul_lo_u32 v2, s28, v0
	v_mul_lo_u32 v3, s29, v10
	v_mad_u64_u32 v[0:1], s[6:7], s28, v10, 0
	v_add3_u32 v1, v1, v2, v3
	v_cmp_le_i32_e32 vcc, v10, v4
	v_lshl_add_u64 v[8:9], v[0:1], 4, s[8:9]
	s_and_b64 s[6:7], vcc, s[2:3]
	s_and_saveexec_b64 s[2:3], s[6:7]
	s_cbranch_execz .LBB552_30
; %bb.27:
	v_mul_f64 v[0:1], s[42:43], v[18:19]
	v_mul_f64 v[2:3], s[40:41], v[18:19]
	v_fma_f64 v[0:1], s[40:41], v[16:17], -v[0:1]
	v_fmac_f64_e32 v[2:3], s[42:43], v[16:17]
	s_and_b64 vcc, exec, s[0:1]
	v_lshl_add_u64 v[4:5], v[4:5], 4, v[8:9]
	s_cbranch_vccnz .LBB552_29
; %bb.28:
	flat_load_dwordx4 v[16:19], v[4:5]
	s_waitcnt vmcnt(0) lgkmcnt(0)
	v_mul_f64 v[20:21], s[38:39], v[18:19]
	v_mul_f64 v[18:19], s[36:37], v[18:19]
	v_fma_f64 v[20:21], s[36:37], v[16:17], -v[20:21]
	v_fmac_f64_e32 v[18:19], s[38:39], v[16:17]
	v_add_f64 v[0:1], v[0:1], v[20:21]
	v_add_f64 v[2:3], v[2:3], v[18:19]
.LBB552_29:
	flat_store_dwordx4 v[4:5], v[0:3]
.LBB552_30:
	s_or_b64 exec, exec, s[2:3]
	v_cmp_le_i32_e32 vcc, v10, v6
	s_and_b64 s[2:3], vcc, s[4:5]
	s_and_saveexec_b64 s[4:5], s[2:3]
	s_cbranch_execz .LBB552_34
; %bb.31:
	v_mul_f64 v[0:1], s[42:43], v[12:13]
	v_mul_f64 v[2:3], s[40:41], v[12:13]
	v_fma_f64 v[0:1], s[40:41], v[14:15], -v[0:1]
	v_fmac_f64_e32 v[2:3], s[42:43], v[14:15]
	s_and_b64 vcc, exec, s[0:1]
	v_lshl_add_u64 v[4:5], v[6:7], 4, v[8:9]
	s_cbranch_vccnz .LBB552_33
; %bb.32:
	flat_load_dwordx4 v[6:9], v[4:5]
	s_waitcnt vmcnt(0) lgkmcnt(0)
	v_mul_f64 v[10:11], s[38:39], v[8:9]
	v_mul_f64 v[8:9], s[36:37], v[8:9]
	v_fma_f64 v[10:11], s[36:37], v[6:7], -v[10:11]
	v_fmac_f64_e32 v[8:9], s[38:39], v[6:7]
	v_add_f64 v[0:1], v[0:1], v[10:11]
	v_add_f64 v[2:3], v[2:3], v[8:9]
.LBB552_33:
	flat_store_dwordx4 v[4:5], v[0:3]
.LBB552_34:
	s_endpgm
	.section	.rodata,"a",@progbits
	.p2align	6, 0x0
	.amdhsa_kernel _ZL29rocblas_internal_gemmt_kernelIlLi16ELi32ELi8ELc84ELc78ELc76ELb0ELb0E19rocblas_complex_numIdEPKS1_PKS3_PKPS1_EviT_T9_T10_S9_lSB_S9_lSA_T11_S9_li
		.amdhsa_group_segment_fixed_size 8192
		.amdhsa_private_segment_fixed_size 0
		.amdhsa_kernarg_size 108
		.amdhsa_user_sgpr_count 2
		.amdhsa_user_sgpr_dispatch_ptr 0
		.amdhsa_user_sgpr_queue_ptr 0
		.amdhsa_user_sgpr_kernarg_segment_ptr 1
		.amdhsa_user_sgpr_dispatch_id 0
		.amdhsa_user_sgpr_kernarg_preload_length 0
		.amdhsa_user_sgpr_kernarg_preload_offset 0
		.amdhsa_user_sgpr_private_segment_size 0
		.amdhsa_uses_dynamic_stack 0
		.amdhsa_enable_private_segment 0
		.amdhsa_system_sgpr_workgroup_id_x 1
		.amdhsa_system_sgpr_workgroup_id_y 1
		.amdhsa_system_sgpr_workgroup_id_z 1
		.amdhsa_system_sgpr_workgroup_info 0
		.amdhsa_system_vgpr_workitem_id 1
		.amdhsa_next_free_vgpr 66
		.amdhsa_next_free_sgpr 44
		.amdhsa_accum_offset 68
		.amdhsa_reserve_vcc 1
		.amdhsa_float_round_mode_32 0
		.amdhsa_float_round_mode_16_64 0
		.amdhsa_float_denorm_mode_32 3
		.amdhsa_float_denorm_mode_16_64 3
		.amdhsa_dx10_clamp 1
		.amdhsa_ieee_mode 1
		.amdhsa_fp16_overflow 0
		.amdhsa_tg_split 0
		.amdhsa_exception_fp_ieee_invalid_op 0
		.amdhsa_exception_fp_denorm_src 0
		.amdhsa_exception_fp_ieee_div_zero 0
		.amdhsa_exception_fp_ieee_overflow 0
		.amdhsa_exception_fp_ieee_underflow 0
		.amdhsa_exception_fp_ieee_inexact 0
		.amdhsa_exception_int_div_zero 0
	.end_amdhsa_kernel
	.section	.text._ZL29rocblas_internal_gemmt_kernelIlLi16ELi32ELi8ELc84ELc78ELc76ELb0ELb0E19rocblas_complex_numIdEPKS1_PKS3_PKPS1_EviT_T9_T10_S9_lSB_S9_lSA_T11_S9_li,"axG",@progbits,_ZL29rocblas_internal_gemmt_kernelIlLi16ELi32ELi8ELc84ELc78ELc76ELb0ELb0E19rocblas_complex_numIdEPKS1_PKS3_PKPS1_EviT_T9_T10_S9_lSB_S9_lSA_T11_S9_li,comdat
.Lfunc_end552:
	.size	_ZL29rocblas_internal_gemmt_kernelIlLi16ELi32ELi8ELc84ELc78ELc76ELb0ELb0E19rocblas_complex_numIdEPKS1_PKS3_PKPS1_EviT_T9_T10_S9_lSB_S9_lSA_T11_S9_li, .Lfunc_end552-_ZL29rocblas_internal_gemmt_kernelIlLi16ELi32ELi8ELc84ELc78ELc76ELb0ELb0E19rocblas_complex_numIdEPKS1_PKS3_PKPS1_EviT_T9_T10_S9_lSB_S9_lSA_T11_S9_li
                                        ; -- End function
	.set _ZL29rocblas_internal_gemmt_kernelIlLi16ELi32ELi8ELc84ELc78ELc76ELb0ELb0E19rocblas_complex_numIdEPKS1_PKS3_PKPS1_EviT_T9_T10_S9_lSB_S9_lSA_T11_S9_li.num_vgpr, 66
	.set _ZL29rocblas_internal_gemmt_kernelIlLi16ELi32ELi8ELc84ELc78ELc76ELb0ELb0E19rocblas_complex_numIdEPKS1_PKS3_PKPS1_EviT_T9_T10_S9_lSB_S9_lSA_T11_S9_li.num_agpr, 0
	.set _ZL29rocblas_internal_gemmt_kernelIlLi16ELi32ELi8ELc84ELc78ELc76ELb0ELb0E19rocblas_complex_numIdEPKS1_PKS3_PKPS1_EviT_T9_T10_S9_lSB_S9_lSA_T11_S9_li.numbered_sgpr, 44
	.set _ZL29rocblas_internal_gemmt_kernelIlLi16ELi32ELi8ELc84ELc78ELc76ELb0ELb0E19rocblas_complex_numIdEPKS1_PKS3_PKPS1_EviT_T9_T10_S9_lSB_S9_lSA_T11_S9_li.num_named_barrier, 0
	.set _ZL29rocblas_internal_gemmt_kernelIlLi16ELi32ELi8ELc84ELc78ELc76ELb0ELb0E19rocblas_complex_numIdEPKS1_PKS3_PKPS1_EviT_T9_T10_S9_lSB_S9_lSA_T11_S9_li.private_seg_size, 0
	.set _ZL29rocblas_internal_gemmt_kernelIlLi16ELi32ELi8ELc84ELc78ELc76ELb0ELb0E19rocblas_complex_numIdEPKS1_PKS3_PKPS1_EviT_T9_T10_S9_lSB_S9_lSA_T11_S9_li.uses_vcc, 1
	.set _ZL29rocblas_internal_gemmt_kernelIlLi16ELi32ELi8ELc84ELc78ELc76ELb0ELb0E19rocblas_complex_numIdEPKS1_PKS3_PKPS1_EviT_T9_T10_S9_lSB_S9_lSA_T11_S9_li.uses_flat_scratch, 0
	.set _ZL29rocblas_internal_gemmt_kernelIlLi16ELi32ELi8ELc84ELc78ELc76ELb0ELb0E19rocblas_complex_numIdEPKS1_PKS3_PKPS1_EviT_T9_T10_S9_lSB_S9_lSA_T11_S9_li.has_dyn_sized_stack, 0
	.set _ZL29rocblas_internal_gemmt_kernelIlLi16ELi32ELi8ELc84ELc78ELc76ELb0ELb0E19rocblas_complex_numIdEPKS1_PKS3_PKPS1_EviT_T9_T10_S9_lSB_S9_lSA_T11_S9_li.has_recursion, 0
	.set _ZL29rocblas_internal_gemmt_kernelIlLi16ELi32ELi8ELc84ELc78ELc76ELb0ELb0E19rocblas_complex_numIdEPKS1_PKS3_PKPS1_EviT_T9_T10_S9_lSB_S9_lSA_T11_S9_li.has_indirect_call, 0
	.section	.AMDGPU.csdata,"",@progbits
; Kernel info:
; codeLenInByte = 3244
; TotalNumSgprs: 50
; NumVgprs: 66
; NumAgprs: 0
; TotalNumVgprs: 66
; ScratchSize: 0
; MemoryBound: 0
; FloatMode: 240
; IeeeMode: 1
; LDSByteSize: 8192 bytes/workgroup (compile time only)
; SGPRBlocks: 6
; VGPRBlocks: 8
; NumSGPRsForWavesPerEU: 50
; NumVGPRsForWavesPerEU: 66
; AccumOffset: 68
; Occupancy: 7
; WaveLimiterHint : 1
; COMPUTE_PGM_RSRC2:SCRATCH_EN: 0
; COMPUTE_PGM_RSRC2:USER_SGPR: 2
; COMPUTE_PGM_RSRC2:TRAP_HANDLER: 0
; COMPUTE_PGM_RSRC2:TGID_X_EN: 1
; COMPUTE_PGM_RSRC2:TGID_Y_EN: 1
; COMPUTE_PGM_RSRC2:TGID_Z_EN: 1
; COMPUTE_PGM_RSRC2:TIDIG_COMP_CNT: 1
; COMPUTE_PGM_RSRC3_GFX90A:ACCUM_OFFSET: 16
; COMPUTE_PGM_RSRC3_GFX90A:TG_SPLIT: 0
	.section	.text._ZL29rocblas_internal_gemmt_kernelIlLi16ELi32ELi8ELc84ELc84ELc76ELb0ELb0E19rocblas_complex_numIdEPKS1_PKS3_PKPS1_EviT_T9_T10_S9_lSB_S9_lSA_T11_S9_li,"axG",@progbits,_ZL29rocblas_internal_gemmt_kernelIlLi16ELi32ELi8ELc84ELc84ELc76ELb0ELb0E19rocblas_complex_numIdEPKS1_PKS3_PKPS1_EviT_T9_T10_S9_lSB_S9_lSA_T11_S9_li,comdat
	.globl	_ZL29rocblas_internal_gemmt_kernelIlLi16ELi32ELi8ELc84ELc84ELc76ELb0ELb0E19rocblas_complex_numIdEPKS1_PKS3_PKPS1_EviT_T9_T10_S9_lSB_S9_lSA_T11_S9_li ; -- Begin function _ZL29rocblas_internal_gemmt_kernelIlLi16ELi32ELi8ELc84ELc84ELc76ELb0ELb0E19rocblas_complex_numIdEPKS1_PKS3_PKPS1_EviT_T9_T10_S9_lSB_S9_lSA_T11_S9_li
	.p2align	8
	.type	_ZL29rocblas_internal_gemmt_kernelIlLi16ELi32ELi8ELc84ELc84ELc76ELb0ELb0E19rocblas_complex_numIdEPKS1_PKS3_PKPS1_EviT_T9_T10_S9_lSB_S9_lSA_T11_S9_li,@function
_ZL29rocblas_internal_gemmt_kernelIlLi16ELi32ELi8ELc84ELc84ELc76ELb0ELb0E19rocblas_complex_numIdEPKS1_PKS3_PKPS1_EviT_T9_T10_S9_lSB_S9_lSA_T11_S9_li: ; @_ZL29rocblas_internal_gemmt_kernelIlLi16ELi32ELi8ELc84ELc84ELc76ELb0ELb0E19rocblas_complex_numIdEPKS1_PKS3_PKPS1_EviT_T9_T10_S9_lSB_S9_lSA_T11_S9_li
; %bb.0:
	s_load_dwordx8 s[24:31], s[0:1], 0x48
	s_load_dwordx16 s[8:23], s[0:1], 0x8
	s_waitcnt lgkmcnt(0)
	s_load_dwordx4 s[36:39], s[24:25], 0x0
	s_load_dwordx4 s[40:43], s[10:11], 0x0
	s_mov_b64 s[24:25], 0
	s_waitcnt lgkmcnt(0)
	v_cmp_eq_f64_e64 s[10:11], s[36:37], 1.0
	v_cmp_eq_f64_e64 s[6:7], s[38:39], 0
	s_and_b64 s[10:11], s[10:11], s[6:7]
	s_andn2_b64 vcc, exec, s[10:11]
	s_mov_b64 s[10:11], -1
	s_cbranch_vccnz .LBB553_4
; %bb.1:
	s_cmp_lg_u64 s[8:9], 0
	s_cbranch_scc0 .LBB553_3
; %bb.2:
	v_cmp_neq_f64_e64 s[10:11], s[40:41], 0
	v_cmp_neq_f64_e64 s[24:25], s[42:43], 0
	s_or_b64 s[24:25], s[10:11], s[24:25]
.LBB553_3:
	s_mov_b64 s[10:11], s[24:25]
.LBB553_4:
	s_and_b64 vcc, exec, s[10:11]
	s_cbranch_vccz .LBB553_34
; %bb.5:
	s_mov_b32 s5, 0
	s_load_dword s24, s[0:1], 0x0
	s_lshl_b64 s[0:1], s[4:5], 3
	s_add_u32 s4, s26, s0
	s_addc_u32 s5, s27, s1
	s_load_dwordx2 s[4:5], s[4:5], 0x0
	s_lshl_b32 s25, s2, 5
	s_lshl_b32 s26, s3, 5
	v_cmp_eq_f64_e64 s[2:3], s[40:41], 0
	v_cmp_eq_f64_e64 s[10:11], s[42:43], 0
	s_and_b64 s[2:3], s[2:3], s[10:11]
	v_cmp_lt_i64_e64 s[10:11], s[8:9], 1
	s_or_b64 s[2:3], s[2:3], s[10:11]
	v_and_b32_e32 v1, 0x3ff, v0
	v_bfe_u32 v3, v0, 10, 10
	v_mov_b64_e32 v[24:25], 0
	s_and_b64 vcc, exec, s[2:3]
	v_mov_b64_e32 v[26:27], 0
	v_mov_b64_e32 v[20:21], 0
	;; [unrolled: 1-line block ×7, first 2 shown]
	s_cbranch_vccnz .LBB553_18
; %bb.6:
	s_add_u32 s2, s18, s0
	s_addc_u32 s3, s19, s1
	s_load_dwordx2 s[2:3], s[2:3], 0x0
	s_lshl_b64 s[10:11], s[22:23], 4
	v_lshl_add_u32 v4, v3, 4, v1
	v_lshrrev_b32_e32 v2, 5, v4
	v_lshrrev_b32_e32 v7, 3, v4
	s_waitcnt lgkmcnt(0)
	s_add_u32 s10, s2, s10
	s_addc_u32 s11, s3, s11
	s_add_u32 s0, s12, s0
	s_addc_u32 s1, s13, s1
	s_load_dwordx2 s[0:1], s[0:1], 0x0
	s_lshl_b64 s[2:3], s[16:17], 4
	v_and_b32_e32 v4, 31, v4
	v_or_b32_e32 v5, s25, v4
	v_lshlrev_b32_e32 v4, 4, v4
	s_waitcnt lgkmcnt(0)
	s_add_u32 s12, s0, s2
	s_addc_u32 s13, s1, s3
	s_ashr_i32 s18, s25, 31
	v_and_b32_e32 v0, 7, v1
	v_cmp_gt_i32_e64 s[0:1], s24, v5
	v_cmp_le_i32_e64 s[2:3], s24, v5
	v_lshl_or_b32 v28, v2, 9, v4
	v_mul_lo_u32 v8, s15, v5
	v_mad_u64_u32 v[4:5], s[16:17], s14, v5, 0
	s_mul_i32 s14, s14, s18
	v_add3_u32 v5, v5, s14, v8
	v_lshlrev_b32_e32 v8, 4, v0
	v_add_u32_e32 v6, s26, v7
	v_lshl_or_b32 v7, v7, 7, v8
	v_cmp_gt_i32_e32 vcc, s24, v6
	v_add_u32_e32 v29, 0x1000, v7
	v_ashrrev_i32_e32 v7, 31, v6
	v_mov_b32_e32 v8, 0x1000
	v_mov_b32_e32 v9, 0
	v_lshl_add_u64 v[4:5], v[4:5], 4, s[12:13]
	v_lshl_add_u64 v[6:7], v[6:7], 4, s[10:11]
	v_lshlrev_b32_e32 v30, 4, v1
	v_lshl_add_u32 v31, v3, 7, v8
	v_mov_b64_e32 v[12:13], 0
	s_mov_b64 s[10:11], 0
	s_xor_b64 s[12:13], vcc, -1
	v_mov_b32_e32 v32, v9
	v_mov_b32_e32 v33, v9
	;; [unrolled: 1-line block ×4, first 2 shown]
	v_mov_b64_e32 v[14:15], 0
	v_mov_b64_e32 v[18:19], 0
	v_mov_b64_e32 v[16:17], 0
	v_mov_b64_e32 v[22:23], 0
	v_mov_b64_e32 v[20:21], 0
	v_mov_b64_e32 v[26:27], 0
	v_mov_b64_e32 v[24:25], 0
                                        ; implicit-def: $vgpr10_vgpr11
	s_branch .LBB553_8
.LBB553_7:                              ;   in Loop: Header=BB553_8 Depth=1
	s_or_b64 exec, exec, s[14:15]
	s_waitcnt lgkmcnt(0)
	s_barrier
	ds_read_b128 v[36:39], v30
	ds_read_b128 v[40:43], v31
	ds_read_b128 v[44:47], v31 offset:16
	ds_read_b128 v[48:51], v31 offset:32
	;; [unrolled: 1-line block ×4, first 2 shown]
	s_waitcnt lgkmcnt(4)
	v_mul_f64 v[60:61], v[42:43], v[38:39]
	v_fma_f64 v[60:61], v[40:41], v[36:37], -v[60:61]
	v_mul_f64 v[62:63], v[40:41], v[38:39]
	v_fmac_f64_e32 v[62:63], v[42:43], v[36:37]
	v_add_f64 v[60:61], v[24:25], v[60:61]
	s_waitcnt lgkmcnt(0)
	v_mul_f64 v[24:25], v[42:43], v[58:59]
	v_add_f64 v[62:63], v[62:63], v[26:27]
	v_fma_f64 v[64:65], v[40:41], v[56:57], -v[24:25]
	ds_read_b128 v[24:27], v31 offset:2048
	v_mul_f64 v[40:41], v[40:41], v[58:59]
	v_fmac_f64_e32 v[40:41], v[42:43], v[56:57]
	v_add_f64 v[42:43], v[20:21], v[64:65]
	v_add_f64 v[40:41], v[40:41], v[22:23]
	ds_read_b128 v[20:23], v31 offset:2064
	s_waitcnt lgkmcnt(1)
	v_mul_f64 v[64:65], v[26:27], v[38:39]
	v_fma_f64 v[64:65], v[24:25], v[36:37], -v[64:65]
	v_mul_f64 v[38:39], v[24:25], v[38:39]
	v_fmac_f64_e32 v[38:39], v[26:27], v[36:37]
	v_add_f64 v[36:37], v[16:17], v[64:65]
	v_mul_f64 v[16:17], v[26:27], v[58:59]
	v_add_f64 v[38:39], v[38:39], v[18:19]
	v_fma_f64 v[64:65], v[24:25], v[56:57], -v[16:17]
	v_mul_f64 v[24:25], v[24:25], v[58:59]
	ds_read_b128 v[16:19], v30 offset:512
	v_fmac_f64_e32 v[24:25], v[26:27], v[56:57]
	v_add_f64 v[26:27], v[14:15], v[64:65]
	v_add_f64 v[24:25], v[24:25], v[12:13]
	ds_read_b128 v[12:15], v30 offset:768
	s_waitcnt lgkmcnt(1)
	v_mul_f64 v[56:57], v[46:47], v[18:19]
	v_fma_f64 v[56:57], v[44:45], v[16:17], -v[56:57]
	v_add_f64 v[56:57], v[60:61], v[56:57]
	v_mul_f64 v[58:59], v[44:45], v[18:19]
	s_waitcnt lgkmcnt(0)
	v_mul_f64 v[60:61], v[46:47], v[14:15]
	v_fma_f64 v[60:61], v[44:45], v[12:13], -v[60:61]
	v_mul_f64 v[44:45], v[44:45], v[14:15]
	v_fmac_f64_e32 v[44:45], v[46:47], v[12:13]
	v_add_f64 v[40:41], v[44:45], v[40:41]
	v_mul_f64 v[44:45], v[22:23], v[18:19]
	v_mul_f64 v[18:19], v[20:21], v[18:19]
	v_fmac_f64_e32 v[58:59], v[46:47], v[16:17]
	v_fma_f64 v[44:45], v[20:21], v[16:17], -v[44:45]
	v_fmac_f64_e32 v[18:19], v[22:23], v[16:17]
	v_mul_f64 v[16:17], v[22:23], v[14:15]
	v_add_f64 v[46:47], v[18:19], v[38:39]
	v_fma_f64 v[18:19], v[20:21], v[12:13], -v[16:17]
	v_mul_f64 v[20:21], v[20:21], v[14:15]
	ds_read_b128 v[14:17], v30 offset:1024
	v_fmac_f64_e32 v[20:21], v[22:23], v[12:13]
	v_add_f64 v[42:43], v[42:43], v[60:61]
	v_add_f64 v[26:27], v[26:27], v[18:19]
	;; [unrolled: 1-line block ×3, first 2 shown]
	ds_read_b128 v[18:21], v30 offset:1280
	s_waitcnt lgkmcnt(1)
	v_mul_f64 v[22:23], v[48:49], v[16:17]
	v_add_f64 v[58:59], v[58:59], v[62:63]
	v_fmac_f64_e32 v[22:23], v[50:51], v[14:15]
	v_add_f64 v[58:59], v[22:23], v[58:59]
	ds_read_b128 v[22:25], v31 offset:2080
	v_mul_f64 v[12:13], v[50:51], v[16:17]
	v_fma_f64 v[12:13], v[48:49], v[14:15], -v[12:13]
	v_add_f64 v[44:45], v[36:37], v[44:45]
	v_add_f64 v[56:57], v[56:57], v[12:13]
	s_waitcnt lgkmcnt(1)
	v_mul_f64 v[12:13], v[50:51], v[20:21]
	v_mul_f64 v[36:37], v[48:49], v[20:21]
	v_fma_f64 v[12:13], v[48:49], v[18:19], -v[12:13]
	v_fmac_f64_e32 v[36:37], v[50:51], v[18:19]
	v_add_f64 v[42:43], v[42:43], v[12:13]
	v_add_f64 v[40:41], v[36:37], v[40:41]
	ds_read_b128 v[36:39], v31 offset:2096
	s_waitcnt lgkmcnt(1)
	v_mul_f64 v[12:13], v[24:25], v[16:17]
	v_fma_f64 v[12:13], v[22:23], v[14:15], -v[12:13]
	v_mul_f64 v[16:17], v[22:23], v[16:17]
	v_fmac_f64_e32 v[16:17], v[24:25], v[14:15]
	v_add_f64 v[44:45], v[44:45], v[12:13]
	v_mul_f64 v[12:13], v[24:25], v[20:21]
	v_add_f64 v[46:47], v[16:17], v[46:47]
	v_fma_f64 v[16:17], v[22:23], v[18:19], -v[12:13]
	ds_read_b128 v[12:15], v30 offset:1536
	v_mul_f64 v[20:21], v[22:23], v[20:21]
	v_fmac_f64_e32 v[20:21], v[24:25], v[18:19]
	v_add_f64 v[22:23], v[26:27], v[16:17]
	ds_read_b128 v[16:19], v30 offset:1792
	s_waitcnt lgkmcnt(1)
	v_mul_f64 v[24:25], v[54:55], v[14:15]
	v_fma_f64 v[24:25], v[52:53], v[12:13], -v[24:25]
	v_mul_f64 v[26:27], v[52:53], v[14:15]
	v_fmac_f64_e32 v[26:27], v[54:55], v[12:13]
	v_add_f64 v[48:49], v[56:57], v[24:25]
	s_waitcnt lgkmcnt(0)
	v_mul_f64 v[24:25], v[54:55], v[18:19]
	v_add_f64 v[50:51], v[26:27], v[58:59]
	v_fma_f64 v[24:25], v[52:53], v[16:17], -v[24:25]
	v_mul_f64 v[26:27], v[52:53], v[18:19]
	v_fmac_f64_e32 v[26:27], v[54:55], v[16:17]
	v_add_f64 v[42:43], v[42:43], v[24:25]
	v_mul_f64 v[24:25], v[38:39], v[14:15]
	v_mul_f64 v[14:15], v[36:37], v[14:15]
	v_add_f64 v[40:41], v[26:27], v[40:41]
	v_fma_f64 v[24:25], v[36:37], v[12:13], -v[24:25]
	v_fmac_f64_e32 v[14:15], v[38:39], v[12:13]
	v_mul_f64 v[12:13], v[38:39], v[18:19]
	v_mul_f64 v[26:27], v[36:37], v[18:19]
	v_add_f64 v[44:45], v[44:45], v[24:25]
	v_add_f64 v[46:47], v[14:15], v[46:47]
	v_fma_f64 v[24:25], v[36:37], v[16:17], -v[12:13]
	v_fmac_f64_e32 v[26:27], v[38:39], v[16:17]
	ds_read_b128 v[12:15], v31 offset:64
	ds_read_b128 v[16:19], v30 offset:2048
	v_add_f64 v[20:21], v[20:21], v[60:61]
	v_add_f64 v[52:53], v[22:23], v[24:25]
	;; [unrolled: 1-line block ×3, first 2 shown]
	ds_read_b128 v[20:23], v30 offset:2304
	ds_read_b128 v[24:27], v31 offset:80
	s_waitcnt lgkmcnt(2)
	v_mul_f64 v[36:37], v[14:15], v[18:19]
	v_fma_f64 v[36:37], v[12:13], v[16:17], -v[36:37]
	v_mul_f64 v[38:39], v[12:13], v[18:19]
	v_fmac_f64_e32 v[38:39], v[14:15], v[16:17]
	v_add_f64 v[48:49], v[48:49], v[36:37]
	s_waitcnt lgkmcnt(1)
	v_mul_f64 v[36:37], v[14:15], v[22:23]
	v_add_f64 v[50:51], v[38:39], v[50:51]
	v_fma_f64 v[56:57], v[12:13], v[20:21], -v[36:37]
	ds_read_b128 v[36:39], v31 offset:2112
	v_mul_f64 v[12:13], v[12:13], v[22:23]
	v_fmac_f64_e32 v[12:13], v[14:15], v[20:21]
	v_add_f64 v[42:43], v[42:43], v[56:57]
	v_add_f64 v[40:41], v[12:13], v[40:41]
	ds_read_b128 v[12:15], v31 offset:2128
	s_waitcnt lgkmcnt(1)
	v_mul_f64 v[56:57], v[38:39], v[18:19]
	v_mul_f64 v[18:19], v[36:37], v[18:19]
	v_fma_f64 v[56:57], v[36:37], v[16:17], -v[56:57]
	v_fmac_f64_e32 v[18:19], v[38:39], v[16:17]
	v_mul_f64 v[16:17], v[38:39], v[22:23]
	v_add_f64 v[44:45], v[44:45], v[56:57]
	v_add_f64 v[46:47], v[18:19], v[46:47]
	v_fma_f64 v[56:57], v[36:37], v[20:21], -v[16:17]
	v_mul_f64 v[22:23], v[36:37], v[22:23]
	ds_read_b128 v[16:19], v30 offset:2560
	v_fmac_f64_e32 v[22:23], v[38:39], v[20:21]
	v_add_f64 v[38:39], v[22:23], v[54:55]
	ds_read_b128 v[20:23], v30 offset:2816
	v_add_f64 v[36:37], v[52:53], v[56:57]
	s_waitcnt lgkmcnt(1)
	v_mul_f64 v[52:53], v[26:27], v[18:19]
	v_fma_f64 v[52:53], v[24:25], v[16:17], -v[52:53]
	v_add_f64 v[48:49], v[48:49], v[52:53]
	s_waitcnt lgkmcnt(0)
	v_mul_f64 v[52:53], v[26:27], v[22:23]
	v_mul_f64 v[54:55], v[24:25], v[18:19]
	v_fma_f64 v[52:53], v[24:25], v[20:21], -v[52:53]
	v_mul_f64 v[24:25], v[24:25], v[22:23]
	v_fmac_f64_e32 v[24:25], v[26:27], v[20:21]
	v_add_f64 v[40:41], v[24:25], v[40:41]
	v_mul_f64 v[24:25], v[14:15], v[18:19]
	v_mul_f64 v[18:19], v[12:13], v[18:19]
	v_fmac_f64_e32 v[54:55], v[26:27], v[16:17]
	v_fma_f64 v[24:25], v[12:13], v[16:17], -v[24:25]
	v_fmac_f64_e32 v[18:19], v[14:15], v[16:17]
	v_mul_f64 v[16:17], v[14:15], v[22:23]
	v_mul_f64 v[22:23], v[12:13], v[22:23]
	v_add_f64 v[44:45], v[44:45], v[24:25]
	v_add_f64 v[46:47], v[18:19], v[46:47]
	v_fma_f64 v[24:25], v[12:13], v[20:21], -v[16:17]
	v_fmac_f64_e32 v[22:23], v[14:15], v[20:21]
	ds_read_b128 v[12:15], v31 offset:96
	ds_read_b128 v[16:19], v30 offset:3072
	v_add_f64 v[50:51], v[54:55], v[50:51]
	v_add_f64 v[42:43], v[42:43], v[52:53]
	;; [unrolled: 1-line block ×4, first 2 shown]
	ds_read_b128 v[20:23], v30 offset:3328
	ds_read_b128 v[36:39], v31 offset:112
	s_waitcnt lgkmcnt(2)
	v_mul_f64 v[24:25], v[14:15], v[18:19]
	v_fma_f64 v[24:25], v[12:13], v[16:17], -v[24:25]
	v_mul_f64 v[26:27], v[12:13], v[18:19]
	v_fmac_f64_e32 v[26:27], v[14:15], v[16:17]
	v_add_f64 v[48:49], v[48:49], v[24:25]
	s_waitcnt lgkmcnt(1)
	v_mul_f64 v[24:25], v[14:15], v[22:23]
	v_add_f64 v[50:51], v[26:27], v[50:51]
	v_fma_f64 v[56:57], v[12:13], v[20:21], -v[24:25]
	ds_read_b128 v[24:27], v31 offset:2144
	v_mul_f64 v[12:13], v[12:13], v[22:23]
	v_fmac_f64_e32 v[12:13], v[14:15], v[20:21]
	v_add_f64 v[58:59], v[12:13], v[40:41]
	ds_read_b128 v[12:15], v31 offset:2160
	s_waitcnt lgkmcnt(1)
	v_mul_f64 v[40:41], v[26:27], v[18:19]
	v_mul_f64 v[18:19], v[24:25], v[18:19]
	v_fma_f64 v[40:41], v[24:25], v[16:17], -v[40:41]
	v_fmac_f64_e32 v[18:19], v[26:27], v[16:17]
	v_mul_f64 v[16:17], v[26:27], v[22:23]
	v_add_f64 v[44:45], v[44:45], v[40:41]
	v_add_f64 v[46:47], v[18:19], v[46:47]
	v_fma_f64 v[40:41], v[24:25], v[20:21], -v[16:17]
	ds_read_b128 v[16:19], v30 offset:3584
	v_add_f64 v[56:57], v[42:43], v[56:57]
	v_add_f64 v[52:53], v[52:53], v[40:41]
	ds_read_b128 v[40:43], v30 offset:3840
	v_mul_f64 v[22:23], v[24:25], v[22:23]
	v_fmac_f64_e32 v[22:23], v[26:27], v[20:21]
	s_waitcnt lgkmcnt(1)
	v_mul_f64 v[20:21], v[38:39], v[18:19]
	v_add_f64 v[54:55], v[22:23], v[54:55]
	v_fma_f64 v[20:21], v[36:37], v[16:17], -v[20:21]
	v_mul_f64 v[22:23], v[36:37], v[18:19]
	v_fmac_f64_e32 v[22:23], v[38:39], v[16:17]
	v_add_f64 v[24:25], v[48:49], v[20:21]
	s_waitcnt lgkmcnt(0)
	v_mul_f64 v[20:21], v[38:39], v[42:43]
	v_add_f64 v[26:27], v[22:23], v[50:51]
	v_fma_f64 v[20:21], v[36:37], v[40:41], -v[20:21]
	v_mul_f64 v[22:23], v[36:37], v[42:43]
	v_mul_f64 v[36:37], v[14:15], v[18:19]
	v_fma_f64 v[36:37], v[12:13], v[16:17], -v[36:37]
	v_mul_f64 v[18:19], v[12:13], v[18:19]
	v_fmac_f64_e32 v[18:19], v[14:15], v[16:17]
	v_add_f64 v[16:17], v[44:45], v[36:37]
	v_mul_f64 v[36:37], v[14:15], v[42:43]
	s_add_u32 s10, s10, 8
	v_fma_f64 v[36:37], v[12:13], v[40:41], -v[36:37]
	v_mul_f64 v[12:13], v[12:13], v[42:43]
	s_addc_u32 s11, s11, 0
	v_fmac_f64_e32 v[12:13], v[14:15], v[40:41]
	v_add_f64 v[14:15], v[52:53], v[36:37]
	v_mov_b64_e32 v[36:37], s[10:11]
	v_fmac_f64_e32 v[22:23], v[38:39], v[40:41]
	v_cmp_gt_i64_e32 vcc, s[8:9], v[36:37]
	v_add_f64 v[20:21], v[56:57], v[20:21]
	v_add_f64 v[22:23], v[22:23], v[58:59]
	v_add_f64 v[18:19], v[18:19], v[46:47]
	v_add_f64 v[12:13], v[12:13], v[54:55]
	s_barrier
	s_cbranch_vccz .LBB553_18
.LBB553_8:                              ; =>This Inner Loop Header: Depth=1
	s_mov_b64 s[18:19], s[2:3]
	s_mov_b64 s[14:15], 0
	s_and_saveexec_b64 s[16:17], s[0:1]
	s_cbranch_execnz .LBB553_16
; %bb.9:                                ;   in Loop: Header=BB553_8 Depth=1
	s_or_b64 exec, exec, s[16:17]
	s_and_saveexec_b64 s[16:17], s[18:19]
	s_xor_b64 s[16:17], exec, s[16:17]
	s_cbranch_execnz .LBB553_17
.LBB553_10:                             ;   in Loop: Header=BB553_8 Depth=1
	s_or_b64 exec, exec, s[16:17]
	s_and_saveexec_b64 s[16:17], s[14:15]
	s_cbranch_execz .LBB553_12
.LBB553_11:                             ;   in Loop: Header=BB553_8 Depth=1
	v_lshl_add_u64 v[36:37], v[10:11], 4, v[4:5]
	flat_load_dwordx4 v[36:39], v[36:37]
	s_waitcnt vmcnt(0) lgkmcnt(0)
	ds_write2_b64 v28, v[36:37], v[38:39] offset1:1
.LBB553_12:                             ;   in Loop: Header=BB553_8 Depth=1
	s_or_b64 exec, exec, s[16:17]
	v_add_u32_e32 v8, s10, v0
	v_cmp_le_u64_e32 vcc, s[8:9], v[8:9]
	s_or_b64 s[14:15], vcc, s[12:13]
	s_and_saveexec_b64 s[16:17], s[14:15]
	s_xor_b64 s[14:15], exec, s[16:17]
; %bb.13:                               ;   in Loop: Header=BB553_8 Depth=1
	ds_write_b128 v29, v[32:35]
; %bb.14:                               ;   in Loop: Header=BB553_8 Depth=1
	s_andn2_saveexec_b64 s[14:15], s[14:15]
	s_cbranch_execz .LBB553_7
; %bb.15:                               ;   in Loop: Header=BB553_8 Depth=1
	v_mad_u64_u32 v[36:37], s[16:17], s20, v8, 0
	v_mov_b32_e32 v38, v37
	v_mad_u64_u32 v[38:39], s[16:17], s21, v8, v[38:39]
	v_mov_b32_e32 v37, v38
	v_lshl_add_u64 v[36:37], v[36:37], 4, v[6:7]
	flat_load_dwordx4 v[36:39], v[36:37]
	s_waitcnt vmcnt(0) lgkmcnt(0)
	ds_write2_b64 v29, v[36:37], v[38:39] offset1:1
	s_branch .LBB553_7
.LBB553_16:                             ;   in Loop: Header=BB553_8 Depth=1
	v_add_u32_e32 v8, s10, v2
	v_cmp_le_u64_e32 vcc, s[8:9], v[8:9]
	s_andn2_b64 s[18:19], s[2:3], exec
	s_and_b64 s[22:23], vcc, exec
	s_mov_b64 s[14:15], exec
	s_or_b64 s[18:19], s[18:19], s[22:23]
	v_mov_b64_e32 v[10:11], v[8:9]
	s_or_b64 exec, exec, s[16:17]
	s_and_saveexec_b64 s[16:17], s[18:19]
	s_xor_b64 s[16:17], exec, s[16:17]
	s_cbranch_execz .LBB553_10
.LBB553_17:                             ;   in Loop: Header=BB553_8 Depth=1
	ds_write_b128 v28, v[32:35]
	s_andn2_b64 s[14:15], s[14:15], exec
	s_or_b64 exec, exec, s[16:17]
	s_and_saveexec_b64 s[16:17], s[14:15]
	s_cbranch_execnz .LBB553_11
	s_branch .LBB553_12
.LBB553_18:
	s_lshl_b64 s[0:1], s[30:31], 4
	v_add_u32_e32 v10, s26, v3
	s_waitcnt lgkmcnt(0)
	s_add_u32 s8, s4, s0
	v_ashrrev_i32_e32 v0, 31, v10
	s_addc_u32 s9, s5, s1
	v_add_u32_e32 v4, s25, v1
	v_cmp_neq_f64_e64 s[0:1], s[36:37], 0
	s_xor_b64 s[4:5], s[6:7], -1
	v_mul_lo_u32 v2, s28, v0
	v_mul_lo_u32 v3, s29, v10
	v_mad_u64_u32 v[0:1], s[2:3], s28, v10, 0
	v_add3_u32 v1, v1, v2, v3
	s_or_b64 s[0:1], s[0:1], s[4:5]
	v_lshl_add_u64 v[8:9], v[0:1], 4, s[8:9]
	v_cmp_le_i32_e32 vcc, v10, v4
	v_cmp_gt_i32_e64 s[2:3], s24, v4
	v_cndmask_b32_e64 v0, 0, 1, s[0:1]
	s_and_b64 s[6:7], vcc, s[2:3]
	v_ashrrev_i32_e32 v5, 31, v4
	v_cmp_ne_u32_e64 s[0:1], 1, v0
	s_and_saveexec_b64 s[4:5], s[6:7]
	s_cbranch_execz .LBB553_22
; %bb.19:
	v_mul_f64 v[0:1], s[42:43], v[26:27]
	v_mul_f64 v[2:3], s[40:41], v[26:27]
	v_fma_f64 v[0:1], s[40:41], v[24:25], -v[0:1]
	v_fmac_f64_e32 v[2:3], s[42:43], v[24:25]
	s_and_b64 vcc, exec, s[0:1]
	v_lshl_add_u64 v[6:7], v[4:5], 4, v[8:9]
	s_cbranch_vccnz .LBB553_21
; %bb.20:
	flat_load_dwordx4 v[24:27], v[6:7]
	s_waitcnt vmcnt(0) lgkmcnt(0)
	v_mul_f64 v[28:29], s[38:39], v[26:27]
	v_mul_f64 v[26:27], s[36:37], v[26:27]
	v_fma_f64 v[28:29], s[36:37], v[24:25], -v[28:29]
	v_fmac_f64_e32 v[26:27], s[38:39], v[24:25]
	v_add_f64 v[0:1], v[0:1], v[28:29]
	v_add_f64 v[2:3], v[2:3], v[26:27]
.LBB553_21:
	flat_store_dwordx4 v[6:7], v[0:3]
.LBB553_22:
	s_or_b64 exec, exec, s[4:5]
	v_add_u32_e32 v6, 16, v4
	v_cmp_le_i32_e32 vcc, v10, v6
	v_cmp_gt_i32_e64 s[4:5], s24, v6
	s_and_b64 s[10:11], vcc, s[4:5]
	v_ashrrev_i32_e32 v7, 31, v6
	s_and_saveexec_b64 s[6:7], s[10:11]
	s_cbranch_execz .LBB553_26
; %bb.23:
	v_mul_f64 v[0:1], s[42:43], v[22:23]
	v_mul_f64 v[2:3], s[40:41], v[22:23]
	v_fma_f64 v[0:1], s[40:41], v[20:21], -v[0:1]
	v_fmac_f64_e32 v[2:3], s[42:43], v[20:21]
	s_and_b64 vcc, exec, s[0:1]
	v_lshl_add_u64 v[8:9], v[6:7], 4, v[8:9]
	s_cbranch_vccnz .LBB553_25
; %bb.24:
	flat_load_dwordx4 v[20:23], v[8:9]
	s_waitcnt vmcnt(0) lgkmcnt(0)
	v_mul_f64 v[24:25], s[38:39], v[22:23]
	v_mul_f64 v[22:23], s[36:37], v[22:23]
	v_fma_f64 v[24:25], s[36:37], v[20:21], -v[24:25]
	v_fmac_f64_e32 v[22:23], s[38:39], v[20:21]
	v_add_f64 v[0:1], v[0:1], v[24:25]
	v_add_f64 v[2:3], v[2:3], v[22:23]
.LBB553_25:
	flat_store_dwordx4 v[8:9], v[0:3]
.LBB553_26:
	s_or_b64 exec, exec, s[6:7]
	v_add_u32_e32 v10, 16, v10
	v_ashrrev_i32_e32 v0, 31, v10
	v_mul_lo_u32 v2, s28, v0
	v_mul_lo_u32 v3, s29, v10
	v_mad_u64_u32 v[0:1], s[6:7], s28, v10, 0
	v_add3_u32 v1, v1, v2, v3
	v_cmp_le_i32_e32 vcc, v10, v4
	v_lshl_add_u64 v[8:9], v[0:1], 4, s[8:9]
	s_and_b64 s[6:7], vcc, s[2:3]
	s_and_saveexec_b64 s[2:3], s[6:7]
	s_cbranch_execz .LBB553_30
; %bb.27:
	v_mul_f64 v[0:1], s[42:43], v[18:19]
	v_mul_f64 v[2:3], s[40:41], v[18:19]
	v_fma_f64 v[0:1], s[40:41], v[16:17], -v[0:1]
	v_fmac_f64_e32 v[2:3], s[42:43], v[16:17]
	s_and_b64 vcc, exec, s[0:1]
	v_lshl_add_u64 v[4:5], v[4:5], 4, v[8:9]
	s_cbranch_vccnz .LBB553_29
; %bb.28:
	flat_load_dwordx4 v[16:19], v[4:5]
	s_waitcnt vmcnt(0) lgkmcnt(0)
	v_mul_f64 v[20:21], s[38:39], v[18:19]
	v_mul_f64 v[18:19], s[36:37], v[18:19]
	v_fma_f64 v[20:21], s[36:37], v[16:17], -v[20:21]
	v_fmac_f64_e32 v[18:19], s[38:39], v[16:17]
	v_add_f64 v[0:1], v[0:1], v[20:21]
	v_add_f64 v[2:3], v[2:3], v[18:19]
.LBB553_29:
	flat_store_dwordx4 v[4:5], v[0:3]
.LBB553_30:
	s_or_b64 exec, exec, s[2:3]
	v_cmp_le_i32_e32 vcc, v10, v6
	s_and_b64 s[2:3], vcc, s[4:5]
	s_and_saveexec_b64 s[4:5], s[2:3]
	s_cbranch_execz .LBB553_34
; %bb.31:
	v_mul_f64 v[0:1], s[42:43], v[12:13]
	v_mul_f64 v[2:3], s[40:41], v[12:13]
	v_fma_f64 v[0:1], s[40:41], v[14:15], -v[0:1]
	v_fmac_f64_e32 v[2:3], s[42:43], v[14:15]
	s_and_b64 vcc, exec, s[0:1]
	v_lshl_add_u64 v[4:5], v[6:7], 4, v[8:9]
	s_cbranch_vccnz .LBB553_33
; %bb.32:
	flat_load_dwordx4 v[6:9], v[4:5]
	s_waitcnt vmcnt(0) lgkmcnt(0)
	v_mul_f64 v[10:11], s[38:39], v[8:9]
	v_mul_f64 v[8:9], s[36:37], v[8:9]
	v_fma_f64 v[10:11], s[36:37], v[6:7], -v[10:11]
	v_fmac_f64_e32 v[8:9], s[38:39], v[6:7]
	v_add_f64 v[0:1], v[0:1], v[10:11]
	v_add_f64 v[2:3], v[2:3], v[8:9]
.LBB553_33:
	flat_store_dwordx4 v[4:5], v[0:3]
.LBB553_34:
	s_endpgm
	.section	.rodata,"a",@progbits
	.p2align	6, 0x0
	.amdhsa_kernel _ZL29rocblas_internal_gemmt_kernelIlLi16ELi32ELi8ELc84ELc84ELc76ELb0ELb0E19rocblas_complex_numIdEPKS1_PKS3_PKPS1_EviT_T9_T10_S9_lSB_S9_lSA_T11_S9_li
		.amdhsa_group_segment_fixed_size 8192
		.amdhsa_private_segment_fixed_size 0
		.amdhsa_kernarg_size 108
		.amdhsa_user_sgpr_count 2
		.amdhsa_user_sgpr_dispatch_ptr 0
		.amdhsa_user_sgpr_queue_ptr 0
		.amdhsa_user_sgpr_kernarg_segment_ptr 1
		.amdhsa_user_sgpr_dispatch_id 0
		.amdhsa_user_sgpr_kernarg_preload_length 0
		.amdhsa_user_sgpr_kernarg_preload_offset 0
		.amdhsa_user_sgpr_private_segment_size 0
		.amdhsa_uses_dynamic_stack 0
		.amdhsa_enable_private_segment 0
		.amdhsa_system_sgpr_workgroup_id_x 1
		.amdhsa_system_sgpr_workgroup_id_y 1
		.amdhsa_system_sgpr_workgroup_id_z 1
		.amdhsa_system_sgpr_workgroup_info 0
		.amdhsa_system_vgpr_workitem_id 1
		.amdhsa_next_free_vgpr 66
		.amdhsa_next_free_sgpr 44
		.amdhsa_accum_offset 68
		.amdhsa_reserve_vcc 1
		.amdhsa_float_round_mode_32 0
		.amdhsa_float_round_mode_16_64 0
		.amdhsa_float_denorm_mode_32 3
		.amdhsa_float_denorm_mode_16_64 3
		.amdhsa_dx10_clamp 1
		.amdhsa_ieee_mode 1
		.amdhsa_fp16_overflow 0
		.amdhsa_tg_split 0
		.amdhsa_exception_fp_ieee_invalid_op 0
		.amdhsa_exception_fp_denorm_src 0
		.amdhsa_exception_fp_ieee_div_zero 0
		.amdhsa_exception_fp_ieee_overflow 0
		.amdhsa_exception_fp_ieee_underflow 0
		.amdhsa_exception_fp_ieee_inexact 0
		.amdhsa_exception_int_div_zero 0
	.end_amdhsa_kernel
	.section	.text._ZL29rocblas_internal_gemmt_kernelIlLi16ELi32ELi8ELc84ELc84ELc76ELb0ELb0E19rocblas_complex_numIdEPKS1_PKS3_PKPS1_EviT_T9_T10_S9_lSB_S9_lSA_T11_S9_li,"axG",@progbits,_ZL29rocblas_internal_gemmt_kernelIlLi16ELi32ELi8ELc84ELc84ELc76ELb0ELb0E19rocblas_complex_numIdEPKS1_PKS3_PKPS1_EviT_T9_T10_S9_lSB_S9_lSA_T11_S9_li,comdat
.Lfunc_end553:
	.size	_ZL29rocblas_internal_gemmt_kernelIlLi16ELi32ELi8ELc84ELc84ELc76ELb0ELb0E19rocblas_complex_numIdEPKS1_PKS3_PKPS1_EviT_T9_T10_S9_lSB_S9_lSA_T11_S9_li, .Lfunc_end553-_ZL29rocblas_internal_gemmt_kernelIlLi16ELi32ELi8ELc84ELc84ELc76ELb0ELb0E19rocblas_complex_numIdEPKS1_PKS3_PKPS1_EviT_T9_T10_S9_lSB_S9_lSA_T11_S9_li
                                        ; -- End function
	.set _ZL29rocblas_internal_gemmt_kernelIlLi16ELi32ELi8ELc84ELc84ELc76ELb0ELb0E19rocblas_complex_numIdEPKS1_PKS3_PKPS1_EviT_T9_T10_S9_lSB_S9_lSA_T11_S9_li.num_vgpr, 66
	.set _ZL29rocblas_internal_gemmt_kernelIlLi16ELi32ELi8ELc84ELc84ELc76ELb0ELb0E19rocblas_complex_numIdEPKS1_PKS3_PKPS1_EviT_T9_T10_S9_lSB_S9_lSA_T11_S9_li.num_agpr, 0
	.set _ZL29rocblas_internal_gemmt_kernelIlLi16ELi32ELi8ELc84ELc84ELc76ELb0ELb0E19rocblas_complex_numIdEPKS1_PKS3_PKPS1_EviT_T9_T10_S9_lSB_S9_lSA_T11_S9_li.numbered_sgpr, 44
	.set _ZL29rocblas_internal_gemmt_kernelIlLi16ELi32ELi8ELc84ELc84ELc76ELb0ELb0E19rocblas_complex_numIdEPKS1_PKS3_PKPS1_EviT_T9_T10_S9_lSB_S9_lSA_T11_S9_li.num_named_barrier, 0
	.set _ZL29rocblas_internal_gemmt_kernelIlLi16ELi32ELi8ELc84ELc84ELc76ELb0ELb0E19rocblas_complex_numIdEPKS1_PKS3_PKPS1_EviT_T9_T10_S9_lSB_S9_lSA_T11_S9_li.private_seg_size, 0
	.set _ZL29rocblas_internal_gemmt_kernelIlLi16ELi32ELi8ELc84ELc84ELc76ELb0ELb0E19rocblas_complex_numIdEPKS1_PKS3_PKPS1_EviT_T9_T10_S9_lSB_S9_lSA_T11_S9_li.uses_vcc, 1
	.set _ZL29rocblas_internal_gemmt_kernelIlLi16ELi32ELi8ELc84ELc84ELc76ELb0ELb0E19rocblas_complex_numIdEPKS1_PKS3_PKPS1_EviT_T9_T10_S9_lSB_S9_lSA_T11_S9_li.uses_flat_scratch, 0
	.set _ZL29rocblas_internal_gemmt_kernelIlLi16ELi32ELi8ELc84ELc84ELc76ELb0ELb0E19rocblas_complex_numIdEPKS1_PKS3_PKPS1_EviT_T9_T10_S9_lSB_S9_lSA_T11_S9_li.has_dyn_sized_stack, 0
	.set _ZL29rocblas_internal_gemmt_kernelIlLi16ELi32ELi8ELc84ELc84ELc76ELb0ELb0E19rocblas_complex_numIdEPKS1_PKS3_PKPS1_EviT_T9_T10_S9_lSB_S9_lSA_T11_S9_li.has_recursion, 0
	.set _ZL29rocblas_internal_gemmt_kernelIlLi16ELi32ELi8ELc84ELc84ELc76ELb0ELb0E19rocblas_complex_numIdEPKS1_PKS3_PKPS1_EviT_T9_T10_S9_lSB_S9_lSA_T11_S9_li.has_indirect_call, 0
	.section	.AMDGPU.csdata,"",@progbits
; Kernel info:
; codeLenInByte = 3236
; TotalNumSgprs: 50
; NumVgprs: 66
; NumAgprs: 0
; TotalNumVgprs: 66
; ScratchSize: 0
; MemoryBound: 0
; FloatMode: 240
; IeeeMode: 1
; LDSByteSize: 8192 bytes/workgroup (compile time only)
; SGPRBlocks: 6
; VGPRBlocks: 8
; NumSGPRsForWavesPerEU: 50
; NumVGPRsForWavesPerEU: 66
; AccumOffset: 68
; Occupancy: 7
; WaveLimiterHint : 1
; COMPUTE_PGM_RSRC2:SCRATCH_EN: 0
; COMPUTE_PGM_RSRC2:USER_SGPR: 2
; COMPUTE_PGM_RSRC2:TRAP_HANDLER: 0
; COMPUTE_PGM_RSRC2:TGID_X_EN: 1
; COMPUTE_PGM_RSRC2:TGID_Y_EN: 1
; COMPUTE_PGM_RSRC2:TGID_Z_EN: 1
; COMPUTE_PGM_RSRC2:TIDIG_COMP_CNT: 1
; COMPUTE_PGM_RSRC3_GFX90A:ACCUM_OFFSET: 16
; COMPUTE_PGM_RSRC3_GFX90A:TG_SPLIT: 0
	.section	.text._ZL29rocblas_internal_gemmt_kernelIlLi16ELi32ELi8ELc84ELc67ELc76ELb0ELb1E19rocblas_complex_numIdEPKS1_PKS3_PKPS1_EviT_T9_T10_S9_lSB_S9_lSA_T11_S9_li,"axG",@progbits,_ZL29rocblas_internal_gemmt_kernelIlLi16ELi32ELi8ELc84ELc67ELc76ELb0ELb1E19rocblas_complex_numIdEPKS1_PKS3_PKPS1_EviT_T9_T10_S9_lSB_S9_lSA_T11_S9_li,comdat
	.globl	_ZL29rocblas_internal_gemmt_kernelIlLi16ELi32ELi8ELc84ELc67ELc76ELb0ELb1E19rocblas_complex_numIdEPKS1_PKS3_PKPS1_EviT_T9_T10_S9_lSB_S9_lSA_T11_S9_li ; -- Begin function _ZL29rocblas_internal_gemmt_kernelIlLi16ELi32ELi8ELc84ELc67ELc76ELb0ELb1E19rocblas_complex_numIdEPKS1_PKS3_PKPS1_EviT_T9_T10_S9_lSB_S9_lSA_T11_S9_li
	.p2align	8
	.type	_ZL29rocblas_internal_gemmt_kernelIlLi16ELi32ELi8ELc84ELc67ELc76ELb0ELb1E19rocblas_complex_numIdEPKS1_PKS3_PKPS1_EviT_T9_T10_S9_lSB_S9_lSA_T11_S9_li,@function
_ZL29rocblas_internal_gemmt_kernelIlLi16ELi32ELi8ELc84ELc67ELc76ELb0ELb1E19rocblas_complex_numIdEPKS1_PKS3_PKPS1_EviT_T9_T10_S9_lSB_S9_lSA_T11_S9_li: ; @_ZL29rocblas_internal_gemmt_kernelIlLi16ELi32ELi8ELc84ELc67ELc76ELb0ELb1E19rocblas_complex_numIdEPKS1_PKS3_PKPS1_EviT_T9_T10_S9_lSB_S9_lSA_T11_S9_li
; %bb.0:
	s_load_dwordx8 s[24:31], s[0:1], 0x48
	s_load_dwordx16 s[8:23], s[0:1], 0x8
	s_waitcnt lgkmcnt(0)
	s_load_dwordx4 s[36:39], s[24:25], 0x0
	s_load_dwordx4 s[40:43], s[10:11], 0x0
	s_mov_b64 s[24:25], 0
	s_waitcnt lgkmcnt(0)
	v_cmp_eq_f64_e64 s[10:11], s[36:37], 1.0
	v_cmp_eq_f64_e64 s[6:7], s[38:39], 0
	s_and_b64 s[10:11], s[10:11], s[6:7]
	s_andn2_b64 vcc, exec, s[10:11]
	s_mov_b64 s[10:11], -1
	s_cbranch_vccnz .LBB554_4
; %bb.1:
	s_cmp_lg_u64 s[8:9], 0
	s_cbranch_scc0 .LBB554_3
; %bb.2:
	v_cmp_neq_f64_e64 s[10:11], s[40:41], 0
	v_cmp_neq_f64_e64 s[24:25], s[42:43], 0
	s_or_b64 s[24:25], s[10:11], s[24:25]
.LBB554_3:
	s_mov_b64 s[10:11], s[24:25]
.LBB554_4:
	s_and_b64 vcc, exec, s[10:11]
	s_cbranch_vccz .LBB554_32
; %bb.5:
	s_mov_b32 s5, 0
	s_load_dword s24, s[0:1], 0x0
	s_lshl_b64 s[0:1], s[4:5], 3
	s_add_u32 s4, s26, s0
	s_addc_u32 s5, s27, s1
	s_load_dwordx2 s[4:5], s[4:5], 0x0
	s_lshl_b32 s25, s2, 5
	s_lshl_b32 s26, s3, 5
	v_cmp_eq_f64_e64 s[2:3], s[40:41], 0
	v_cmp_eq_f64_e64 s[10:11], s[42:43], 0
	s_and_b64 s[2:3], s[2:3], s[10:11]
	v_cmp_lt_i64_e64 s[10:11], s[8:9], 1
	s_or_b64 s[2:3], s[2:3], s[10:11]
	v_and_b32_e32 v5, 0x3ff, v0
	v_bfe_u32 v7, v0, 10, 10
	v_mov_b64_e32 v[28:29], 0
	s_and_b64 vcc, exec, s[2:3]
	v_mov_b64_e32 v[30:31], 0
	v_mov_b64_e32 v[24:25], 0
	;; [unrolled: 1-line block ×7, first 2 shown]
	s_cbranch_vccnz .LBB554_16
; %bb.6:
	s_add_u32 s2, s18, s0
	s_addc_u32 s3, s19, s1
	s_load_dwordx2 s[2:3], s[2:3], 0x0
	s_lshl_b64 s[10:11], s[22:23], 4
	v_lshl_add_u32 v1, v7, 4, v5
	v_lshrrev_b32_e32 v6, 5, v1
	v_lshrrev_b32_e32 v10, 3, v1
	s_waitcnt lgkmcnt(0)
	s_add_u32 s18, s2, s10
	s_addc_u32 s19, s3, s11
	s_add_u32 s0, s12, s0
	s_addc_u32 s1, s13, s1
	s_load_dwordx2 s[0:1], s[0:1], 0x0
	v_and_b32_e32 v1, 31, v1
	s_lshl_b64 s[2:3], s[16:17], 4
	v_or_b32_e32 v2, s25, v1
	v_lshlrev_b32_e32 v1, 4, v1
	s_waitcnt lgkmcnt(0)
	s_add_u32 s2, s0, s2
	s_addc_u32 s3, s1, s3
	v_cmp_gt_i32_e64 s[0:1], s24, v2
	v_cmp_le_i32_e64 s[10:11], s24, v2
	v_lshl_or_b32 v32, v6, 9, v1
	s_ashr_i32 s16, s25, 31
	v_mul_lo_u32 v1, s15, v2
	v_mad_u64_u32 v[2:3], s[12:13], s14, v2, 0
	v_and_b32_e32 v4, 7, v5
	s_mul_i32 s12, s14, s16
	v_add3_u32 v3, v3, s12, v1
	v_lshlrev_b32_e32 v1, 4, v4
	v_add_u32_e32 v0, s26, v10
	v_lshl_or_b32 v1, v10, 7, v1
	v_add_u32_e32 v33, 0x1000, v1
	v_ashrrev_i32_e32 v1, 31, v0
	v_lshl_add_u64 v[8:9], v[2:3], 4, s[2:3]
	v_cmp_gt_i32_e64 s[2:3], s24, v0
	v_lshl_add_u64 v[10:11], v[0:1], 4, s[18:19]
	v_mov_b32_e32 v0, 0x1000
	v_mov_b32_e32 v13, 0
	v_lshlrev_b32_e32 v34, 4, v5
	v_lshl_add_u32 v35, v7, 7, v0
	v_mov_b64_e32 v[16:17], 0
	s_mov_b64 s[12:13], 0
	v_mov_b32_e32 v36, v13
	v_mov_b32_e32 v37, v13
	;; [unrolled: 1-line block ×4, first 2 shown]
	v_mov_b64_e32 v[18:19], 0
	v_mov_b64_e32 v[22:23], 0
	;; [unrolled: 1-line block ×7, first 2 shown]
                                        ; implicit-def: $vgpr14_vgpr15
	s_branch .LBB554_8
.LBB554_7:                              ;   in Loop: Header=BB554_8 Depth=1
	s_or_b64 exec, exec, s[14:15]
	ds_write_b128 v33, v[0:3]
	s_waitcnt lgkmcnt(0)
	s_barrier
	ds_read_b128 v[0:3], v34
	ds_read_b128 v[40:43], v35
	ds_read_b128 v[44:47], v35 offset:16
	ds_read_b128 v[48:51], v35 offset:32
	;; [unrolled: 1-line block ×4, first 2 shown]
	s_waitcnt lgkmcnt(4)
	v_mul_f64 v[60:61], v[42:43], v[2:3]
	v_fma_f64 v[60:61], v[40:41], v[0:1], -v[60:61]
	v_mul_f64 v[62:63], v[40:41], v[2:3]
	v_fmac_f64_e32 v[62:63], v[42:43], v[0:1]
	v_add_f64 v[60:61], v[28:29], v[60:61]
	s_waitcnt lgkmcnt(0)
	v_mul_f64 v[28:29], v[42:43], v[58:59]
	v_add_f64 v[62:63], v[62:63], v[30:31]
	v_fma_f64 v[64:65], v[40:41], v[56:57], -v[28:29]
	ds_read_b128 v[28:31], v35 offset:2048
	v_mul_f64 v[40:41], v[40:41], v[58:59]
	v_fmac_f64_e32 v[40:41], v[42:43], v[56:57]
	v_add_f64 v[42:43], v[24:25], v[64:65]
	v_add_f64 v[40:41], v[40:41], v[26:27]
	ds_read_b128 v[24:27], v35 offset:2064
	s_waitcnt lgkmcnt(1)
	v_mul_f64 v[64:65], v[30:31], v[2:3]
	v_mul_f64 v[2:3], v[28:29], v[2:3]
	v_fma_f64 v[64:65], v[28:29], v[0:1], -v[64:65]
	v_fmac_f64_e32 v[2:3], v[30:31], v[0:1]
	v_mul_f64 v[0:1], v[30:31], v[58:59]
	v_add_f64 v[20:21], v[20:21], v[64:65]
	v_add_f64 v[22:23], v[2:3], v[22:23]
	v_fma_f64 v[64:65], v[28:29], v[56:57], -v[0:1]
	v_mul_f64 v[28:29], v[28:29], v[58:59]
	ds_read_b128 v[0:3], v34 offset:512
	v_fmac_f64_e32 v[28:29], v[30:31], v[56:57]
	v_add_f64 v[30:31], v[18:19], v[64:65]
	v_add_f64 v[28:29], v[28:29], v[16:17]
	ds_read_b128 v[16:19], v34 offset:768
	s_waitcnt lgkmcnt(1)
	v_mul_f64 v[56:57], v[46:47], v[2:3]
	v_fma_f64 v[56:57], v[44:45], v[0:1], -v[56:57]
	v_add_f64 v[56:57], v[60:61], v[56:57]
	v_mul_f64 v[58:59], v[44:45], v[2:3]
	s_waitcnt lgkmcnt(0)
	v_mul_f64 v[60:61], v[46:47], v[18:19]
	v_fma_f64 v[60:61], v[44:45], v[16:17], -v[60:61]
	v_mul_f64 v[44:45], v[44:45], v[18:19]
	v_fmac_f64_e32 v[44:45], v[46:47], v[16:17]
	v_add_f64 v[40:41], v[44:45], v[40:41]
	v_mul_f64 v[44:45], v[26:27], v[2:3]
	v_mul_f64 v[2:3], v[24:25], v[2:3]
	v_fmac_f64_e32 v[58:59], v[46:47], v[0:1]
	v_fma_f64 v[44:45], v[24:25], v[0:1], -v[44:45]
	v_fmac_f64_e32 v[2:3], v[26:27], v[0:1]
	v_mul_f64 v[0:1], v[26:27], v[18:19]
	v_add_f64 v[44:45], v[20:21], v[44:45]
	v_add_f64 v[46:47], v[2:3], v[22:23]
	v_fma_f64 v[20:21], v[24:25], v[16:17], -v[0:1]
	v_mul_f64 v[18:19], v[24:25], v[18:19]
	ds_read_b128 v[0:3], v34 offset:1024
	v_fmac_f64_e32 v[18:19], v[26:27], v[16:17]
	v_add_f64 v[28:29], v[18:19], v[28:29]
	ds_read_b128 v[16:19], v34 offset:1280
	v_add_f64 v[30:31], v[30:31], v[20:21]
	s_waitcnt lgkmcnt(1)
	v_mul_f64 v[20:21], v[50:51], v[2:3]
	v_fma_f64 v[20:21], v[48:49], v[0:1], -v[20:21]
	v_mul_f64 v[22:23], v[48:49], v[2:3]
	v_add_f64 v[58:59], v[58:59], v[62:63]
	v_fmac_f64_e32 v[22:23], v[50:51], v[0:1]
	v_add_f64 v[56:57], v[56:57], v[20:21]
	s_waitcnt lgkmcnt(0)
	v_mul_f64 v[20:21], v[50:51], v[18:19]
	v_add_f64 v[58:59], v[22:23], v[58:59]
	v_fma_f64 v[24:25], v[48:49], v[16:17], -v[20:21]
	ds_read_b128 v[20:23], v35 offset:2080
	v_mul_f64 v[26:27], v[48:49], v[18:19]
	v_add_f64 v[42:43], v[42:43], v[60:61]
	v_fmac_f64_e32 v[26:27], v[50:51], v[16:17]
	v_add_f64 v[42:43], v[42:43], v[24:25]
	v_add_f64 v[40:41], v[26:27], v[40:41]
	ds_read_b128 v[24:27], v35 offset:2096
	s_waitcnt lgkmcnt(1)
	v_mul_f64 v[48:49], v[22:23], v[2:3]
	v_mul_f64 v[2:3], v[20:21], v[2:3]
	v_fma_f64 v[48:49], v[20:21], v[0:1], -v[48:49]
	v_fmac_f64_e32 v[2:3], v[22:23], v[0:1]
	v_mul_f64 v[0:1], v[22:23], v[18:19]
	v_mul_f64 v[18:19], v[20:21], v[18:19]
	v_fmac_f64_e32 v[18:19], v[22:23], v[16:17]
	v_add_f64 v[44:45], v[44:45], v[48:49]
	v_add_f64 v[46:47], v[2:3], v[46:47]
	v_fma_f64 v[48:49], v[20:21], v[16:17], -v[0:1]
	ds_read_b128 v[0:3], v34 offset:1536
	v_add_f64 v[22:23], v[18:19], v[28:29]
	ds_read_b128 v[16:19], v34 offset:1792
	v_add_f64 v[20:21], v[30:31], v[48:49]
	s_add_u32 s12, s12, 8
	s_waitcnt lgkmcnt(1)
	v_mul_f64 v[28:29], v[54:55], v[2:3]
	v_mul_f64 v[30:31], v[52:53], v[2:3]
	s_waitcnt lgkmcnt(0)
	v_mul_f64 v[48:49], v[54:55], v[18:19]
	v_fma_f64 v[48:49], v[52:53], v[16:17], -v[48:49]
	v_add_f64 v[42:43], v[42:43], v[48:49]
	v_mul_f64 v[48:49], v[26:27], v[2:3]
	v_mul_f64 v[2:3], v[24:25], v[2:3]
	v_fma_f64 v[28:29], v[52:53], v[0:1], -v[28:29]
	v_fmac_f64_e32 v[30:31], v[54:55], v[0:1]
	v_fma_f64 v[48:49], v[24:25], v[0:1], -v[48:49]
	v_fmac_f64_e32 v[2:3], v[26:27], v[0:1]
	v_mul_f64 v[0:1], v[26:27], v[18:19]
	v_mul_f64 v[50:51], v[52:53], v[18:19]
	v_add_f64 v[44:45], v[44:45], v[48:49]
	v_fma_f64 v[48:49], v[24:25], v[16:17], -v[0:1]
	v_mul_f64 v[24:25], v[24:25], v[18:19]
	v_fmac_f64_e32 v[50:51], v[54:55], v[16:17]
	v_add_f64 v[46:47], v[2:3], v[46:47]
	v_fmac_f64_e32 v[24:25], v[26:27], v[16:17]
	ds_read_b128 v[0:3], v35 offset:64
	ds_read_b128 v[16:19], v34 offset:2048
	v_add_f64 v[40:41], v[50:51], v[40:41]
	v_add_f64 v[48:49], v[20:21], v[48:49]
	;; [unrolled: 1-line block ×3, first 2 shown]
	ds_read_b128 v[20:23], v34 offset:2304
	ds_read_b128 v[24:27], v35 offset:80
	s_waitcnt lgkmcnt(2)
	v_mul_f64 v[52:53], v[2:3], v[18:19]
	v_add_f64 v[28:29], v[56:57], v[28:29]
	v_fma_f64 v[52:53], v[0:1], v[16:17], -v[52:53]
	v_mul_f64 v[54:55], v[0:1], v[18:19]
	v_add_f64 v[30:31], v[30:31], v[58:59]
	v_fmac_f64_e32 v[54:55], v[2:3], v[16:17]
	v_add_f64 v[52:53], v[28:29], v[52:53]
	s_waitcnt lgkmcnt(1)
	v_mul_f64 v[28:29], v[2:3], v[22:23]
	v_add_f64 v[54:55], v[54:55], v[30:31]
	v_fma_f64 v[56:57], v[0:1], v[20:21], -v[28:29]
	ds_read_b128 v[28:31], v35 offset:2112
	v_mul_f64 v[0:1], v[0:1], v[22:23]
	v_fmac_f64_e32 v[0:1], v[2:3], v[20:21]
	v_add_f64 v[42:43], v[42:43], v[56:57]
	v_add_f64 v[40:41], v[0:1], v[40:41]
	ds_read_b128 v[0:3], v35 offset:2128
	s_waitcnt lgkmcnt(1)
	v_mul_f64 v[56:57], v[30:31], v[18:19]
	v_mul_f64 v[18:19], v[28:29], v[18:19]
	v_fma_f64 v[56:57], v[28:29], v[16:17], -v[56:57]
	v_fmac_f64_e32 v[18:19], v[30:31], v[16:17]
	v_mul_f64 v[16:17], v[30:31], v[22:23]
	v_add_f64 v[44:45], v[44:45], v[56:57]
	v_add_f64 v[46:47], v[18:19], v[46:47]
	v_fma_f64 v[56:57], v[28:29], v[20:21], -v[16:17]
	v_mul_f64 v[22:23], v[28:29], v[22:23]
	ds_read_b128 v[16:19], v34 offset:2560
	v_fmac_f64_e32 v[22:23], v[30:31], v[20:21]
	v_add_f64 v[30:31], v[22:23], v[50:51]
	ds_read_b128 v[20:23], v34 offset:2816
	v_add_f64 v[28:29], v[48:49], v[56:57]
	s_waitcnt lgkmcnt(1)
	v_mul_f64 v[48:49], v[26:27], v[18:19]
	v_fma_f64 v[48:49], v[24:25], v[16:17], -v[48:49]
	v_add_f64 v[48:49], v[52:53], v[48:49]
	s_waitcnt lgkmcnt(0)
	v_mul_f64 v[52:53], v[26:27], v[22:23]
	v_mul_f64 v[50:51], v[24:25], v[18:19]
	v_fma_f64 v[52:53], v[24:25], v[20:21], -v[52:53]
	v_mul_f64 v[24:25], v[24:25], v[22:23]
	v_fmac_f64_e32 v[24:25], v[26:27], v[20:21]
	v_add_f64 v[40:41], v[24:25], v[40:41]
	v_mul_f64 v[24:25], v[2:3], v[18:19]
	v_mul_f64 v[18:19], v[0:1], v[18:19]
	v_fmac_f64_e32 v[50:51], v[26:27], v[16:17]
	v_fma_f64 v[24:25], v[0:1], v[16:17], -v[24:25]
	v_fmac_f64_e32 v[18:19], v[2:3], v[16:17]
	v_mul_f64 v[16:17], v[2:3], v[22:23]
	v_mul_f64 v[22:23], v[0:1], v[22:23]
	v_add_f64 v[44:45], v[44:45], v[24:25]
	v_add_f64 v[46:47], v[18:19], v[46:47]
	v_fma_f64 v[24:25], v[0:1], v[20:21], -v[16:17]
	v_fmac_f64_e32 v[22:23], v[2:3], v[20:21]
	ds_read_b128 v[0:3], v35 offset:96
	ds_read_b128 v[16:19], v34 offset:3072
	v_add_f64 v[50:51], v[50:51], v[54:55]
	v_add_f64 v[42:43], v[42:43], v[52:53]
	;; [unrolled: 1-line block ×4, first 2 shown]
	ds_read_b128 v[20:23], v34 offset:3328
	ds_read_b128 v[24:27], v35 offset:112
	s_waitcnt lgkmcnt(2)
	v_mul_f64 v[28:29], v[2:3], v[18:19]
	v_fma_f64 v[28:29], v[0:1], v[16:17], -v[28:29]
	v_mul_f64 v[30:31], v[0:1], v[18:19]
	v_fmac_f64_e32 v[30:31], v[2:3], v[16:17]
	v_add_f64 v[48:49], v[48:49], v[28:29]
	s_waitcnt lgkmcnt(1)
	v_mul_f64 v[28:29], v[2:3], v[22:23]
	v_add_f64 v[50:51], v[30:31], v[50:51]
	v_fma_f64 v[56:57], v[0:1], v[20:21], -v[28:29]
	ds_read_b128 v[28:31], v35 offset:2144
	v_mul_f64 v[0:1], v[0:1], v[22:23]
	v_fmac_f64_e32 v[0:1], v[2:3], v[20:21]
	v_add_f64 v[58:59], v[0:1], v[40:41]
	ds_read_b128 v[0:3], v35 offset:2160
	s_waitcnt lgkmcnt(1)
	v_mul_f64 v[40:41], v[30:31], v[18:19]
	v_mul_f64 v[18:19], v[28:29], v[18:19]
	v_fma_f64 v[40:41], v[28:29], v[16:17], -v[40:41]
	v_fmac_f64_e32 v[18:19], v[30:31], v[16:17]
	v_mul_f64 v[16:17], v[30:31], v[22:23]
	v_add_f64 v[44:45], v[44:45], v[40:41]
	v_add_f64 v[46:47], v[18:19], v[46:47]
	v_fma_f64 v[40:41], v[28:29], v[20:21], -v[16:17]
	ds_read_b128 v[16:19], v34 offset:3584
	v_add_f64 v[56:57], v[42:43], v[56:57]
	v_add_f64 v[52:53], v[52:53], v[40:41]
	ds_read_b128 v[40:43], v34 offset:3840
	v_mul_f64 v[22:23], v[28:29], v[22:23]
	v_fmac_f64_e32 v[22:23], v[30:31], v[20:21]
	s_waitcnt lgkmcnt(1)
	v_mul_f64 v[20:21], v[26:27], v[18:19]
	v_fma_f64 v[20:21], v[24:25], v[16:17], -v[20:21]
	v_add_f64 v[54:55], v[22:23], v[54:55]
	v_mul_f64 v[22:23], v[24:25], v[18:19]
	v_add_f64 v[28:29], v[48:49], v[20:21]
	s_waitcnt lgkmcnt(0)
	v_mul_f64 v[20:21], v[26:27], v[42:43]
	v_fmac_f64_e32 v[22:23], v[26:27], v[16:17]
	v_fma_f64 v[20:21], v[24:25], v[40:41], -v[20:21]
	v_add_f64 v[30:31], v[22:23], v[50:51]
	v_mul_f64 v[22:23], v[24:25], v[42:43]
	v_add_f64 v[24:25], v[56:57], v[20:21]
	v_mul_f64 v[20:21], v[2:3], v[18:19]
	v_mul_f64 v[18:19], v[0:1], v[18:19]
	v_fma_f64 v[20:21], v[0:1], v[16:17], -v[20:21]
	v_fmac_f64_e32 v[18:19], v[2:3], v[16:17]
	v_mul_f64 v[16:17], v[2:3], v[42:43]
	v_fma_f64 v[16:17], v[0:1], v[40:41], -v[16:17]
	v_mul_f64 v[0:1], v[0:1], v[42:43]
	v_fmac_f64_e32 v[22:23], v[26:27], v[40:41]
	v_fmac_f64_e32 v[0:1], v[2:3], v[40:41]
	s_addc_u32 s13, s13, 0
	v_add_f64 v[26:27], v[22:23], v[58:59]
	v_add_f64 v[22:23], v[18:19], v[46:47]
	;; [unrolled: 1-line block ×4, first 2 shown]
	v_mov_b64_e32 v[0:1], s[12:13]
	v_cmp_gt_i64_e32 vcc, s[8:9], v[0:1]
	v_add_f64 v[20:21], v[44:45], v[20:21]
	s_barrier
	s_cbranch_vccz .LBB554_16
.LBB554_8:                              ; =>This Inner Loop Header: Depth=1
	s_mov_b64 s[18:19], s[10:11]
	s_mov_b64 s[14:15], 0
	s_and_saveexec_b64 s[16:17], s[0:1]
	s_cbranch_execnz .LBB554_14
; %bb.9:                                ;   in Loop: Header=BB554_8 Depth=1
	s_or_b64 exec, exec, s[16:17]
	s_and_saveexec_b64 s[16:17], s[18:19]
	s_xor_b64 s[16:17], exec, s[16:17]
	s_cbranch_execnz .LBB554_15
.LBB554_10:                             ;   in Loop: Header=BB554_8 Depth=1
	s_or_b64 exec, exec, s[16:17]
	s_and_saveexec_b64 s[16:17], s[14:15]
	s_cbranch_execz .LBB554_12
.LBB554_11:                             ;   in Loop: Header=BB554_8 Depth=1
	v_lshl_add_u64 v[0:1], v[14:15], 4, v[8:9]
	flat_load_dwordx4 v[0:3], v[0:1]
	s_waitcnt vmcnt(0) lgkmcnt(0)
	ds_write2_b64 v32, v[0:1], v[2:3] offset1:1
.LBB554_12:                             ;   in Loop: Header=BB554_8 Depth=1
	s_or_b64 exec, exec, s[16:17]
	v_add_u32_e32 v12, s12, v4
	v_cmp_gt_u64_e32 vcc, s[8:9], v[12:13]
	s_and_b64 s[16:17], vcc, s[2:3]
	v_mov_b64_e32 v[0:1], 0
	v_mov_b64_e32 v[2:3], 0
	s_and_saveexec_b64 s[14:15], s[16:17]
	s_cbranch_execz .LBB554_7
; %bb.13:                               ;   in Loop: Header=BB554_8 Depth=1
	v_mad_u64_u32 v[0:1], s[16:17], s20, v12, 0
	v_mov_b32_e32 v2, v1
	v_mad_u64_u32 v[2:3], s[16:17], s21, v12, v[2:3]
	v_mov_b32_e32 v1, v2
	v_lshl_add_u64 v[0:1], v[0:1], 4, v[10:11]
	flat_load_dwordx4 v[0:3], v[0:1]
	s_waitcnt vmcnt(0) lgkmcnt(0)
	v_xor_b32_e32 v3, 0x80000000, v3
	s_branch .LBB554_7
.LBB554_14:                             ;   in Loop: Header=BB554_8 Depth=1
	v_add_u32_e32 v12, s12, v6
	v_cmp_le_u64_e32 vcc, s[8:9], v[12:13]
	s_andn2_b64 s[18:19], s[10:11], exec
	s_and_b64 s[22:23], vcc, exec
	s_mov_b64 s[14:15], exec
	s_or_b64 s[18:19], s[18:19], s[22:23]
	v_mov_b64_e32 v[14:15], v[12:13]
	s_or_b64 exec, exec, s[16:17]
	s_and_saveexec_b64 s[16:17], s[18:19]
	s_xor_b64 s[16:17], exec, s[16:17]
	s_cbranch_execz .LBB554_10
.LBB554_15:                             ;   in Loop: Header=BB554_8 Depth=1
	ds_write_b128 v32, v[36:39]
	s_andn2_b64 s[14:15], s[14:15], exec
	s_or_b64 exec, exec, s[16:17]
	s_and_saveexec_b64 s[16:17], s[14:15]
	s_cbranch_execnz .LBB554_11
	s_branch .LBB554_12
.LBB554_16:
	s_lshl_b64 s[0:1], s[30:31], 4
	v_add_u32_e32 v10, s26, v7
	s_waitcnt lgkmcnt(0)
	s_add_u32 s8, s4, s0
	v_ashrrev_i32_e32 v0, 31, v10
	s_addc_u32 s9, s5, s1
	v_cmp_neq_f64_e64 s[0:1], s[36:37], 0
	s_xor_b64 s[4:5], s[6:7], -1
	v_mul_lo_u32 v2, s28, v0
	v_mul_lo_u32 v3, s29, v10
	v_mad_u64_u32 v[0:1], s[2:3], s28, v10, 0
	v_add_u32_e32 v4, s25, v5
	v_add3_u32 v1, v1, v2, v3
	s_or_b64 s[0:1], s[0:1], s[4:5]
	v_lshl_add_u64 v[8:9], v[0:1], 4, s[8:9]
	v_cmp_le_i32_e32 vcc, v10, v4
	v_cmp_gt_i32_e64 s[2:3], s24, v4
	v_cndmask_b32_e64 v0, 0, 1, s[0:1]
	s_and_b64 s[6:7], vcc, s[2:3]
	v_ashrrev_i32_e32 v5, 31, v4
	v_cmp_ne_u32_e64 s[0:1], 1, v0
	s_and_saveexec_b64 s[4:5], s[6:7]
	s_cbranch_execz .LBB554_20
; %bb.17:
	v_mul_f64 v[0:1], s[42:43], v[30:31]
	v_mul_f64 v[2:3], s[40:41], v[30:31]
	v_fma_f64 v[0:1], s[40:41], v[28:29], -v[0:1]
	v_fmac_f64_e32 v[2:3], s[42:43], v[28:29]
	s_and_b64 vcc, exec, s[0:1]
	v_lshl_add_u64 v[6:7], v[4:5], 4, v[8:9]
	s_cbranch_vccnz .LBB554_19
; %bb.18:
	flat_load_dwordx4 v[12:15], v[6:7]
	s_waitcnt vmcnt(0) lgkmcnt(0)
	v_mul_f64 v[28:29], s[38:39], v[14:15]
	v_mul_f64 v[14:15], s[36:37], v[14:15]
	v_fma_f64 v[28:29], s[36:37], v[12:13], -v[28:29]
	v_fmac_f64_e32 v[14:15], s[38:39], v[12:13]
	v_add_f64 v[0:1], v[0:1], v[28:29]
	v_add_f64 v[2:3], v[2:3], v[14:15]
.LBB554_19:
	flat_store_dwordx4 v[6:7], v[0:3]
.LBB554_20:
	s_or_b64 exec, exec, s[4:5]
	v_add_u32_e32 v6, 16, v4
	v_cmp_le_i32_e32 vcc, v10, v6
	v_cmp_gt_i32_e64 s[4:5], s24, v6
	s_and_b64 s[10:11], vcc, s[4:5]
	v_ashrrev_i32_e32 v7, 31, v6
	s_and_saveexec_b64 s[6:7], s[10:11]
	s_cbranch_execz .LBB554_24
; %bb.21:
	v_mul_f64 v[0:1], s[42:43], v[26:27]
	v_mul_f64 v[2:3], s[40:41], v[26:27]
	v_fma_f64 v[0:1], s[40:41], v[24:25], -v[0:1]
	v_fmac_f64_e32 v[2:3], s[42:43], v[24:25]
	s_and_b64 vcc, exec, s[0:1]
	v_lshl_add_u64 v[8:9], v[6:7], 4, v[8:9]
	s_cbranch_vccnz .LBB554_23
; %bb.22:
	flat_load_dwordx4 v[12:15], v[8:9]
	s_waitcnt vmcnt(0) lgkmcnt(0)
	v_mul_f64 v[24:25], s[38:39], v[14:15]
	v_mul_f64 v[14:15], s[36:37], v[14:15]
	v_fma_f64 v[24:25], s[36:37], v[12:13], -v[24:25]
	v_fmac_f64_e32 v[14:15], s[38:39], v[12:13]
	v_add_f64 v[0:1], v[0:1], v[24:25]
	v_add_f64 v[2:3], v[2:3], v[14:15]
.LBB554_23:
	flat_store_dwordx4 v[8:9], v[0:3]
.LBB554_24:
	s_or_b64 exec, exec, s[6:7]
	v_add_u32_e32 v10, 16, v10
	v_ashrrev_i32_e32 v0, 31, v10
	v_mul_lo_u32 v2, s28, v0
	v_mul_lo_u32 v3, s29, v10
	v_mad_u64_u32 v[0:1], s[6:7], s28, v10, 0
	v_add3_u32 v1, v1, v2, v3
	v_cmp_le_i32_e32 vcc, v10, v4
	v_lshl_add_u64 v[8:9], v[0:1], 4, s[8:9]
	s_and_b64 s[6:7], vcc, s[2:3]
	s_and_saveexec_b64 s[2:3], s[6:7]
	s_cbranch_execz .LBB554_28
; %bb.25:
	v_mul_f64 v[0:1], s[42:43], v[22:23]
	v_mul_f64 v[2:3], s[40:41], v[22:23]
	v_fma_f64 v[0:1], s[40:41], v[20:21], -v[0:1]
	v_fmac_f64_e32 v[2:3], s[42:43], v[20:21]
	s_and_b64 vcc, exec, s[0:1]
	v_lshl_add_u64 v[4:5], v[4:5], 4, v[8:9]
	s_cbranch_vccnz .LBB554_27
; %bb.26:
	flat_load_dwordx4 v[12:15], v[4:5]
	s_waitcnt vmcnt(0) lgkmcnt(0)
	v_mul_f64 v[20:21], s[38:39], v[14:15]
	v_mul_f64 v[14:15], s[36:37], v[14:15]
	v_fma_f64 v[20:21], s[36:37], v[12:13], -v[20:21]
	v_fmac_f64_e32 v[14:15], s[38:39], v[12:13]
	v_add_f64 v[0:1], v[0:1], v[20:21]
	v_add_f64 v[2:3], v[2:3], v[14:15]
.LBB554_27:
	flat_store_dwordx4 v[4:5], v[0:3]
.LBB554_28:
	s_or_b64 exec, exec, s[2:3]
	v_cmp_le_i32_e32 vcc, v10, v6
	s_and_b64 s[2:3], vcc, s[4:5]
	s_and_saveexec_b64 s[4:5], s[2:3]
	s_cbranch_execz .LBB554_32
; %bb.29:
	v_mul_f64 v[0:1], s[42:43], v[16:17]
	v_mul_f64 v[2:3], s[40:41], v[16:17]
	v_fma_f64 v[0:1], s[40:41], v[18:19], -v[0:1]
	v_fmac_f64_e32 v[2:3], s[42:43], v[18:19]
	s_and_b64 vcc, exec, s[0:1]
	v_lshl_add_u64 v[4:5], v[6:7], 4, v[8:9]
	s_cbranch_vccnz .LBB554_31
; %bb.30:
	flat_load_dwordx4 v[6:9], v[4:5]
	s_waitcnt vmcnt(0) lgkmcnt(0)
	v_mul_f64 v[10:11], s[38:39], v[8:9]
	v_mul_f64 v[8:9], s[36:37], v[8:9]
	v_fma_f64 v[10:11], s[36:37], v[6:7], -v[10:11]
	v_fmac_f64_e32 v[8:9], s[38:39], v[6:7]
	v_add_f64 v[0:1], v[0:1], v[10:11]
	v_add_f64 v[2:3], v[2:3], v[8:9]
.LBB554_31:
	flat_store_dwordx4 v[4:5], v[0:3]
.LBB554_32:
	s_endpgm
	.section	.rodata,"a",@progbits
	.p2align	6, 0x0
	.amdhsa_kernel _ZL29rocblas_internal_gemmt_kernelIlLi16ELi32ELi8ELc84ELc67ELc76ELb0ELb1E19rocblas_complex_numIdEPKS1_PKS3_PKPS1_EviT_T9_T10_S9_lSB_S9_lSA_T11_S9_li
		.amdhsa_group_segment_fixed_size 8192
		.amdhsa_private_segment_fixed_size 0
		.amdhsa_kernarg_size 108
		.amdhsa_user_sgpr_count 2
		.amdhsa_user_sgpr_dispatch_ptr 0
		.amdhsa_user_sgpr_queue_ptr 0
		.amdhsa_user_sgpr_kernarg_segment_ptr 1
		.amdhsa_user_sgpr_dispatch_id 0
		.amdhsa_user_sgpr_kernarg_preload_length 0
		.amdhsa_user_sgpr_kernarg_preload_offset 0
		.amdhsa_user_sgpr_private_segment_size 0
		.amdhsa_uses_dynamic_stack 0
		.amdhsa_enable_private_segment 0
		.amdhsa_system_sgpr_workgroup_id_x 1
		.amdhsa_system_sgpr_workgroup_id_y 1
		.amdhsa_system_sgpr_workgroup_id_z 1
		.amdhsa_system_sgpr_workgroup_info 0
		.amdhsa_system_vgpr_workitem_id 1
		.amdhsa_next_free_vgpr 66
		.amdhsa_next_free_sgpr 44
		.amdhsa_accum_offset 68
		.amdhsa_reserve_vcc 1
		.amdhsa_float_round_mode_32 0
		.amdhsa_float_round_mode_16_64 0
		.amdhsa_float_denorm_mode_32 3
		.amdhsa_float_denorm_mode_16_64 3
		.amdhsa_dx10_clamp 1
		.amdhsa_ieee_mode 1
		.amdhsa_fp16_overflow 0
		.amdhsa_tg_split 0
		.amdhsa_exception_fp_ieee_invalid_op 0
		.amdhsa_exception_fp_denorm_src 0
		.amdhsa_exception_fp_ieee_div_zero 0
		.amdhsa_exception_fp_ieee_overflow 0
		.amdhsa_exception_fp_ieee_underflow 0
		.amdhsa_exception_fp_ieee_inexact 0
		.amdhsa_exception_int_div_zero 0
	.end_amdhsa_kernel
	.section	.text._ZL29rocblas_internal_gemmt_kernelIlLi16ELi32ELi8ELc84ELc67ELc76ELb0ELb1E19rocblas_complex_numIdEPKS1_PKS3_PKPS1_EviT_T9_T10_S9_lSB_S9_lSA_T11_S9_li,"axG",@progbits,_ZL29rocblas_internal_gemmt_kernelIlLi16ELi32ELi8ELc84ELc67ELc76ELb0ELb1E19rocblas_complex_numIdEPKS1_PKS3_PKPS1_EviT_T9_T10_S9_lSB_S9_lSA_T11_S9_li,comdat
.Lfunc_end554:
	.size	_ZL29rocblas_internal_gemmt_kernelIlLi16ELi32ELi8ELc84ELc67ELc76ELb0ELb1E19rocblas_complex_numIdEPKS1_PKS3_PKPS1_EviT_T9_T10_S9_lSB_S9_lSA_T11_S9_li, .Lfunc_end554-_ZL29rocblas_internal_gemmt_kernelIlLi16ELi32ELi8ELc84ELc67ELc76ELb0ELb1E19rocblas_complex_numIdEPKS1_PKS3_PKPS1_EviT_T9_T10_S9_lSB_S9_lSA_T11_S9_li
                                        ; -- End function
	.set _ZL29rocblas_internal_gemmt_kernelIlLi16ELi32ELi8ELc84ELc67ELc76ELb0ELb1E19rocblas_complex_numIdEPKS1_PKS3_PKPS1_EviT_T9_T10_S9_lSB_S9_lSA_T11_S9_li.num_vgpr, 66
	.set _ZL29rocblas_internal_gemmt_kernelIlLi16ELi32ELi8ELc84ELc67ELc76ELb0ELb1E19rocblas_complex_numIdEPKS1_PKS3_PKPS1_EviT_T9_T10_S9_lSB_S9_lSA_T11_S9_li.num_agpr, 0
	.set _ZL29rocblas_internal_gemmt_kernelIlLi16ELi32ELi8ELc84ELc67ELc76ELb0ELb1E19rocblas_complex_numIdEPKS1_PKS3_PKPS1_EviT_T9_T10_S9_lSB_S9_lSA_T11_S9_li.numbered_sgpr, 44
	.set _ZL29rocblas_internal_gemmt_kernelIlLi16ELi32ELi8ELc84ELc67ELc76ELb0ELb1E19rocblas_complex_numIdEPKS1_PKS3_PKPS1_EviT_T9_T10_S9_lSB_S9_lSA_T11_S9_li.num_named_barrier, 0
	.set _ZL29rocblas_internal_gemmt_kernelIlLi16ELi32ELi8ELc84ELc67ELc76ELb0ELb1E19rocblas_complex_numIdEPKS1_PKS3_PKPS1_EviT_T9_T10_S9_lSB_S9_lSA_T11_S9_li.private_seg_size, 0
	.set _ZL29rocblas_internal_gemmt_kernelIlLi16ELi32ELi8ELc84ELc67ELc76ELb0ELb1E19rocblas_complex_numIdEPKS1_PKS3_PKPS1_EviT_T9_T10_S9_lSB_S9_lSA_T11_S9_li.uses_vcc, 1
	.set _ZL29rocblas_internal_gemmt_kernelIlLi16ELi32ELi8ELc84ELc67ELc76ELb0ELb1E19rocblas_complex_numIdEPKS1_PKS3_PKPS1_EviT_T9_T10_S9_lSB_S9_lSA_T11_S9_li.uses_flat_scratch, 0
	.set _ZL29rocblas_internal_gemmt_kernelIlLi16ELi32ELi8ELc84ELc67ELc76ELb0ELb1E19rocblas_complex_numIdEPKS1_PKS3_PKPS1_EviT_T9_T10_S9_lSB_S9_lSA_T11_S9_li.has_dyn_sized_stack, 0
	.set _ZL29rocblas_internal_gemmt_kernelIlLi16ELi32ELi8ELc84ELc67ELc76ELb0ELb1E19rocblas_complex_numIdEPKS1_PKS3_PKPS1_EviT_T9_T10_S9_lSB_S9_lSA_T11_S9_li.has_recursion, 0
	.set _ZL29rocblas_internal_gemmt_kernelIlLi16ELi32ELi8ELc84ELc67ELc76ELb0ELb1E19rocblas_complex_numIdEPKS1_PKS3_PKPS1_EviT_T9_T10_S9_lSB_S9_lSA_T11_S9_li.has_indirect_call, 0
	.section	.AMDGPU.csdata,"",@progbits
; Kernel info:
; codeLenInByte = 3236
; TotalNumSgprs: 50
; NumVgprs: 66
; NumAgprs: 0
; TotalNumVgprs: 66
; ScratchSize: 0
; MemoryBound: 1
; FloatMode: 240
; IeeeMode: 1
; LDSByteSize: 8192 bytes/workgroup (compile time only)
; SGPRBlocks: 6
; VGPRBlocks: 8
; NumSGPRsForWavesPerEU: 50
; NumVGPRsForWavesPerEU: 66
; AccumOffset: 68
; Occupancy: 7
; WaveLimiterHint : 1
; COMPUTE_PGM_RSRC2:SCRATCH_EN: 0
; COMPUTE_PGM_RSRC2:USER_SGPR: 2
; COMPUTE_PGM_RSRC2:TRAP_HANDLER: 0
; COMPUTE_PGM_RSRC2:TGID_X_EN: 1
; COMPUTE_PGM_RSRC2:TGID_Y_EN: 1
; COMPUTE_PGM_RSRC2:TGID_Z_EN: 1
; COMPUTE_PGM_RSRC2:TIDIG_COMP_CNT: 1
; COMPUTE_PGM_RSRC3_GFX90A:ACCUM_OFFSET: 16
; COMPUTE_PGM_RSRC3_GFX90A:TG_SPLIT: 0
	.section	.text._ZL29rocblas_internal_gemmt_kernelIlLi16ELi32ELi8ELc67ELc78ELc76ELb1ELb0E19rocblas_complex_numIdEPKS1_PKS3_PKPS1_EviT_T9_T10_S9_lSB_S9_lSA_T11_S9_li,"axG",@progbits,_ZL29rocblas_internal_gemmt_kernelIlLi16ELi32ELi8ELc67ELc78ELc76ELb1ELb0E19rocblas_complex_numIdEPKS1_PKS3_PKPS1_EviT_T9_T10_S9_lSB_S9_lSA_T11_S9_li,comdat
	.globl	_ZL29rocblas_internal_gemmt_kernelIlLi16ELi32ELi8ELc67ELc78ELc76ELb1ELb0E19rocblas_complex_numIdEPKS1_PKS3_PKPS1_EviT_T9_T10_S9_lSB_S9_lSA_T11_S9_li ; -- Begin function _ZL29rocblas_internal_gemmt_kernelIlLi16ELi32ELi8ELc67ELc78ELc76ELb1ELb0E19rocblas_complex_numIdEPKS1_PKS3_PKPS1_EviT_T9_T10_S9_lSB_S9_lSA_T11_S9_li
	.p2align	8
	.type	_ZL29rocblas_internal_gemmt_kernelIlLi16ELi32ELi8ELc67ELc78ELc76ELb1ELb0E19rocblas_complex_numIdEPKS1_PKS3_PKPS1_EviT_T9_T10_S9_lSB_S9_lSA_T11_S9_li,@function
_ZL29rocblas_internal_gemmt_kernelIlLi16ELi32ELi8ELc67ELc78ELc76ELb1ELb0E19rocblas_complex_numIdEPKS1_PKS3_PKPS1_EviT_T9_T10_S9_lSB_S9_lSA_T11_S9_li: ; @_ZL29rocblas_internal_gemmt_kernelIlLi16ELi32ELi8ELc67ELc78ELc76ELb1ELb0E19rocblas_complex_numIdEPKS1_PKS3_PKPS1_EviT_T9_T10_S9_lSB_S9_lSA_T11_S9_li
; %bb.0:
	s_load_dwordx8 s[24:31], s[0:1], 0x48
	s_load_dwordx16 s[8:23], s[0:1], 0x8
	s_waitcnt lgkmcnt(0)
	s_load_dwordx4 s[36:39], s[24:25], 0x0
	s_load_dwordx4 s[40:43], s[10:11], 0x0
	s_mov_b64 s[24:25], 0
	s_waitcnt lgkmcnt(0)
	v_cmp_eq_f64_e64 s[10:11], s[36:37], 1.0
	v_cmp_eq_f64_e64 s[6:7], s[38:39], 0
	s_and_b64 s[10:11], s[10:11], s[6:7]
	s_andn2_b64 vcc, exec, s[10:11]
	s_mov_b64 s[10:11], -1
	s_cbranch_vccnz .LBB555_4
; %bb.1:
	s_cmp_lg_u64 s[8:9], 0
	s_cbranch_scc0 .LBB555_3
; %bb.2:
	v_cmp_neq_f64_e64 s[10:11], s[40:41], 0
	v_cmp_neq_f64_e64 s[24:25], s[42:43], 0
	s_or_b64 s[24:25], s[10:11], s[24:25]
.LBB555_3:
	s_mov_b64 s[10:11], s[24:25]
.LBB555_4:
	s_and_b64 vcc, exec, s[10:11]
	s_cbranch_vccz .LBB555_32
; %bb.5:
	s_mov_b32 s5, 0
	s_load_dword s24, s[0:1], 0x0
	s_lshl_b64 s[0:1], s[4:5], 3
	s_add_u32 s4, s26, s0
	s_addc_u32 s5, s27, s1
	s_load_dwordx2 s[4:5], s[4:5], 0x0
	s_lshl_b32 s25, s2, 5
	s_lshl_b32 s26, s3, 5
	v_cmp_eq_f64_e64 s[2:3], s[40:41], 0
	v_cmp_eq_f64_e64 s[10:11], s[42:43], 0
	s_and_b64 s[2:3], s[2:3], s[10:11]
	v_cmp_lt_i64_e64 s[10:11], s[8:9], 1
	s_or_b64 s[2:3], s[2:3], s[10:11]
	v_and_b32_e32 v5, 0x3ff, v0
	v_bfe_u32 v7, v0, 10, 10
	v_mov_b64_e32 v[26:27], 0
	s_and_b64 vcc, exec, s[2:3]
	v_mov_b64_e32 v[28:29], 0
	v_mov_b64_e32 v[22:23], 0
	;; [unrolled: 1-line block ×7, first 2 shown]
	s_cbranch_vccnz .LBB555_16
; %bb.6:
	s_add_u32 s2, s18, s0
	s_addc_u32 s3, s19, s1
	s_load_dwordx2 s[2:3], s[2:3], 0x0
	s_lshl_b64 s[10:11], s[22:23], 4
	v_lshl_add_u32 v0, v7, 4, v5
	v_lshrrev_b32_e32 v6, 5, v0
	v_lshrrev_b32_e32 v2, 3, v0
	s_waitcnt lgkmcnt(0)
	s_add_u32 s2, s2, s10
	s_addc_u32 s3, s3, s11
	s_add_u32 s0, s12, s0
	s_addc_u32 s1, s13, s1
	s_load_dwordx2 s[0:1], s[0:1], 0x0
	v_and_b32_e32 v0, 31, v0
	s_lshl_b64 s[10:11], s[16:17], 4
	v_or_b32_e32 v1, s25, v0
	v_lshlrev_b32_e32 v0, 4, v0
	s_waitcnt lgkmcnt(0)
	s_add_u32 s10, s0, s10
	s_addc_u32 s11, s1, s11
	v_cmp_gt_i32_e64 s[0:1], s24, v1
	v_lshl_or_b32 v30, v6, 9, v0
	s_ashr_i32 s16, s25, 31
	v_mul_lo_u32 v8, s15, v1
	v_mad_u64_u32 v[0:1], s[12:13], s14, v1, 0
	s_mul_i32 s12, s14, s16
	v_and_b32_e32 v4, 7, v5
	v_add3_u32 v1, v1, s12, v8
	v_lshl_add_u64 v[8:9], v[0:1], 4, s[10:11]
	v_lshlrev_b32_e32 v0, 4, v4
	v_add_u32_e32 v3, s26, v2
	v_lshl_or_b32 v0, v2, 7, v0
	v_add_u32_e32 v31, 0x1000, v0
	v_ashrrev_i32_e32 v0, 31, v3
	v_mul_lo_u32 v2, s20, v0
	v_mul_lo_u32 v10, s21, v3
	v_mad_u64_u32 v[0:1], s[10:11], s20, v3, 0
	v_add3_u32 v1, v1, v2, v10
	v_cmp_gt_i32_e32 vcc, s24, v3
	v_lshl_add_u64 v[10:11], v[0:1], 4, s[2:3]
	v_mov_b32_e32 v0, 0x1000
	v_mov_b32_e32 v13, 0
	v_lshlrev_b32_e32 v32, 4, v5
	v_lshl_add_u32 v33, v7, 7, v0
	v_mov_b64_e32 v[14:15], 0
	s_mov_b64 s[2:3], 0
	s_xor_b64 s[10:11], vcc, -1
	v_mov_b32_e32 v34, v13
	v_mov_b32_e32 v35, v13
	;; [unrolled: 1-line block ×4, first 2 shown]
	v_mov_b64_e32 v[16:17], 0
	v_mov_b64_e32 v[20:21], 0
	;; [unrolled: 1-line block ×7, first 2 shown]
	s_branch .LBB555_8
.LBB555_7:                              ;   in Loop: Header=BB555_8 Depth=1
	s_or_b64 exec, exec, s[12:13]
	s_waitcnt lgkmcnt(0)
	s_barrier
	ds_read_b128 v[0:3], v32
	ds_read_b128 v[38:41], v33
	ds_read_b128 v[42:45], v33 offset:16
	ds_read_b128 v[46:49], v33 offset:32
	;; [unrolled: 1-line block ×4, first 2 shown]
	s_waitcnt lgkmcnt(4)
	v_mul_f64 v[58:59], v[40:41], v[2:3]
	v_fma_f64 v[58:59], v[38:39], v[0:1], -v[58:59]
	v_mul_f64 v[60:61], v[38:39], v[2:3]
	v_fmac_f64_e32 v[60:61], v[40:41], v[0:1]
	v_add_f64 v[58:59], v[26:27], v[58:59]
	s_waitcnt lgkmcnt(0)
	v_mul_f64 v[26:27], v[40:41], v[56:57]
	v_add_f64 v[60:61], v[60:61], v[28:29]
	v_fma_f64 v[62:63], v[38:39], v[54:55], -v[26:27]
	ds_read_b128 v[26:29], v33 offset:2048
	v_mul_f64 v[38:39], v[38:39], v[56:57]
	v_fmac_f64_e32 v[38:39], v[40:41], v[54:55]
	v_add_f64 v[40:41], v[22:23], v[62:63]
	v_add_f64 v[38:39], v[38:39], v[24:25]
	ds_read_b128 v[22:25], v33 offset:2064
	s_waitcnt lgkmcnt(1)
	v_mul_f64 v[62:63], v[28:29], v[2:3]
	v_mul_f64 v[2:3], v[26:27], v[2:3]
	v_fma_f64 v[62:63], v[26:27], v[0:1], -v[62:63]
	v_fmac_f64_e32 v[2:3], v[28:29], v[0:1]
	v_mul_f64 v[0:1], v[28:29], v[56:57]
	v_add_f64 v[18:19], v[18:19], v[62:63]
	v_add_f64 v[20:21], v[2:3], v[20:21]
	v_fma_f64 v[62:63], v[26:27], v[54:55], -v[0:1]
	v_mul_f64 v[26:27], v[26:27], v[56:57]
	ds_read_b128 v[0:3], v32 offset:512
	v_fmac_f64_e32 v[26:27], v[28:29], v[54:55]
	v_add_f64 v[28:29], v[16:17], v[62:63]
	v_add_f64 v[26:27], v[26:27], v[14:15]
	ds_read_b128 v[14:17], v32 offset:768
	s_waitcnt lgkmcnt(1)
	v_mul_f64 v[54:55], v[44:45], v[2:3]
	v_fma_f64 v[54:55], v[42:43], v[0:1], -v[54:55]
	v_add_f64 v[54:55], v[58:59], v[54:55]
	v_mul_f64 v[56:57], v[42:43], v[2:3]
	s_waitcnt lgkmcnt(0)
	v_mul_f64 v[58:59], v[44:45], v[16:17]
	v_fma_f64 v[58:59], v[42:43], v[14:15], -v[58:59]
	v_mul_f64 v[42:43], v[42:43], v[16:17]
	v_fmac_f64_e32 v[42:43], v[44:45], v[14:15]
	v_add_f64 v[38:39], v[42:43], v[38:39]
	v_mul_f64 v[42:43], v[24:25], v[2:3]
	v_mul_f64 v[2:3], v[22:23], v[2:3]
	v_fmac_f64_e32 v[56:57], v[44:45], v[0:1]
	v_fma_f64 v[42:43], v[22:23], v[0:1], -v[42:43]
	v_fmac_f64_e32 v[2:3], v[24:25], v[0:1]
	v_mul_f64 v[0:1], v[24:25], v[16:17]
	v_add_f64 v[42:43], v[18:19], v[42:43]
	v_add_f64 v[44:45], v[2:3], v[20:21]
	v_fma_f64 v[18:19], v[22:23], v[14:15], -v[0:1]
	v_mul_f64 v[16:17], v[22:23], v[16:17]
	ds_read_b128 v[0:3], v32 offset:1024
	v_fmac_f64_e32 v[16:17], v[24:25], v[14:15]
	v_add_f64 v[26:27], v[16:17], v[26:27]
	ds_read_b128 v[14:17], v32 offset:1280
	v_add_f64 v[28:29], v[28:29], v[18:19]
	s_waitcnt lgkmcnt(1)
	v_mul_f64 v[18:19], v[48:49], v[2:3]
	v_fma_f64 v[18:19], v[46:47], v[0:1], -v[18:19]
	v_mul_f64 v[20:21], v[46:47], v[2:3]
	v_add_f64 v[56:57], v[56:57], v[60:61]
	v_fmac_f64_e32 v[20:21], v[48:49], v[0:1]
	v_add_f64 v[54:55], v[54:55], v[18:19]
	s_waitcnt lgkmcnt(0)
	v_mul_f64 v[18:19], v[48:49], v[16:17]
	v_add_f64 v[56:57], v[20:21], v[56:57]
	v_fma_f64 v[22:23], v[46:47], v[14:15], -v[18:19]
	ds_read_b128 v[18:21], v33 offset:2080
	v_mul_f64 v[24:25], v[46:47], v[16:17]
	v_add_f64 v[40:41], v[40:41], v[58:59]
	v_fmac_f64_e32 v[24:25], v[48:49], v[14:15]
	v_add_f64 v[40:41], v[40:41], v[22:23]
	v_add_f64 v[38:39], v[24:25], v[38:39]
	ds_read_b128 v[22:25], v33 offset:2096
	s_waitcnt lgkmcnt(1)
	v_mul_f64 v[46:47], v[20:21], v[2:3]
	v_mul_f64 v[2:3], v[18:19], v[2:3]
	v_fma_f64 v[46:47], v[18:19], v[0:1], -v[46:47]
	v_fmac_f64_e32 v[2:3], v[20:21], v[0:1]
	v_mul_f64 v[0:1], v[20:21], v[16:17]
	v_mul_f64 v[16:17], v[18:19], v[16:17]
	v_fmac_f64_e32 v[16:17], v[20:21], v[14:15]
	v_add_f64 v[42:43], v[42:43], v[46:47]
	v_add_f64 v[44:45], v[2:3], v[44:45]
	v_fma_f64 v[46:47], v[18:19], v[14:15], -v[0:1]
	ds_read_b128 v[0:3], v32 offset:1536
	v_add_f64 v[20:21], v[16:17], v[26:27]
	ds_read_b128 v[14:17], v32 offset:1792
	v_add_f64 v[18:19], v[28:29], v[46:47]
	s_add_u32 s2, s2, 8
	s_waitcnt lgkmcnt(1)
	v_mul_f64 v[26:27], v[52:53], v[2:3]
	v_mul_f64 v[28:29], v[50:51], v[2:3]
	s_waitcnt lgkmcnt(0)
	v_mul_f64 v[46:47], v[52:53], v[16:17]
	v_fma_f64 v[46:47], v[50:51], v[14:15], -v[46:47]
	v_add_f64 v[40:41], v[40:41], v[46:47]
	v_mul_f64 v[46:47], v[24:25], v[2:3]
	v_mul_f64 v[2:3], v[22:23], v[2:3]
	v_fma_f64 v[26:27], v[50:51], v[0:1], -v[26:27]
	v_fmac_f64_e32 v[28:29], v[52:53], v[0:1]
	v_fma_f64 v[46:47], v[22:23], v[0:1], -v[46:47]
	v_fmac_f64_e32 v[2:3], v[24:25], v[0:1]
	v_mul_f64 v[0:1], v[24:25], v[16:17]
	v_mul_f64 v[48:49], v[50:51], v[16:17]
	v_add_f64 v[42:43], v[42:43], v[46:47]
	v_fma_f64 v[46:47], v[22:23], v[14:15], -v[0:1]
	v_mul_f64 v[22:23], v[22:23], v[16:17]
	v_fmac_f64_e32 v[48:49], v[52:53], v[14:15]
	v_add_f64 v[44:45], v[2:3], v[44:45]
	v_fmac_f64_e32 v[22:23], v[24:25], v[14:15]
	ds_read_b128 v[0:3], v33 offset:64
	ds_read_b128 v[14:17], v32 offset:2048
	v_add_f64 v[38:39], v[48:49], v[38:39]
	v_add_f64 v[46:47], v[18:19], v[46:47]
	;; [unrolled: 1-line block ×3, first 2 shown]
	ds_read_b128 v[18:21], v32 offset:2304
	ds_read_b128 v[22:25], v33 offset:80
	s_waitcnt lgkmcnt(2)
	v_mul_f64 v[50:51], v[2:3], v[16:17]
	v_add_f64 v[26:27], v[54:55], v[26:27]
	v_fma_f64 v[50:51], v[0:1], v[14:15], -v[50:51]
	v_mul_f64 v[52:53], v[0:1], v[16:17]
	v_add_f64 v[28:29], v[28:29], v[56:57]
	v_fmac_f64_e32 v[52:53], v[2:3], v[14:15]
	v_add_f64 v[50:51], v[26:27], v[50:51]
	s_waitcnt lgkmcnt(1)
	v_mul_f64 v[26:27], v[2:3], v[20:21]
	v_add_f64 v[52:53], v[52:53], v[28:29]
	v_fma_f64 v[54:55], v[0:1], v[18:19], -v[26:27]
	ds_read_b128 v[26:29], v33 offset:2112
	v_mul_f64 v[0:1], v[0:1], v[20:21]
	v_fmac_f64_e32 v[0:1], v[2:3], v[18:19]
	v_add_f64 v[40:41], v[40:41], v[54:55]
	v_add_f64 v[38:39], v[0:1], v[38:39]
	ds_read_b128 v[0:3], v33 offset:2128
	s_waitcnt lgkmcnt(1)
	v_mul_f64 v[54:55], v[28:29], v[16:17]
	v_mul_f64 v[16:17], v[26:27], v[16:17]
	v_fma_f64 v[54:55], v[26:27], v[14:15], -v[54:55]
	v_fmac_f64_e32 v[16:17], v[28:29], v[14:15]
	v_mul_f64 v[14:15], v[28:29], v[20:21]
	v_add_f64 v[42:43], v[42:43], v[54:55]
	v_add_f64 v[44:45], v[16:17], v[44:45]
	v_fma_f64 v[54:55], v[26:27], v[18:19], -v[14:15]
	v_mul_f64 v[20:21], v[26:27], v[20:21]
	ds_read_b128 v[14:17], v32 offset:2560
	v_fmac_f64_e32 v[20:21], v[28:29], v[18:19]
	v_add_f64 v[28:29], v[20:21], v[48:49]
	ds_read_b128 v[18:21], v32 offset:2816
	v_add_f64 v[26:27], v[46:47], v[54:55]
	s_waitcnt lgkmcnt(1)
	v_mul_f64 v[46:47], v[24:25], v[16:17]
	v_fma_f64 v[46:47], v[22:23], v[14:15], -v[46:47]
	v_add_f64 v[46:47], v[50:51], v[46:47]
	s_waitcnt lgkmcnt(0)
	v_mul_f64 v[50:51], v[24:25], v[20:21]
	v_mul_f64 v[48:49], v[22:23], v[16:17]
	v_fma_f64 v[50:51], v[22:23], v[18:19], -v[50:51]
	v_mul_f64 v[22:23], v[22:23], v[20:21]
	v_fmac_f64_e32 v[22:23], v[24:25], v[18:19]
	v_add_f64 v[38:39], v[22:23], v[38:39]
	v_mul_f64 v[22:23], v[2:3], v[16:17]
	v_mul_f64 v[16:17], v[0:1], v[16:17]
	v_fmac_f64_e32 v[48:49], v[24:25], v[14:15]
	v_fma_f64 v[22:23], v[0:1], v[14:15], -v[22:23]
	v_fmac_f64_e32 v[16:17], v[2:3], v[14:15]
	v_mul_f64 v[14:15], v[2:3], v[20:21]
	v_mul_f64 v[20:21], v[0:1], v[20:21]
	v_add_f64 v[42:43], v[42:43], v[22:23]
	v_add_f64 v[44:45], v[16:17], v[44:45]
	v_fma_f64 v[22:23], v[0:1], v[18:19], -v[14:15]
	v_fmac_f64_e32 v[20:21], v[2:3], v[18:19]
	ds_read_b128 v[0:3], v33 offset:96
	ds_read_b128 v[14:17], v32 offset:3072
	v_add_f64 v[48:49], v[48:49], v[52:53]
	v_add_f64 v[40:41], v[40:41], v[50:51]
	;; [unrolled: 1-line block ×4, first 2 shown]
	ds_read_b128 v[18:21], v32 offset:3328
	ds_read_b128 v[22:25], v33 offset:112
	s_waitcnt lgkmcnt(2)
	v_mul_f64 v[26:27], v[2:3], v[16:17]
	v_fma_f64 v[26:27], v[0:1], v[14:15], -v[26:27]
	v_mul_f64 v[28:29], v[0:1], v[16:17]
	v_fmac_f64_e32 v[28:29], v[2:3], v[14:15]
	v_add_f64 v[46:47], v[46:47], v[26:27]
	s_waitcnt lgkmcnt(1)
	v_mul_f64 v[26:27], v[2:3], v[20:21]
	v_add_f64 v[48:49], v[28:29], v[48:49]
	v_fma_f64 v[54:55], v[0:1], v[18:19], -v[26:27]
	ds_read_b128 v[26:29], v33 offset:2144
	v_mul_f64 v[0:1], v[0:1], v[20:21]
	v_fmac_f64_e32 v[0:1], v[2:3], v[18:19]
	v_add_f64 v[56:57], v[0:1], v[38:39]
	ds_read_b128 v[0:3], v33 offset:2160
	s_waitcnt lgkmcnt(1)
	v_mul_f64 v[38:39], v[28:29], v[16:17]
	v_mul_f64 v[16:17], v[26:27], v[16:17]
	v_fma_f64 v[38:39], v[26:27], v[14:15], -v[38:39]
	v_fmac_f64_e32 v[16:17], v[28:29], v[14:15]
	v_mul_f64 v[14:15], v[28:29], v[20:21]
	v_add_f64 v[42:43], v[42:43], v[38:39]
	v_add_f64 v[44:45], v[16:17], v[44:45]
	v_fma_f64 v[38:39], v[26:27], v[18:19], -v[14:15]
	ds_read_b128 v[14:17], v32 offset:3584
	v_add_f64 v[54:55], v[40:41], v[54:55]
	v_add_f64 v[50:51], v[50:51], v[38:39]
	ds_read_b128 v[38:41], v32 offset:3840
	v_mul_f64 v[20:21], v[26:27], v[20:21]
	v_fmac_f64_e32 v[20:21], v[28:29], v[18:19]
	s_waitcnt lgkmcnt(1)
	v_mul_f64 v[18:19], v[24:25], v[16:17]
	v_fma_f64 v[18:19], v[22:23], v[14:15], -v[18:19]
	v_add_f64 v[52:53], v[20:21], v[52:53]
	v_mul_f64 v[20:21], v[22:23], v[16:17]
	v_add_f64 v[26:27], v[46:47], v[18:19]
	s_waitcnt lgkmcnt(0)
	v_mul_f64 v[18:19], v[24:25], v[40:41]
	v_fmac_f64_e32 v[20:21], v[24:25], v[14:15]
	v_fma_f64 v[18:19], v[22:23], v[38:39], -v[18:19]
	v_add_f64 v[28:29], v[20:21], v[48:49]
	v_mul_f64 v[20:21], v[22:23], v[40:41]
	v_add_f64 v[22:23], v[54:55], v[18:19]
	v_mul_f64 v[18:19], v[2:3], v[16:17]
	v_mul_f64 v[16:17], v[0:1], v[16:17]
	v_fma_f64 v[18:19], v[0:1], v[14:15], -v[18:19]
	v_fmac_f64_e32 v[16:17], v[2:3], v[14:15]
	v_mul_f64 v[14:15], v[2:3], v[40:41]
	v_fma_f64 v[14:15], v[0:1], v[38:39], -v[14:15]
	v_mul_f64 v[0:1], v[0:1], v[40:41]
	v_fmac_f64_e32 v[20:21], v[24:25], v[38:39]
	v_fmac_f64_e32 v[0:1], v[2:3], v[38:39]
	s_addc_u32 s3, s3, 0
	v_add_f64 v[24:25], v[20:21], v[56:57]
	v_add_f64 v[20:21], v[16:17], v[44:45]
	;; [unrolled: 1-line block ×4, first 2 shown]
	v_mov_b64_e32 v[0:1], s[2:3]
	v_cmp_gt_i64_e32 vcc, s[8:9], v[0:1]
	v_add_f64 v[18:19], v[42:43], v[18:19]
	s_barrier
	s_cbranch_vccz .LBB555_16
.LBB555_8:                              ; =>This Inner Loop Header: Depth=1
	v_mov_b64_e32 v[0:1], 0
	v_mov_b64_e32 v[2:3], 0
	s_and_saveexec_b64 s[12:13], s[0:1]
	s_cbranch_execz .LBB555_12
; %bb.9:                                ;   in Loop: Header=BB555_8 Depth=1
	v_add_u32_e32 v12, s2, v6
	v_cmp_gt_u64_e32 vcc, s[8:9], v[12:13]
	v_mov_b64_e32 v[2:3], 0
	v_mov_b64_e32 v[0:1], 0
	s_and_saveexec_b64 s[14:15], vcc
	s_cbranch_execz .LBB555_11
; %bb.10:                               ;   in Loop: Header=BB555_8 Depth=1
	v_lshl_add_u64 v[0:1], v[12:13], 4, v[8:9]
	flat_load_dwordx4 v[0:3], v[0:1]
	s_waitcnt vmcnt(0) lgkmcnt(0)
	v_xor_b32_e32 v3, 0x80000000, v3
.LBB555_11:                             ;   in Loop: Header=BB555_8 Depth=1
	s_or_b64 exec, exec, s[14:15]
.LBB555_12:                             ;   in Loop: Header=BB555_8 Depth=1
	s_or_b64 exec, exec, s[12:13]
	v_add_u32_e32 v12, s2, v4
	v_cmp_le_u64_e32 vcc, s[8:9], v[12:13]
	s_or_b64 s[12:13], vcc, s[10:11]
	ds_write_b128 v30, v[0:3]
	s_and_saveexec_b64 s[14:15], s[12:13]
	s_xor_b64 s[12:13], exec, s[14:15]
; %bb.13:                               ;   in Loop: Header=BB555_8 Depth=1
	ds_write_b128 v31, v[34:37]
; %bb.14:                               ;   in Loop: Header=BB555_8 Depth=1
	s_andn2_saveexec_b64 s[12:13], s[12:13]
	s_cbranch_execz .LBB555_7
; %bb.15:                               ;   in Loop: Header=BB555_8 Depth=1
	v_lshl_add_u64 v[0:1], v[12:13], 4, v[10:11]
	flat_load_dwordx4 v[0:3], v[0:1]
	s_waitcnt vmcnt(0) lgkmcnt(0)
	ds_write2_b64 v31, v[0:1], v[2:3] offset1:1
	s_branch .LBB555_7
.LBB555_16:
	s_lshl_b64 s[0:1], s[30:31], 4
	v_add_u32_e32 v10, s26, v7
	s_waitcnt lgkmcnt(0)
	s_add_u32 s8, s4, s0
	v_ashrrev_i32_e32 v0, 31, v10
	s_addc_u32 s9, s5, s1
	v_cmp_neq_f64_e64 s[0:1], s[36:37], 0
	s_xor_b64 s[4:5], s[6:7], -1
	v_mul_lo_u32 v2, s28, v0
	v_mul_lo_u32 v3, s29, v10
	v_mad_u64_u32 v[0:1], s[2:3], s28, v10, 0
	v_add_u32_e32 v4, s25, v5
	v_add3_u32 v1, v1, v2, v3
	s_or_b64 s[0:1], s[0:1], s[4:5]
	v_lshl_add_u64 v[8:9], v[0:1], 4, s[8:9]
	v_cmp_le_i32_e32 vcc, v10, v4
	v_cmp_gt_i32_e64 s[2:3], s24, v4
	v_cndmask_b32_e64 v0, 0, 1, s[0:1]
	s_and_b64 s[6:7], vcc, s[2:3]
	v_ashrrev_i32_e32 v5, 31, v4
	v_cmp_ne_u32_e64 s[0:1], 1, v0
	s_and_saveexec_b64 s[4:5], s[6:7]
	s_cbranch_execz .LBB555_20
; %bb.17:
	v_mul_f64 v[0:1], s[42:43], v[28:29]
	v_mul_f64 v[2:3], s[40:41], v[28:29]
	v_fma_f64 v[0:1], s[40:41], v[26:27], -v[0:1]
	v_fmac_f64_e32 v[2:3], s[42:43], v[26:27]
	s_and_b64 vcc, exec, s[0:1]
	v_lshl_add_u64 v[6:7], v[4:5], 4, v[8:9]
	s_cbranch_vccnz .LBB555_19
; %bb.18:
	flat_load_dwordx4 v[26:29], v[6:7]
	s_waitcnt vmcnt(0) lgkmcnt(0)
	v_mul_f64 v[12:13], s[38:39], v[28:29]
	v_mul_f64 v[28:29], s[36:37], v[28:29]
	v_fma_f64 v[12:13], s[36:37], v[26:27], -v[12:13]
	v_fmac_f64_e32 v[28:29], s[38:39], v[26:27]
	v_add_f64 v[0:1], v[0:1], v[12:13]
	v_add_f64 v[2:3], v[2:3], v[28:29]
.LBB555_19:
	flat_store_dwordx4 v[6:7], v[0:3]
.LBB555_20:
	s_or_b64 exec, exec, s[4:5]
	v_add_u32_e32 v6, 16, v4
	v_cmp_le_i32_e32 vcc, v10, v6
	v_cmp_gt_i32_e64 s[4:5], s24, v6
	s_and_b64 s[10:11], vcc, s[4:5]
	v_ashrrev_i32_e32 v7, 31, v6
	s_and_saveexec_b64 s[6:7], s[10:11]
	s_cbranch_execz .LBB555_24
; %bb.21:
	v_mul_f64 v[0:1], s[42:43], v[24:25]
	v_mul_f64 v[2:3], s[40:41], v[24:25]
	v_fma_f64 v[0:1], s[40:41], v[22:23], -v[0:1]
	v_fmac_f64_e32 v[2:3], s[42:43], v[22:23]
	s_and_b64 vcc, exec, s[0:1]
	v_lshl_add_u64 v[8:9], v[6:7], 4, v[8:9]
	s_cbranch_vccnz .LBB555_23
; %bb.22:
	flat_load_dwordx4 v[22:25], v[8:9]
	s_waitcnt vmcnt(0) lgkmcnt(0)
	v_mul_f64 v[12:13], s[38:39], v[24:25]
	v_mul_f64 v[24:25], s[36:37], v[24:25]
	v_fma_f64 v[12:13], s[36:37], v[22:23], -v[12:13]
	v_fmac_f64_e32 v[24:25], s[38:39], v[22:23]
	v_add_f64 v[0:1], v[0:1], v[12:13]
	v_add_f64 v[2:3], v[2:3], v[24:25]
.LBB555_23:
	flat_store_dwordx4 v[8:9], v[0:3]
.LBB555_24:
	s_or_b64 exec, exec, s[6:7]
	v_add_u32_e32 v10, 16, v10
	v_ashrrev_i32_e32 v0, 31, v10
	v_mul_lo_u32 v2, s28, v0
	v_mul_lo_u32 v3, s29, v10
	v_mad_u64_u32 v[0:1], s[6:7], s28, v10, 0
	v_add3_u32 v1, v1, v2, v3
	v_cmp_le_i32_e32 vcc, v10, v4
	v_lshl_add_u64 v[8:9], v[0:1], 4, s[8:9]
	s_and_b64 s[6:7], vcc, s[2:3]
	s_and_saveexec_b64 s[2:3], s[6:7]
	s_cbranch_execz .LBB555_28
; %bb.25:
	v_mul_f64 v[0:1], s[42:43], v[20:21]
	v_mul_f64 v[2:3], s[40:41], v[20:21]
	v_fma_f64 v[0:1], s[40:41], v[18:19], -v[0:1]
	v_fmac_f64_e32 v[2:3], s[42:43], v[18:19]
	s_and_b64 vcc, exec, s[0:1]
	v_lshl_add_u64 v[4:5], v[4:5], 4, v[8:9]
	s_cbranch_vccnz .LBB555_27
; %bb.26:
	flat_load_dwordx4 v[18:21], v[4:5]
	s_waitcnt vmcnt(0) lgkmcnt(0)
	v_mul_f64 v[12:13], s[38:39], v[20:21]
	v_mul_f64 v[20:21], s[36:37], v[20:21]
	v_fma_f64 v[12:13], s[36:37], v[18:19], -v[12:13]
	v_fmac_f64_e32 v[20:21], s[38:39], v[18:19]
	v_add_f64 v[0:1], v[0:1], v[12:13]
	v_add_f64 v[2:3], v[2:3], v[20:21]
.LBB555_27:
	flat_store_dwordx4 v[4:5], v[0:3]
.LBB555_28:
	s_or_b64 exec, exec, s[2:3]
	v_cmp_le_i32_e32 vcc, v10, v6
	s_and_b64 s[2:3], vcc, s[4:5]
	s_and_saveexec_b64 s[4:5], s[2:3]
	s_cbranch_execz .LBB555_32
; %bb.29:
	v_mul_f64 v[0:1], s[42:43], v[14:15]
	v_mul_f64 v[2:3], s[40:41], v[14:15]
	v_fma_f64 v[0:1], s[40:41], v[16:17], -v[0:1]
	v_fmac_f64_e32 v[2:3], s[42:43], v[16:17]
	s_and_b64 vcc, exec, s[0:1]
	v_lshl_add_u64 v[4:5], v[6:7], 4, v[8:9]
	s_cbranch_vccnz .LBB555_31
; %bb.30:
	flat_load_dwordx4 v[6:9], v[4:5]
	s_waitcnt vmcnt(0) lgkmcnt(0)
	v_mul_f64 v[10:11], s[38:39], v[8:9]
	v_mul_f64 v[8:9], s[36:37], v[8:9]
	v_fma_f64 v[10:11], s[36:37], v[6:7], -v[10:11]
	v_fmac_f64_e32 v[8:9], s[38:39], v[6:7]
	v_add_f64 v[0:1], v[0:1], v[10:11]
	v_add_f64 v[2:3], v[2:3], v[8:9]
.LBB555_31:
	flat_store_dwordx4 v[4:5], v[0:3]
.LBB555_32:
	s_endpgm
	.section	.rodata,"a",@progbits
	.p2align	6, 0x0
	.amdhsa_kernel _ZL29rocblas_internal_gemmt_kernelIlLi16ELi32ELi8ELc67ELc78ELc76ELb1ELb0E19rocblas_complex_numIdEPKS1_PKS3_PKPS1_EviT_T9_T10_S9_lSB_S9_lSA_T11_S9_li
		.amdhsa_group_segment_fixed_size 8192
		.amdhsa_private_segment_fixed_size 0
		.amdhsa_kernarg_size 108
		.amdhsa_user_sgpr_count 2
		.amdhsa_user_sgpr_dispatch_ptr 0
		.amdhsa_user_sgpr_queue_ptr 0
		.amdhsa_user_sgpr_kernarg_segment_ptr 1
		.amdhsa_user_sgpr_dispatch_id 0
		.amdhsa_user_sgpr_kernarg_preload_length 0
		.amdhsa_user_sgpr_kernarg_preload_offset 0
		.amdhsa_user_sgpr_private_segment_size 0
		.amdhsa_uses_dynamic_stack 0
		.amdhsa_enable_private_segment 0
		.amdhsa_system_sgpr_workgroup_id_x 1
		.amdhsa_system_sgpr_workgroup_id_y 1
		.amdhsa_system_sgpr_workgroup_id_z 1
		.amdhsa_system_sgpr_workgroup_info 0
		.amdhsa_system_vgpr_workitem_id 1
		.amdhsa_next_free_vgpr 64
		.amdhsa_next_free_sgpr 44
		.amdhsa_accum_offset 64
		.amdhsa_reserve_vcc 1
		.amdhsa_float_round_mode_32 0
		.amdhsa_float_round_mode_16_64 0
		.amdhsa_float_denorm_mode_32 3
		.amdhsa_float_denorm_mode_16_64 3
		.amdhsa_dx10_clamp 1
		.amdhsa_ieee_mode 1
		.amdhsa_fp16_overflow 0
		.amdhsa_tg_split 0
		.amdhsa_exception_fp_ieee_invalid_op 0
		.amdhsa_exception_fp_denorm_src 0
		.amdhsa_exception_fp_ieee_div_zero 0
		.amdhsa_exception_fp_ieee_overflow 0
		.amdhsa_exception_fp_ieee_underflow 0
		.amdhsa_exception_fp_ieee_inexact 0
		.amdhsa_exception_int_div_zero 0
	.end_amdhsa_kernel
	.section	.text._ZL29rocblas_internal_gemmt_kernelIlLi16ELi32ELi8ELc67ELc78ELc76ELb1ELb0E19rocblas_complex_numIdEPKS1_PKS3_PKPS1_EviT_T9_T10_S9_lSB_S9_lSA_T11_S9_li,"axG",@progbits,_ZL29rocblas_internal_gemmt_kernelIlLi16ELi32ELi8ELc67ELc78ELc76ELb1ELb0E19rocblas_complex_numIdEPKS1_PKS3_PKPS1_EviT_T9_T10_S9_lSB_S9_lSA_T11_S9_li,comdat
.Lfunc_end555:
	.size	_ZL29rocblas_internal_gemmt_kernelIlLi16ELi32ELi8ELc67ELc78ELc76ELb1ELb0E19rocblas_complex_numIdEPKS1_PKS3_PKPS1_EviT_T9_T10_S9_lSB_S9_lSA_T11_S9_li, .Lfunc_end555-_ZL29rocblas_internal_gemmt_kernelIlLi16ELi32ELi8ELc67ELc78ELc76ELb1ELb0E19rocblas_complex_numIdEPKS1_PKS3_PKPS1_EviT_T9_T10_S9_lSB_S9_lSA_T11_S9_li
                                        ; -- End function
	.set _ZL29rocblas_internal_gemmt_kernelIlLi16ELi32ELi8ELc67ELc78ELc76ELb1ELb0E19rocblas_complex_numIdEPKS1_PKS3_PKPS1_EviT_T9_T10_S9_lSB_S9_lSA_T11_S9_li.num_vgpr, 64
	.set _ZL29rocblas_internal_gemmt_kernelIlLi16ELi32ELi8ELc67ELc78ELc76ELb1ELb0E19rocblas_complex_numIdEPKS1_PKS3_PKPS1_EviT_T9_T10_S9_lSB_S9_lSA_T11_S9_li.num_agpr, 0
	.set _ZL29rocblas_internal_gemmt_kernelIlLi16ELi32ELi8ELc67ELc78ELc76ELb1ELb0E19rocblas_complex_numIdEPKS1_PKS3_PKPS1_EviT_T9_T10_S9_lSB_S9_lSA_T11_S9_li.numbered_sgpr, 44
	.set _ZL29rocblas_internal_gemmt_kernelIlLi16ELi32ELi8ELc67ELc78ELc76ELb1ELb0E19rocblas_complex_numIdEPKS1_PKS3_PKPS1_EviT_T9_T10_S9_lSB_S9_lSA_T11_S9_li.num_named_barrier, 0
	.set _ZL29rocblas_internal_gemmt_kernelIlLi16ELi32ELi8ELc67ELc78ELc76ELb1ELb0E19rocblas_complex_numIdEPKS1_PKS3_PKPS1_EviT_T9_T10_S9_lSB_S9_lSA_T11_S9_li.private_seg_size, 0
	.set _ZL29rocblas_internal_gemmt_kernelIlLi16ELi32ELi8ELc67ELc78ELc76ELb1ELb0E19rocblas_complex_numIdEPKS1_PKS3_PKPS1_EviT_T9_T10_S9_lSB_S9_lSA_T11_S9_li.uses_vcc, 1
	.set _ZL29rocblas_internal_gemmt_kernelIlLi16ELi32ELi8ELc67ELc78ELc76ELb1ELb0E19rocblas_complex_numIdEPKS1_PKS3_PKPS1_EviT_T9_T10_S9_lSB_S9_lSA_T11_S9_li.uses_flat_scratch, 0
	.set _ZL29rocblas_internal_gemmt_kernelIlLi16ELi32ELi8ELc67ELc78ELc76ELb1ELb0E19rocblas_complex_numIdEPKS1_PKS3_PKPS1_EviT_T9_T10_S9_lSB_S9_lSA_T11_S9_li.has_dyn_sized_stack, 0
	.set _ZL29rocblas_internal_gemmt_kernelIlLi16ELi32ELi8ELc67ELc78ELc76ELb1ELb0E19rocblas_complex_numIdEPKS1_PKS3_PKPS1_EviT_T9_T10_S9_lSB_S9_lSA_T11_S9_li.has_recursion, 0
	.set _ZL29rocblas_internal_gemmt_kernelIlLi16ELi32ELi8ELc67ELc78ELc76ELb1ELb0E19rocblas_complex_numIdEPKS1_PKS3_PKPS1_EviT_T9_T10_S9_lSB_S9_lSA_T11_S9_li.has_indirect_call, 0
	.section	.AMDGPU.csdata,"",@progbits
; Kernel info:
; codeLenInByte = 3172
; TotalNumSgprs: 50
; NumVgprs: 64
; NumAgprs: 0
; TotalNumVgprs: 64
; ScratchSize: 0
; MemoryBound: 1
; FloatMode: 240
; IeeeMode: 1
; LDSByteSize: 8192 bytes/workgroup (compile time only)
; SGPRBlocks: 6
; VGPRBlocks: 7
; NumSGPRsForWavesPerEU: 50
; NumVGPRsForWavesPerEU: 64
; AccumOffset: 64
; Occupancy: 8
; WaveLimiterHint : 1
; COMPUTE_PGM_RSRC2:SCRATCH_EN: 0
; COMPUTE_PGM_RSRC2:USER_SGPR: 2
; COMPUTE_PGM_RSRC2:TRAP_HANDLER: 0
; COMPUTE_PGM_RSRC2:TGID_X_EN: 1
; COMPUTE_PGM_RSRC2:TGID_Y_EN: 1
; COMPUTE_PGM_RSRC2:TGID_Z_EN: 1
; COMPUTE_PGM_RSRC2:TIDIG_COMP_CNT: 1
; COMPUTE_PGM_RSRC3_GFX90A:ACCUM_OFFSET: 15
; COMPUTE_PGM_RSRC3_GFX90A:TG_SPLIT: 0
	.section	.text._ZL29rocblas_internal_gemmt_kernelIlLi16ELi32ELi8ELc67ELc84ELc76ELb1ELb0E19rocblas_complex_numIdEPKS1_PKS3_PKPS1_EviT_T9_T10_S9_lSB_S9_lSA_T11_S9_li,"axG",@progbits,_ZL29rocblas_internal_gemmt_kernelIlLi16ELi32ELi8ELc67ELc84ELc76ELb1ELb0E19rocblas_complex_numIdEPKS1_PKS3_PKPS1_EviT_T9_T10_S9_lSB_S9_lSA_T11_S9_li,comdat
	.globl	_ZL29rocblas_internal_gemmt_kernelIlLi16ELi32ELi8ELc67ELc84ELc76ELb1ELb0E19rocblas_complex_numIdEPKS1_PKS3_PKPS1_EviT_T9_T10_S9_lSB_S9_lSA_T11_S9_li ; -- Begin function _ZL29rocblas_internal_gemmt_kernelIlLi16ELi32ELi8ELc67ELc84ELc76ELb1ELb0E19rocblas_complex_numIdEPKS1_PKS3_PKPS1_EviT_T9_T10_S9_lSB_S9_lSA_T11_S9_li
	.p2align	8
	.type	_ZL29rocblas_internal_gemmt_kernelIlLi16ELi32ELi8ELc67ELc84ELc76ELb1ELb0E19rocblas_complex_numIdEPKS1_PKS3_PKPS1_EviT_T9_T10_S9_lSB_S9_lSA_T11_S9_li,@function
_ZL29rocblas_internal_gemmt_kernelIlLi16ELi32ELi8ELc67ELc84ELc76ELb1ELb0E19rocblas_complex_numIdEPKS1_PKS3_PKPS1_EviT_T9_T10_S9_lSB_S9_lSA_T11_S9_li: ; @_ZL29rocblas_internal_gemmt_kernelIlLi16ELi32ELi8ELc67ELc84ELc76ELb1ELb0E19rocblas_complex_numIdEPKS1_PKS3_PKPS1_EviT_T9_T10_S9_lSB_S9_lSA_T11_S9_li
; %bb.0:
	s_load_dwordx8 s[24:31], s[0:1], 0x48
	s_load_dwordx16 s[8:23], s[0:1], 0x8
	s_waitcnt lgkmcnt(0)
	s_load_dwordx4 s[36:39], s[24:25], 0x0
	s_load_dwordx4 s[40:43], s[10:11], 0x0
	s_mov_b64 s[24:25], 0
	s_waitcnt lgkmcnt(0)
	v_cmp_eq_f64_e64 s[10:11], s[36:37], 1.0
	v_cmp_eq_f64_e64 s[6:7], s[38:39], 0
	s_and_b64 s[10:11], s[10:11], s[6:7]
	s_andn2_b64 vcc, exec, s[10:11]
	s_mov_b64 s[10:11], -1
	s_cbranch_vccnz .LBB556_4
; %bb.1:
	s_cmp_lg_u64 s[8:9], 0
	s_cbranch_scc0 .LBB556_3
; %bb.2:
	v_cmp_neq_f64_e64 s[10:11], s[40:41], 0
	v_cmp_neq_f64_e64 s[24:25], s[42:43], 0
	s_or_b64 s[24:25], s[10:11], s[24:25]
.LBB556_3:
	s_mov_b64 s[10:11], s[24:25]
.LBB556_4:
	s_and_b64 vcc, exec, s[10:11]
	s_cbranch_vccz .LBB556_32
; %bb.5:
	s_mov_b32 s5, 0
	s_load_dword s24, s[0:1], 0x0
	s_lshl_b64 s[0:1], s[4:5], 3
	s_add_u32 s4, s26, s0
	s_addc_u32 s5, s27, s1
	s_load_dwordx2 s[4:5], s[4:5], 0x0
	s_lshl_b32 s25, s2, 5
	s_lshl_b32 s26, s3, 5
	v_cmp_eq_f64_e64 s[2:3], s[40:41], 0
	v_cmp_eq_f64_e64 s[10:11], s[42:43], 0
	s_and_b64 s[2:3], s[2:3], s[10:11]
	v_cmp_lt_i64_e64 s[10:11], s[8:9], 1
	s_or_b64 s[2:3], s[2:3], s[10:11]
	v_and_b32_e32 v5, 0x3ff, v0
	v_bfe_u32 v7, v0, 10, 10
	v_mov_b64_e32 v[26:27], 0
	s_and_b64 vcc, exec, s[2:3]
	v_mov_b64_e32 v[28:29], 0
	v_mov_b64_e32 v[22:23], 0
	;; [unrolled: 1-line block ×7, first 2 shown]
	s_cbranch_vccnz .LBB556_16
; %bb.6:
	s_add_u32 s2, s18, s0
	s_addc_u32 s3, s19, s1
	s_load_dwordx2 s[2:3], s[2:3], 0x0
	s_lshl_b64 s[10:11], s[22:23], 4
	v_lshl_add_u32 v1, v7, 4, v5
	v_lshrrev_b32_e32 v6, 5, v1
	v_lshrrev_b32_e32 v10, 3, v1
	s_waitcnt lgkmcnt(0)
	s_add_u32 s2, s2, s10
	s_addc_u32 s3, s3, s11
	s_add_u32 s0, s12, s0
	s_addc_u32 s1, s13, s1
	s_load_dwordx2 s[0:1], s[0:1], 0x0
	v_and_b32_e32 v1, 31, v1
	s_lshl_b64 s[10:11], s[16:17], 4
	v_or_b32_e32 v2, s25, v1
	v_lshlrev_b32_e32 v1, 4, v1
	s_waitcnt lgkmcnt(0)
	s_add_u32 s10, s0, s10
	s_addc_u32 s11, s1, s11
	v_cmp_gt_i32_e64 s[0:1], s24, v2
	v_lshl_or_b32 v30, v6, 9, v1
	s_ashr_i32 s16, s25, 31
	v_mul_lo_u32 v1, s15, v2
	v_mad_u64_u32 v[2:3], s[12:13], s14, v2, 0
	v_and_b32_e32 v4, 7, v5
	s_mul_i32 s12, s14, s16
	v_add3_u32 v3, v3, s12, v1
	v_lshlrev_b32_e32 v1, 4, v4
	v_add_u32_e32 v0, s26, v10
	v_lshl_or_b32 v1, v10, 7, v1
	v_add_u32_e32 v31, 0x1000, v1
	v_ashrrev_i32_e32 v1, 31, v0
	v_cmp_gt_i32_e32 vcc, s24, v0
	v_lshl_add_u64 v[10:11], v[0:1], 4, s[2:3]
	v_mov_b32_e32 v0, 0x1000
	v_mov_b32_e32 v13, 0
	v_lshl_add_u64 v[8:9], v[2:3], 4, s[10:11]
	v_lshlrev_b32_e32 v32, 4, v5
	v_lshl_add_u32 v33, v7, 7, v0
	v_mov_b64_e32 v[14:15], 0
	s_mov_b64 s[2:3], 0
	s_xor_b64 s[10:11], vcc, -1
	v_mov_b32_e32 v34, v13
	v_mov_b32_e32 v35, v13
	;; [unrolled: 1-line block ×4, first 2 shown]
	v_mov_b64_e32 v[16:17], 0
	v_mov_b64_e32 v[20:21], 0
	;; [unrolled: 1-line block ×7, first 2 shown]
	s_branch .LBB556_8
.LBB556_7:                              ;   in Loop: Header=BB556_8 Depth=1
	s_or_b64 exec, exec, s[12:13]
	s_waitcnt lgkmcnt(0)
	s_barrier
	ds_read_b128 v[0:3], v32
	ds_read_b128 v[38:41], v33
	ds_read_b128 v[42:45], v33 offset:16
	ds_read_b128 v[46:49], v33 offset:32
	;; [unrolled: 1-line block ×4, first 2 shown]
	s_waitcnt lgkmcnt(4)
	v_mul_f64 v[58:59], v[40:41], v[2:3]
	v_fma_f64 v[58:59], v[38:39], v[0:1], -v[58:59]
	v_mul_f64 v[60:61], v[38:39], v[2:3]
	v_fmac_f64_e32 v[60:61], v[40:41], v[0:1]
	v_add_f64 v[58:59], v[26:27], v[58:59]
	s_waitcnt lgkmcnt(0)
	v_mul_f64 v[26:27], v[40:41], v[56:57]
	v_add_f64 v[60:61], v[60:61], v[28:29]
	v_fma_f64 v[62:63], v[38:39], v[54:55], -v[26:27]
	ds_read_b128 v[26:29], v33 offset:2048
	v_mul_f64 v[38:39], v[38:39], v[56:57]
	v_fmac_f64_e32 v[38:39], v[40:41], v[54:55]
	v_add_f64 v[40:41], v[22:23], v[62:63]
	v_add_f64 v[38:39], v[38:39], v[24:25]
	ds_read_b128 v[22:25], v33 offset:2064
	s_waitcnt lgkmcnt(1)
	v_mul_f64 v[62:63], v[28:29], v[2:3]
	v_mul_f64 v[2:3], v[26:27], v[2:3]
	v_fma_f64 v[62:63], v[26:27], v[0:1], -v[62:63]
	v_fmac_f64_e32 v[2:3], v[28:29], v[0:1]
	v_mul_f64 v[0:1], v[28:29], v[56:57]
	v_add_f64 v[18:19], v[18:19], v[62:63]
	v_add_f64 v[20:21], v[2:3], v[20:21]
	v_fma_f64 v[62:63], v[26:27], v[54:55], -v[0:1]
	v_mul_f64 v[26:27], v[26:27], v[56:57]
	ds_read_b128 v[0:3], v32 offset:512
	v_fmac_f64_e32 v[26:27], v[28:29], v[54:55]
	v_add_f64 v[28:29], v[16:17], v[62:63]
	v_add_f64 v[26:27], v[26:27], v[14:15]
	ds_read_b128 v[14:17], v32 offset:768
	s_waitcnt lgkmcnt(1)
	v_mul_f64 v[54:55], v[44:45], v[2:3]
	v_fma_f64 v[54:55], v[42:43], v[0:1], -v[54:55]
	v_add_f64 v[54:55], v[58:59], v[54:55]
	v_mul_f64 v[56:57], v[42:43], v[2:3]
	s_waitcnt lgkmcnt(0)
	v_mul_f64 v[58:59], v[44:45], v[16:17]
	v_fma_f64 v[58:59], v[42:43], v[14:15], -v[58:59]
	v_mul_f64 v[42:43], v[42:43], v[16:17]
	v_fmac_f64_e32 v[42:43], v[44:45], v[14:15]
	v_add_f64 v[38:39], v[42:43], v[38:39]
	v_mul_f64 v[42:43], v[24:25], v[2:3]
	v_mul_f64 v[2:3], v[22:23], v[2:3]
	v_fmac_f64_e32 v[56:57], v[44:45], v[0:1]
	v_fma_f64 v[42:43], v[22:23], v[0:1], -v[42:43]
	v_fmac_f64_e32 v[2:3], v[24:25], v[0:1]
	v_mul_f64 v[0:1], v[24:25], v[16:17]
	v_add_f64 v[42:43], v[18:19], v[42:43]
	v_add_f64 v[44:45], v[2:3], v[20:21]
	v_fma_f64 v[18:19], v[22:23], v[14:15], -v[0:1]
	v_mul_f64 v[16:17], v[22:23], v[16:17]
	ds_read_b128 v[0:3], v32 offset:1024
	v_fmac_f64_e32 v[16:17], v[24:25], v[14:15]
	v_add_f64 v[26:27], v[16:17], v[26:27]
	ds_read_b128 v[14:17], v32 offset:1280
	v_add_f64 v[28:29], v[28:29], v[18:19]
	s_waitcnt lgkmcnt(1)
	v_mul_f64 v[18:19], v[48:49], v[2:3]
	v_fma_f64 v[18:19], v[46:47], v[0:1], -v[18:19]
	v_mul_f64 v[20:21], v[46:47], v[2:3]
	v_add_f64 v[56:57], v[56:57], v[60:61]
	v_fmac_f64_e32 v[20:21], v[48:49], v[0:1]
	v_add_f64 v[54:55], v[54:55], v[18:19]
	s_waitcnt lgkmcnt(0)
	v_mul_f64 v[18:19], v[48:49], v[16:17]
	v_add_f64 v[56:57], v[20:21], v[56:57]
	v_fma_f64 v[22:23], v[46:47], v[14:15], -v[18:19]
	ds_read_b128 v[18:21], v33 offset:2080
	v_mul_f64 v[24:25], v[46:47], v[16:17]
	v_add_f64 v[40:41], v[40:41], v[58:59]
	v_fmac_f64_e32 v[24:25], v[48:49], v[14:15]
	v_add_f64 v[40:41], v[40:41], v[22:23]
	v_add_f64 v[38:39], v[24:25], v[38:39]
	ds_read_b128 v[22:25], v33 offset:2096
	s_waitcnt lgkmcnt(1)
	v_mul_f64 v[46:47], v[20:21], v[2:3]
	v_mul_f64 v[2:3], v[18:19], v[2:3]
	v_fma_f64 v[46:47], v[18:19], v[0:1], -v[46:47]
	v_fmac_f64_e32 v[2:3], v[20:21], v[0:1]
	v_mul_f64 v[0:1], v[20:21], v[16:17]
	v_mul_f64 v[16:17], v[18:19], v[16:17]
	v_fmac_f64_e32 v[16:17], v[20:21], v[14:15]
	v_add_f64 v[42:43], v[42:43], v[46:47]
	v_add_f64 v[44:45], v[2:3], v[44:45]
	v_fma_f64 v[46:47], v[18:19], v[14:15], -v[0:1]
	ds_read_b128 v[0:3], v32 offset:1536
	v_add_f64 v[20:21], v[16:17], v[26:27]
	ds_read_b128 v[14:17], v32 offset:1792
	v_add_f64 v[18:19], v[28:29], v[46:47]
	s_add_u32 s2, s2, 8
	s_waitcnt lgkmcnt(1)
	v_mul_f64 v[26:27], v[52:53], v[2:3]
	v_mul_f64 v[28:29], v[50:51], v[2:3]
	s_waitcnt lgkmcnt(0)
	v_mul_f64 v[46:47], v[52:53], v[16:17]
	v_fma_f64 v[46:47], v[50:51], v[14:15], -v[46:47]
	v_add_f64 v[40:41], v[40:41], v[46:47]
	v_mul_f64 v[46:47], v[24:25], v[2:3]
	v_mul_f64 v[2:3], v[22:23], v[2:3]
	v_fma_f64 v[26:27], v[50:51], v[0:1], -v[26:27]
	v_fmac_f64_e32 v[28:29], v[52:53], v[0:1]
	v_fma_f64 v[46:47], v[22:23], v[0:1], -v[46:47]
	v_fmac_f64_e32 v[2:3], v[24:25], v[0:1]
	v_mul_f64 v[0:1], v[24:25], v[16:17]
	v_mul_f64 v[48:49], v[50:51], v[16:17]
	v_add_f64 v[42:43], v[42:43], v[46:47]
	v_fma_f64 v[46:47], v[22:23], v[14:15], -v[0:1]
	v_mul_f64 v[22:23], v[22:23], v[16:17]
	v_fmac_f64_e32 v[48:49], v[52:53], v[14:15]
	v_add_f64 v[44:45], v[2:3], v[44:45]
	v_fmac_f64_e32 v[22:23], v[24:25], v[14:15]
	ds_read_b128 v[0:3], v33 offset:64
	ds_read_b128 v[14:17], v32 offset:2048
	v_add_f64 v[38:39], v[48:49], v[38:39]
	v_add_f64 v[46:47], v[18:19], v[46:47]
	v_add_f64 v[48:49], v[22:23], v[20:21]
	ds_read_b128 v[18:21], v32 offset:2304
	ds_read_b128 v[22:25], v33 offset:80
	s_waitcnt lgkmcnt(2)
	v_mul_f64 v[50:51], v[2:3], v[16:17]
	v_add_f64 v[26:27], v[54:55], v[26:27]
	v_fma_f64 v[50:51], v[0:1], v[14:15], -v[50:51]
	v_mul_f64 v[52:53], v[0:1], v[16:17]
	v_add_f64 v[28:29], v[28:29], v[56:57]
	v_fmac_f64_e32 v[52:53], v[2:3], v[14:15]
	v_add_f64 v[50:51], v[26:27], v[50:51]
	s_waitcnt lgkmcnt(1)
	v_mul_f64 v[26:27], v[2:3], v[20:21]
	v_add_f64 v[52:53], v[52:53], v[28:29]
	v_fma_f64 v[54:55], v[0:1], v[18:19], -v[26:27]
	ds_read_b128 v[26:29], v33 offset:2112
	v_mul_f64 v[0:1], v[0:1], v[20:21]
	v_fmac_f64_e32 v[0:1], v[2:3], v[18:19]
	v_add_f64 v[40:41], v[40:41], v[54:55]
	v_add_f64 v[38:39], v[0:1], v[38:39]
	ds_read_b128 v[0:3], v33 offset:2128
	s_waitcnt lgkmcnt(1)
	v_mul_f64 v[54:55], v[28:29], v[16:17]
	v_mul_f64 v[16:17], v[26:27], v[16:17]
	v_fma_f64 v[54:55], v[26:27], v[14:15], -v[54:55]
	v_fmac_f64_e32 v[16:17], v[28:29], v[14:15]
	v_mul_f64 v[14:15], v[28:29], v[20:21]
	v_add_f64 v[42:43], v[42:43], v[54:55]
	v_add_f64 v[44:45], v[16:17], v[44:45]
	v_fma_f64 v[54:55], v[26:27], v[18:19], -v[14:15]
	v_mul_f64 v[20:21], v[26:27], v[20:21]
	ds_read_b128 v[14:17], v32 offset:2560
	v_fmac_f64_e32 v[20:21], v[28:29], v[18:19]
	v_add_f64 v[28:29], v[20:21], v[48:49]
	ds_read_b128 v[18:21], v32 offset:2816
	v_add_f64 v[26:27], v[46:47], v[54:55]
	s_waitcnt lgkmcnt(1)
	v_mul_f64 v[46:47], v[24:25], v[16:17]
	v_fma_f64 v[46:47], v[22:23], v[14:15], -v[46:47]
	v_add_f64 v[46:47], v[50:51], v[46:47]
	s_waitcnt lgkmcnt(0)
	v_mul_f64 v[50:51], v[24:25], v[20:21]
	v_mul_f64 v[48:49], v[22:23], v[16:17]
	v_fma_f64 v[50:51], v[22:23], v[18:19], -v[50:51]
	v_mul_f64 v[22:23], v[22:23], v[20:21]
	v_fmac_f64_e32 v[22:23], v[24:25], v[18:19]
	v_add_f64 v[38:39], v[22:23], v[38:39]
	v_mul_f64 v[22:23], v[2:3], v[16:17]
	v_mul_f64 v[16:17], v[0:1], v[16:17]
	v_fmac_f64_e32 v[48:49], v[24:25], v[14:15]
	v_fma_f64 v[22:23], v[0:1], v[14:15], -v[22:23]
	v_fmac_f64_e32 v[16:17], v[2:3], v[14:15]
	v_mul_f64 v[14:15], v[2:3], v[20:21]
	v_mul_f64 v[20:21], v[0:1], v[20:21]
	v_add_f64 v[42:43], v[42:43], v[22:23]
	v_add_f64 v[44:45], v[16:17], v[44:45]
	v_fma_f64 v[22:23], v[0:1], v[18:19], -v[14:15]
	v_fmac_f64_e32 v[20:21], v[2:3], v[18:19]
	ds_read_b128 v[0:3], v33 offset:96
	ds_read_b128 v[14:17], v32 offset:3072
	v_add_f64 v[48:49], v[48:49], v[52:53]
	v_add_f64 v[40:41], v[40:41], v[50:51]
	;; [unrolled: 1-line block ×4, first 2 shown]
	ds_read_b128 v[18:21], v32 offset:3328
	ds_read_b128 v[22:25], v33 offset:112
	s_waitcnt lgkmcnt(2)
	v_mul_f64 v[26:27], v[2:3], v[16:17]
	v_fma_f64 v[26:27], v[0:1], v[14:15], -v[26:27]
	v_mul_f64 v[28:29], v[0:1], v[16:17]
	v_fmac_f64_e32 v[28:29], v[2:3], v[14:15]
	v_add_f64 v[46:47], v[46:47], v[26:27]
	s_waitcnt lgkmcnt(1)
	v_mul_f64 v[26:27], v[2:3], v[20:21]
	v_add_f64 v[48:49], v[28:29], v[48:49]
	v_fma_f64 v[54:55], v[0:1], v[18:19], -v[26:27]
	ds_read_b128 v[26:29], v33 offset:2144
	v_mul_f64 v[0:1], v[0:1], v[20:21]
	v_fmac_f64_e32 v[0:1], v[2:3], v[18:19]
	v_add_f64 v[56:57], v[0:1], v[38:39]
	ds_read_b128 v[0:3], v33 offset:2160
	s_waitcnt lgkmcnt(1)
	v_mul_f64 v[38:39], v[28:29], v[16:17]
	v_mul_f64 v[16:17], v[26:27], v[16:17]
	v_fma_f64 v[38:39], v[26:27], v[14:15], -v[38:39]
	v_fmac_f64_e32 v[16:17], v[28:29], v[14:15]
	v_mul_f64 v[14:15], v[28:29], v[20:21]
	v_add_f64 v[42:43], v[42:43], v[38:39]
	v_add_f64 v[44:45], v[16:17], v[44:45]
	v_fma_f64 v[38:39], v[26:27], v[18:19], -v[14:15]
	ds_read_b128 v[14:17], v32 offset:3584
	v_add_f64 v[54:55], v[40:41], v[54:55]
	v_add_f64 v[50:51], v[50:51], v[38:39]
	ds_read_b128 v[38:41], v32 offset:3840
	v_mul_f64 v[20:21], v[26:27], v[20:21]
	v_fmac_f64_e32 v[20:21], v[28:29], v[18:19]
	s_waitcnt lgkmcnt(1)
	v_mul_f64 v[18:19], v[24:25], v[16:17]
	v_fma_f64 v[18:19], v[22:23], v[14:15], -v[18:19]
	v_add_f64 v[52:53], v[20:21], v[52:53]
	v_mul_f64 v[20:21], v[22:23], v[16:17]
	v_add_f64 v[26:27], v[46:47], v[18:19]
	s_waitcnt lgkmcnt(0)
	v_mul_f64 v[18:19], v[24:25], v[40:41]
	v_fmac_f64_e32 v[20:21], v[24:25], v[14:15]
	v_fma_f64 v[18:19], v[22:23], v[38:39], -v[18:19]
	v_add_f64 v[28:29], v[20:21], v[48:49]
	v_mul_f64 v[20:21], v[22:23], v[40:41]
	v_add_f64 v[22:23], v[54:55], v[18:19]
	v_mul_f64 v[18:19], v[2:3], v[16:17]
	v_mul_f64 v[16:17], v[0:1], v[16:17]
	v_fma_f64 v[18:19], v[0:1], v[14:15], -v[18:19]
	v_fmac_f64_e32 v[16:17], v[2:3], v[14:15]
	v_mul_f64 v[14:15], v[2:3], v[40:41]
	v_fma_f64 v[14:15], v[0:1], v[38:39], -v[14:15]
	v_mul_f64 v[0:1], v[0:1], v[40:41]
	v_fmac_f64_e32 v[20:21], v[24:25], v[38:39]
	v_fmac_f64_e32 v[0:1], v[2:3], v[38:39]
	s_addc_u32 s3, s3, 0
	v_add_f64 v[24:25], v[20:21], v[56:57]
	v_add_f64 v[20:21], v[16:17], v[44:45]
	;; [unrolled: 1-line block ×4, first 2 shown]
	v_mov_b64_e32 v[0:1], s[2:3]
	v_cmp_gt_i64_e32 vcc, s[8:9], v[0:1]
	v_add_f64 v[18:19], v[42:43], v[18:19]
	s_barrier
	s_cbranch_vccz .LBB556_16
.LBB556_8:                              ; =>This Inner Loop Header: Depth=1
	v_mov_b64_e32 v[0:1], 0
	v_mov_b64_e32 v[2:3], 0
	s_and_saveexec_b64 s[12:13], s[0:1]
	s_cbranch_execz .LBB556_12
; %bb.9:                                ;   in Loop: Header=BB556_8 Depth=1
	v_add_u32_e32 v12, s2, v6
	v_cmp_gt_u64_e32 vcc, s[8:9], v[12:13]
	v_mov_b64_e32 v[2:3], 0
	v_mov_b64_e32 v[0:1], 0
	s_and_saveexec_b64 s[14:15], vcc
	s_cbranch_execz .LBB556_11
; %bb.10:                               ;   in Loop: Header=BB556_8 Depth=1
	v_lshl_add_u64 v[0:1], v[12:13], 4, v[8:9]
	flat_load_dwordx4 v[0:3], v[0:1]
	s_waitcnt vmcnt(0) lgkmcnt(0)
	v_xor_b32_e32 v3, 0x80000000, v3
.LBB556_11:                             ;   in Loop: Header=BB556_8 Depth=1
	s_or_b64 exec, exec, s[14:15]
.LBB556_12:                             ;   in Loop: Header=BB556_8 Depth=1
	s_or_b64 exec, exec, s[12:13]
	v_add_u32_e32 v12, s2, v4
	v_cmp_le_u64_e32 vcc, s[8:9], v[12:13]
	s_or_b64 s[12:13], vcc, s[10:11]
	ds_write_b128 v30, v[0:3]
	s_and_saveexec_b64 s[14:15], s[12:13]
	s_xor_b64 s[12:13], exec, s[14:15]
; %bb.13:                               ;   in Loop: Header=BB556_8 Depth=1
	ds_write_b128 v31, v[34:37]
; %bb.14:                               ;   in Loop: Header=BB556_8 Depth=1
	s_andn2_saveexec_b64 s[12:13], s[12:13]
	s_cbranch_execz .LBB556_7
; %bb.15:                               ;   in Loop: Header=BB556_8 Depth=1
	v_mad_u64_u32 v[0:1], s[14:15], s20, v12, 0
	v_mov_b32_e32 v2, v1
	v_mad_u64_u32 v[2:3], s[14:15], s21, v12, v[2:3]
	v_mov_b32_e32 v1, v2
	v_lshl_add_u64 v[0:1], v[0:1], 4, v[10:11]
	flat_load_dwordx4 v[0:3], v[0:1]
	s_waitcnt vmcnt(0) lgkmcnt(0)
	ds_write2_b64 v31, v[0:1], v[2:3] offset1:1
	s_branch .LBB556_7
.LBB556_16:
	s_lshl_b64 s[0:1], s[30:31], 4
	v_add_u32_e32 v10, s26, v7
	s_waitcnt lgkmcnt(0)
	s_add_u32 s8, s4, s0
	v_ashrrev_i32_e32 v0, 31, v10
	s_addc_u32 s9, s5, s1
	v_cmp_neq_f64_e64 s[0:1], s[36:37], 0
	s_xor_b64 s[4:5], s[6:7], -1
	v_mul_lo_u32 v2, s28, v0
	v_mul_lo_u32 v3, s29, v10
	v_mad_u64_u32 v[0:1], s[2:3], s28, v10, 0
	v_add_u32_e32 v4, s25, v5
	v_add3_u32 v1, v1, v2, v3
	s_or_b64 s[0:1], s[0:1], s[4:5]
	v_lshl_add_u64 v[8:9], v[0:1], 4, s[8:9]
	v_cmp_le_i32_e32 vcc, v10, v4
	v_cmp_gt_i32_e64 s[2:3], s24, v4
	v_cndmask_b32_e64 v0, 0, 1, s[0:1]
	s_and_b64 s[6:7], vcc, s[2:3]
	v_ashrrev_i32_e32 v5, 31, v4
	v_cmp_ne_u32_e64 s[0:1], 1, v0
	s_and_saveexec_b64 s[4:5], s[6:7]
	s_cbranch_execz .LBB556_20
; %bb.17:
	v_mul_f64 v[0:1], s[42:43], v[28:29]
	v_mul_f64 v[2:3], s[40:41], v[28:29]
	v_fma_f64 v[0:1], s[40:41], v[26:27], -v[0:1]
	v_fmac_f64_e32 v[2:3], s[42:43], v[26:27]
	s_and_b64 vcc, exec, s[0:1]
	v_lshl_add_u64 v[6:7], v[4:5], 4, v[8:9]
	s_cbranch_vccnz .LBB556_19
; %bb.18:
	flat_load_dwordx4 v[26:29], v[6:7]
	s_waitcnt vmcnt(0) lgkmcnt(0)
	v_mul_f64 v[12:13], s[38:39], v[28:29]
	v_mul_f64 v[28:29], s[36:37], v[28:29]
	v_fma_f64 v[12:13], s[36:37], v[26:27], -v[12:13]
	v_fmac_f64_e32 v[28:29], s[38:39], v[26:27]
	v_add_f64 v[0:1], v[0:1], v[12:13]
	v_add_f64 v[2:3], v[2:3], v[28:29]
.LBB556_19:
	flat_store_dwordx4 v[6:7], v[0:3]
.LBB556_20:
	s_or_b64 exec, exec, s[4:5]
	v_add_u32_e32 v6, 16, v4
	v_cmp_le_i32_e32 vcc, v10, v6
	v_cmp_gt_i32_e64 s[4:5], s24, v6
	s_and_b64 s[10:11], vcc, s[4:5]
	v_ashrrev_i32_e32 v7, 31, v6
	s_and_saveexec_b64 s[6:7], s[10:11]
	s_cbranch_execz .LBB556_24
; %bb.21:
	v_mul_f64 v[0:1], s[42:43], v[24:25]
	v_mul_f64 v[2:3], s[40:41], v[24:25]
	v_fma_f64 v[0:1], s[40:41], v[22:23], -v[0:1]
	v_fmac_f64_e32 v[2:3], s[42:43], v[22:23]
	s_and_b64 vcc, exec, s[0:1]
	v_lshl_add_u64 v[8:9], v[6:7], 4, v[8:9]
	s_cbranch_vccnz .LBB556_23
; %bb.22:
	flat_load_dwordx4 v[22:25], v[8:9]
	s_waitcnt vmcnt(0) lgkmcnt(0)
	v_mul_f64 v[12:13], s[38:39], v[24:25]
	v_mul_f64 v[24:25], s[36:37], v[24:25]
	v_fma_f64 v[12:13], s[36:37], v[22:23], -v[12:13]
	v_fmac_f64_e32 v[24:25], s[38:39], v[22:23]
	v_add_f64 v[0:1], v[0:1], v[12:13]
	v_add_f64 v[2:3], v[2:3], v[24:25]
.LBB556_23:
	flat_store_dwordx4 v[8:9], v[0:3]
.LBB556_24:
	s_or_b64 exec, exec, s[6:7]
	v_add_u32_e32 v10, 16, v10
	v_ashrrev_i32_e32 v0, 31, v10
	v_mul_lo_u32 v2, s28, v0
	v_mul_lo_u32 v3, s29, v10
	v_mad_u64_u32 v[0:1], s[6:7], s28, v10, 0
	v_add3_u32 v1, v1, v2, v3
	v_cmp_le_i32_e32 vcc, v10, v4
	v_lshl_add_u64 v[8:9], v[0:1], 4, s[8:9]
	s_and_b64 s[6:7], vcc, s[2:3]
	s_and_saveexec_b64 s[2:3], s[6:7]
	s_cbranch_execz .LBB556_28
; %bb.25:
	v_mul_f64 v[0:1], s[42:43], v[20:21]
	v_mul_f64 v[2:3], s[40:41], v[20:21]
	v_fma_f64 v[0:1], s[40:41], v[18:19], -v[0:1]
	v_fmac_f64_e32 v[2:3], s[42:43], v[18:19]
	s_and_b64 vcc, exec, s[0:1]
	v_lshl_add_u64 v[4:5], v[4:5], 4, v[8:9]
	s_cbranch_vccnz .LBB556_27
; %bb.26:
	flat_load_dwordx4 v[18:21], v[4:5]
	s_waitcnt vmcnt(0) lgkmcnt(0)
	v_mul_f64 v[12:13], s[38:39], v[20:21]
	v_mul_f64 v[20:21], s[36:37], v[20:21]
	v_fma_f64 v[12:13], s[36:37], v[18:19], -v[12:13]
	v_fmac_f64_e32 v[20:21], s[38:39], v[18:19]
	v_add_f64 v[0:1], v[0:1], v[12:13]
	v_add_f64 v[2:3], v[2:3], v[20:21]
.LBB556_27:
	flat_store_dwordx4 v[4:5], v[0:3]
.LBB556_28:
	s_or_b64 exec, exec, s[2:3]
	v_cmp_le_i32_e32 vcc, v10, v6
	s_and_b64 s[2:3], vcc, s[4:5]
	s_and_saveexec_b64 s[4:5], s[2:3]
	s_cbranch_execz .LBB556_32
; %bb.29:
	v_mul_f64 v[0:1], s[42:43], v[14:15]
	v_mul_f64 v[2:3], s[40:41], v[14:15]
	v_fma_f64 v[0:1], s[40:41], v[16:17], -v[0:1]
	v_fmac_f64_e32 v[2:3], s[42:43], v[16:17]
	s_and_b64 vcc, exec, s[0:1]
	v_lshl_add_u64 v[4:5], v[6:7], 4, v[8:9]
	s_cbranch_vccnz .LBB556_31
; %bb.30:
	flat_load_dwordx4 v[6:9], v[4:5]
	s_waitcnt vmcnt(0) lgkmcnt(0)
	v_mul_f64 v[10:11], s[38:39], v[8:9]
	v_mul_f64 v[8:9], s[36:37], v[8:9]
	v_fma_f64 v[10:11], s[36:37], v[6:7], -v[10:11]
	v_fmac_f64_e32 v[8:9], s[38:39], v[6:7]
	v_add_f64 v[0:1], v[0:1], v[10:11]
	v_add_f64 v[2:3], v[2:3], v[8:9]
.LBB556_31:
	flat_store_dwordx4 v[4:5], v[0:3]
.LBB556_32:
	s_endpgm
	.section	.rodata,"a",@progbits
	.p2align	6, 0x0
	.amdhsa_kernel _ZL29rocblas_internal_gemmt_kernelIlLi16ELi32ELi8ELc67ELc84ELc76ELb1ELb0E19rocblas_complex_numIdEPKS1_PKS3_PKPS1_EviT_T9_T10_S9_lSB_S9_lSA_T11_S9_li
		.amdhsa_group_segment_fixed_size 8192
		.amdhsa_private_segment_fixed_size 0
		.amdhsa_kernarg_size 108
		.amdhsa_user_sgpr_count 2
		.amdhsa_user_sgpr_dispatch_ptr 0
		.amdhsa_user_sgpr_queue_ptr 0
		.amdhsa_user_sgpr_kernarg_segment_ptr 1
		.amdhsa_user_sgpr_dispatch_id 0
		.amdhsa_user_sgpr_kernarg_preload_length 0
		.amdhsa_user_sgpr_kernarg_preload_offset 0
		.amdhsa_user_sgpr_private_segment_size 0
		.amdhsa_uses_dynamic_stack 0
		.amdhsa_enable_private_segment 0
		.amdhsa_system_sgpr_workgroup_id_x 1
		.amdhsa_system_sgpr_workgroup_id_y 1
		.amdhsa_system_sgpr_workgroup_id_z 1
		.amdhsa_system_sgpr_workgroup_info 0
		.amdhsa_system_vgpr_workitem_id 1
		.amdhsa_next_free_vgpr 64
		.amdhsa_next_free_sgpr 44
		.amdhsa_accum_offset 64
		.amdhsa_reserve_vcc 1
		.amdhsa_float_round_mode_32 0
		.amdhsa_float_round_mode_16_64 0
		.amdhsa_float_denorm_mode_32 3
		.amdhsa_float_denorm_mode_16_64 3
		.amdhsa_dx10_clamp 1
		.amdhsa_ieee_mode 1
		.amdhsa_fp16_overflow 0
		.amdhsa_tg_split 0
		.amdhsa_exception_fp_ieee_invalid_op 0
		.amdhsa_exception_fp_denorm_src 0
		.amdhsa_exception_fp_ieee_div_zero 0
		.amdhsa_exception_fp_ieee_overflow 0
		.amdhsa_exception_fp_ieee_underflow 0
		.amdhsa_exception_fp_ieee_inexact 0
		.amdhsa_exception_int_div_zero 0
	.end_amdhsa_kernel
	.section	.text._ZL29rocblas_internal_gemmt_kernelIlLi16ELi32ELi8ELc67ELc84ELc76ELb1ELb0E19rocblas_complex_numIdEPKS1_PKS3_PKPS1_EviT_T9_T10_S9_lSB_S9_lSA_T11_S9_li,"axG",@progbits,_ZL29rocblas_internal_gemmt_kernelIlLi16ELi32ELi8ELc67ELc84ELc76ELb1ELb0E19rocblas_complex_numIdEPKS1_PKS3_PKPS1_EviT_T9_T10_S9_lSB_S9_lSA_T11_S9_li,comdat
.Lfunc_end556:
	.size	_ZL29rocblas_internal_gemmt_kernelIlLi16ELi32ELi8ELc67ELc84ELc76ELb1ELb0E19rocblas_complex_numIdEPKS1_PKS3_PKPS1_EviT_T9_T10_S9_lSB_S9_lSA_T11_S9_li, .Lfunc_end556-_ZL29rocblas_internal_gemmt_kernelIlLi16ELi32ELi8ELc67ELc84ELc76ELb1ELb0E19rocblas_complex_numIdEPKS1_PKS3_PKPS1_EviT_T9_T10_S9_lSB_S9_lSA_T11_S9_li
                                        ; -- End function
	.set _ZL29rocblas_internal_gemmt_kernelIlLi16ELi32ELi8ELc67ELc84ELc76ELb1ELb0E19rocblas_complex_numIdEPKS1_PKS3_PKPS1_EviT_T9_T10_S9_lSB_S9_lSA_T11_S9_li.num_vgpr, 64
	.set _ZL29rocblas_internal_gemmt_kernelIlLi16ELi32ELi8ELc67ELc84ELc76ELb1ELb0E19rocblas_complex_numIdEPKS1_PKS3_PKPS1_EviT_T9_T10_S9_lSB_S9_lSA_T11_S9_li.num_agpr, 0
	.set _ZL29rocblas_internal_gemmt_kernelIlLi16ELi32ELi8ELc67ELc84ELc76ELb1ELb0E19rocblas_complex_numIdEPKS1_PKS3_PKPS1_EviT_T9_T10_S9_lSB_S9_lSA_T11_S9_li.numbered_sgpr, 44
	.set _ZL29rocblas_internal_gemmt_kernelIlLi16ELi32ELi8ELc67ELc84ELc76ELb1ELb0E19rocblas_complex_numIdEPKS1_PKS3_PKPS1_EviT_T9_T10_S9_lSB_S9_lSA_T11_S9_li.num_named_barrier, 0
	.set _ZL29rocblas_internal_gemmt_kernelIlLi16ELi32ELi8ELc67ELc84ELc76ELb1ELb0E19rocblas_complex_numIdEPKS1_PKS3_PKPS1_EviT_T9_T10_S9_lSB_S9_lSA_T11_S9_li.private_seg_size, 0
	.set _ZL29rocblas_internal_gemmt_kernelIlLi16ELi32ELi8ELc67ELc84ELc76ELb1ELb0E19rocblas_complex_numIdEPKS1_PKS3_PKPS1_EviT_T9_T10_S9_lSB_S9_lSA_T11_S9_li.uses_vcc, 1
	.set _ZL29rocblas_internal_gemmt_kernelIlLi16ELi32ELi8ELc67ELc84ELc76ELb1ELb0E19rocblas_complex_numIdEPKS1_PKS3_PKPS1_EviT_T9_T10_S9_lSB_S9_lSA_T11_S9_li.uses_flat_scratch, 0
	.set _ZL29rocblas_internal_gemmt_kernelIlLi16ELi32ELi8ELc67ELc84ELc76ELb1ELb0E19rocblas_complex_numIdEPKS1_PKS3_PKPS1_EviT_T9_T10_S9_lSB_S9_lSA_T11_S9_li.has_dyn_sized_stack, 0
	.set _ZL29rocblas_internal_gemmt_kernelIlLi16ELi32ELi8ELc67ELc84ELc76ELb1ELb0E19rocblas_complex_numIdEPKS1_PKS3_PKPS1_EviT_T9_T10_S9_lSB_S9_lSA_T11_S9_li.has_recursion, 0
	.set _ZL29rocblas_internal_gemmt_kernelIlLi16ELi32ELi8ELc67ELc84ELc76ELb1ELb0E19rocblas_complex_numIdEPKS1_PKS3_PKPS1_EviT_T9_T10_S9_lSB_S9_lSA_T11_S9_li.has_indirect_call, 0
	.section	.AMDGPU.csdata,"",@progbits
; Kernel info:
; codeLenInByte = 3164
; TotalNumSgprs: 50
; NumVgprs: 64
; NumAgprs: 0
; TotalNumVgprs: 64
; ScratchSize: 0
; MemoryBound: 1
; FloatMode: 240
; IeeeMode: 1
; LDSByteSize: 8192 bytes/workgroup (compile time only)
; SGPRBlocks: 6
; VGPRBlocks: 7
; NumSGPRsForWavesPerEU: 50
; NumVGPRsForWavesPerEU: 64
; AccumOffset: 64
; Occupancy: 8
; WaveLimiterHint : 1
; COMPUTE_PGM_RSRC2:SCRATCH_EN: 0
; COMPUTE_PGM_RSRC2:USER_SGPR: 2
; COMPUTE_PGM_RSRC2:TRAP_HANDLER: 0
; COMPUTE_PGM_RSRC2:TGID_X_EN: 1
; COMPUTE_PGM_RSRC2:TGID_Y_EN: 1
; COMPUTE_PGM_RSRC2:TGID_Z_EN: 1
; COMPUTE_PGM_RSRC2:TIDIG_COMP_CNT: 1
; COMPUTE_PGM_RSRC3_GFX90A:ACCUM_OFFSET: 15
; COMPUTE_PGM_RSRC3_GFX90A:TG_SPLIT: 0
	.section	.text._ZL29rocblas_internal_gemmt_kernelIlLi16ELi32ELi8ELc67ELc67ELc76ELb1ELb1E19rocblas_complex_numIdEPKS1_PKS3_PKPS1_EviT_T9_T10_S9_lSB_S9_lSA_T11_S9_li,"axG",@progbits,_ZL29rocblas_internal_gemmt_kernelIlLi16ELi32ELi8ELc67ELc67ELc76ELb1ELb1E19rocblas_complex_numIdEPKS1_PKS3_PKPS1_EviT_T9_T10_S9_lSB_S9_lSA_T11_S9_li,comdat
	.globl	_ZL29rocblas_internal_gemmt_kernelIlLi16ELi32ELi8ELc67ELc67ELc76ELb1ELb1E19rocblas_complex_numIdEPKS1_PKS3_PKPS1_EviT_T9_T10_S9_lSB_S9_lSA_T11_S9_li ; -- Begin function _ZL29rocblas_internal_gemmt_kernelIlLi16ELi32ELi8ELc67ELc67ELc76ELb1ELb1E19rocblas_complex_numIdEPKS1_PKS3_PKPS1_EviT_T9_T10_S9_lSB_S9_lSA_T11_S9_li
	.p2align	8
	.type	_ZL29rocblas_internal_gemmt_kernelIlLi16ELi32ELi8ELc67ELc67ELc76ELb1ELb1E19rocblas_complex_numIdEPKS1_PKS3_PKPS1_EviT_T9_T10_S9_lSB_S9_lSA_T11_S9_li,@function
_ZL29rocblas_internal_gemmt_kernelIlLi16ELi32ELi8ELc67ELc67ELc76ELb1ELb1E19rocblas_complex_numIdEPKS1_PKS3_PKPS1_EviT_T9_T10_S9_lSB_S9_lSA_T11_S9_li: ; @_ZL29rocblas_internal_gemmt_kernelIlLi16ELi32ELi8ELc67ELc67ELc76ELb1ELb1E19rocblas_complex_numIdEPKS1_PKS3_PKPS1_EviT_T9_T10_S9_lSB_S9_lSA_T11_S9_li
; %bb.0:
	s_load_dwordx8 s[24:31], s[0:1], 0x48
	s_load_dwordx16 s[8:23], s[0:1], 0x8
	s_waitcnt lgkmcnt(0)
	s_load_dwordx4 s[36:39], s[24:25], 0x0
	s_load_dwordx4 s[40:43], s[10:11], 0x0
	s_mov_b64 s[24:25], 0
	s_waitcnt lgkmcnt(0)
	v_cmp_eq_f64_e64 s[10:11], s[36:37], 1.0
	v_cmp_eq_f64_e64 s[6:7], s[38:39], 0
	s_and_b64 s[10:11], s[10:11], s[6:7]
	s_andn2_b64 vcc, exec, s[10:11]
	s_mov_b64 s[10:11], -1
	s_cbranch_vccnz .LBB557_4
; %bb.1:
	s_cmp_lg_u64 s[8:9], 0
	s_cbranch_scc0 .LBB557_3
; %bb.2:
	v_cmp_neq_f64_e64 s[10:11], s[40:41], 0
	v_cmp_neq_f64_e64 s[24:25], s[42:43], 0
	s_or_b64 s[24:25], s[10:11], s[24:25]
.LBB557_3:
	s_mov_b64 s[10:11], s[24:25]
.LBB557_4:
	s_and_b64 vcc, exec, s[10:11]
	s_cbranch_vccz .LBB557_30
; %bb.5:
	s_mov_b32 s5, 0
	s_load_dword s24, s[0:1], 0x0
	s_lshl_b64 s[0:1], s[4:5], 3
	s_add_u32 s4, s26, s0
	s_addc_u32 s5, s27, s1
	s_load_dwordx2 s[4:5], s[4:5], 0x0
	s_lshl_b32 s25, s2, 5
	s_lshl_b32 s26, s3, 5
	v_cmp_eq_f64_e64 s[2:3], s[40:41], 0
	v_cmp_eq_f64_e64 s[10:11], s[42:43], 0
	s_and_b64 s[2:3], s[2:3], s[10:11]
	v_cmp_lt_i64_e64 s[10:11], s[8:9], 1
	s_or_b64 s[2:3], s[2:3], s[10:11]
	v_and_b32_e32 v5, 0x3ff, v0
	v_bfe_u32 v7, v0, 10, 10
	v_mov_b64_e32 v[26:27], 0
	s_and_b64 vcc, exec, s[2:3]
	v_mov_b64_e32 v[28:29], 0
	v_mov_b64_e32 v[22:23], 0
	;; [unrolled: 1-line block ×7, first 2 shown]
	s_cbranch_vccnz .LBB557_14
; %bb.6:
	s_add_u32 s2, s18, s0
	s_addc_u32 s3, s19, s1
	s_load_dwordx2 s[2:3], s[2:3], 0x0
	s_lshl_b64 s[10:11], s[22:23], 4
	v_lshl_add_u32 v1, v7, 4, v5
	v_lshrrev_b32_e32 v6, 5, v1
	v_lshrrev_b32_e32 v10, 3, v1
	s_waitcnt lgkmcnt(0)
	s_add_u32 s10, s2, s10
	s_addc_u32 s11, s3, s11
	s_add_u32 s0, s12, s0
	s_addc_u32 s1, s13, s1
	s_load_dwordx2 s[0:1], s[0:1], 0x0
	v_and_b32_e32 v1, 31, v1
	s_lshl_b64 s[2:3], s[16:17], 4
	v_or_b32_e32 v2, s25, v1
	v_lshlrev_b32_e32 v1, 4, v1
	s_waitcnt lgkmcnt(0)
	s_add_u32 s2, s0, s2
	s_addc_u32 s3, s1, s3
	v_cmp_gt_i32_e64 s[0:1], s24, v2
	v_lshl_or_b32 v30, v6, 9, v1
	s_ashr_i32 s16, s25, 31
	v_mul_lo_u32 v1, s15, v2
	v_mad_u64_u32 v[2:3], s[12:13], s14, v2, 0
	v_and_b32_e32 v4, 7, v5
	s_mul_i32 s12, s14, s16
	v_add3_u32 v3, v3, s12, v1
	v_lshlrev_b32_e32 v1, 4, v4
	v_add_u32_e32 v0, s26, v10
	v_lshl_or_b32 v1, v10, 7, v1
	v_add_u32_e32 v31, 0x1000, v1
	v_ashrrev_i32_e32 v1, 31, v0
	v_lshl_add_u64 v[8:9], v[2:3], 4, s[2:3]
	v_cmp_gt_i32_e64 s[2:3], s24, v0
	v_lshl_add_u64 v[10:11], v[0:1], 4, s[10:11]
	v_mov_b32_e32 v0, 0x1000
	v_lshlrev_b32_e32 v32, 4, v5
	v_lshl_add_u32 v33, v7, 7, v0
	v_mov_b32_e32 v13, 0
	v_mov_b64_e32 v[14:15], 0
	s_mov_b64 s[10:11], 0
	v_mov_b64_e32 v[16:17], 0
	v_mov_b64_e32 v[20:21], 0
	;; [unrolled: 1-line block ×7, first 2 shown]
	s_branch .LBB557_8
.LBB557_7:                              ;   in Loop: Header=BB557_8 Depth=1
	s_or_b64 exec, exec, s[12:13]
	ds_write_b128 v31, v[0:3]
	s_waitcnt lgkmcnt(0)
	s_barrier
	ds_read_b128 v[0:3], v32
	ds_read_b128 v[34:37], v33
	ds_read_b128 v[38:41], v33 offset:16
	ds_read_b128 v[42:45], v33 offset:32
	;; [unrolled: 1-line block ×4, first 2 shown]
	s_waitcnt lgkmcnt(4)
	v_mul_f64 v[54:55], v[36:37], v[2:3]
	v_fma_f64 v[54:55], v[34:35], v[0:1], -v[54:55]
	v_mul_f64 v[56:57], v[34:35], v[2:3]
	v_fmac_f64_e32 v[56:57], v[36:37], v[0:1]
	v_add_f64 v[54:55], v[26:27], v[54:55]
	s_waitcnt lgkmcnt(0)
	v_mul_f64 v[26:27], v[36:37], v[52:53]
	v_add_f64 v[56:57], v[56:57], v[28:29]
	v_fma_f64 v[58:59], v[34:35], v[50:51], -v[26:27]
	ds_read_b128 v[26:29], v33 offset:2048
	v_mul_f64 v[34:35], v[34:35], v[52:53]
	v_fmac_f64_e32 v[34:35], v[36:37], v[50:51]
	v_add_f64 v[36:37], v[22:23], v[58:59]
	v_add_f64 v[34:35], v[34:35], v[24:25]
	ds_read_b128 v[22:25], v33 offset:2064
	s_waitcnt lgkmcnt(1)
	v_mul_f64 v[58:59], v[28:29], v[2:3]
	v_mul_f64 v[2:3], v[26:27], v[2:3]
	v_fma_f64 v[58:59], v[26:27], v[0:1], -v[58:59]
	v_fmac_f64_e32 v[2:3], v[28:29], v[0:1]
	v_mul_f64 v[0:1], v[28:29], v[52:53]
	v_add_f64 v[18:19], v[18:19], v[58:59]
	v_add_f64 v[20:21], v[2:3], v[20:21]
	v_fma_f64 v[58:59], v[26:27], v[50:51], -v[0:1]
	v_mul_f64 v[26:27], v[26:27], v[52:53]
	ds_read_b128 v[0:3], v32 offset:512
	v_fmac_f64_e32 v[26:27], v[28:29], v[50:51]
	v_add_f64 v[28:29], v[16:17], v[58:59]
	v_add_f64 v[26:27], v[26:27], v[14:15]
	ds_read_b128 v[14:17], v32 offset:768
	s_waitcnt lgkmcnt(1)
	v_mul_f64 v[50:51], v[40:41], v[2:3]
	v_fma_f64 v[50:51], v[38:39], v[0:1], -v[50:51]
	v_add_f64 v[50:51], v[54:55], v[50:51]
	v_mul_f64 v[52:53], v[38:39], v[2:3]
	s_waitcnt lgkmcnt(0)
	v_mul_f64 v[54:55], v[40:41], v[16:17]
	v_fma_f64 v[54:55], v[38:39], v[14:15], -v[54:55]
	v_mul_f64 v[38:39], v[38:39], v[16:17]
	v_fmac_f64_e32 v[38:39], v[40:41], v[14:15]
	v_add_f64 v[34:35], v[38:39], v[34:35]
	v_mul_f64 v[38:39], v[24:25], v[2:3]
	v_mul_f64 v[2:3], v[22:23], v[2:3]
	v_fmac_f64_e32 v[52:53], v[40:41], v[0:1]
	v_fma_f64 v[38:39], v[22:23], v[0:1], -v[38:39]
	v_fmac_f64_e32 v[2:3], v[24:25], v[0:1]
	v_mul_f64 v[0:1], v[24:25], v[16:17]
	v_add_f64 v[38:39], v[18:19], v[38:39]
	v_add_f64 v[40:41], v[2:3], v[20:21]
	v_fma_f64 v[18:19], v[22:23], v[14:15], -v[0:1]
	v_mul_f64 v[16:17], v[22:23], v[16:17]
	ds_read_b128 v[0:3], v32 offset:1024
	v_fmac_f64_e32 v[16:17], v[24:25], v[14:15]
	v_add_f64 v[26:27], v[16:17], v[26:27]
	ds_read_b128 v[14:17], v32 offset:1280
	v_add_f64 v[28:29], v[28:29], v[18:19]
	s_waitcnt lgkmcnt(1)
	v_mul_f64 v[18:19], v[44:45], v[2:3]
	v_fma_f64 v[18:19], v[42:43], v[0:1], -v[18:19]
	v_mul_f64 v[20:21], v[42:43], v[2:3]
	v_add_f64 v[52:53], v[52:53], v[56:57]
	v_fmac_f64_e32 v[20:21], v[44:45], v[0:1]
	v_add_f64 v[50:51], v[50:51], v[18:19]
	s_waitcnt lgkmcnt(0)
	v_mul_f64 v[18:19], v[44:45], v[16:17]
	v_add_f64 v[52:53], v[20:21], v[52:53]
	v_fma_f64 v[22:23], v[42:43], v[14:15], -v[18:19]
	ds_read_b128 v[18:21], v33 offset:2080
	v_mul_f64 v[24:25], v[42:43], v[16:17]
	v_add_f64 v[36:37], v[36:37], v[54:55]
	v_fmac_f64_e32 v[24:25], v[44:45], v[14:15]
	v_add_f64 v[36:37], v[36:37], v[22:23]
	v_add_f64 v[34:35], v[24:25], v[34:35]
	ds_read_b128 v[22:25], v33 offset:2096
	s_waitcnt lgkmcnt(1)
	v_mul_f64 v[42:43], v[20:21], v[2:3]
	v_mul_f64 v[2:3], v[18:19], v[2:3]
	v_fma_f64 v[42:43], v[18:19], v[0:1], -v[42:43]
	v_fmac_f64_e32 v[2:3], v[20:21], v[0:1]
	v_mul_f64 v[0:1], v[20:21], v[16:17]
	v_mul_f64 v[16:17], v[18:19], v[16:17]
	v_fmac_f64_e32 v[16:17], v[20:21], v[14:15]
	v_add_f64 v[38:39], v[38:39], v[42:43]
	v_add_f64 v[40:41], v[2:3], v[40:41]
	v_fma_f64 v[42:43], v[18:19], v[14:15], -v[0:1]
	ds_read_b128 v[0:3], v32 offset:1536
	v_add_f64 v[20:21], v[16:17], v[26:27]
	ds_read_b128 v[14:17], v32 offset:1792
	v_add_f64 v[18:19], v[28:29], v[42:43]
	s_add_u32 s10, s10, 8
	s_waitcnt lgkmcnt(1)
	v_mul_f64 v[26:27], v[48:49], v[2:3]
	v_mul_f64 v[28:29], v[46:47], v[2:3]
	s_waitcnt lgkmcnt(0)
	v_mul_f64 v[42:43], v[48:49], v[16:17]
	v_fma_f64 v[42:43], v[46:47], v[14:15], -v[42:43]
	v_add_f64 v[36:37], v[36:37], v[42:43]
	v_mul_f64 v[42:43], v[24:25], v[2:3]
	v_mul_f64 v[2:3], v[22:23], v[2:3]
	v_fma_f64 v[26:27], v[46:47], v[0:1], -v[26:27]
	v_fmac_f64_e32 v[28:29], v[48:49], v[0:1]
	v_fma_f64 v[42:43], v[22:23], v[0:1], -v[42:43]
	v_fmac_f64_e32 v[2:3], v[24:25], v[0:1]
	v_mul_f64 v[0:1], v[24:25], v[16:17]
	v_mul_f64 v[44:45], v[46:47], v[16:17]
	v_add_f64 v[38:39], v[38:39], v[42:43]
	v_fma_f64 v[42:43], v[22:23], v[14:15], -v[0:1]
	v_mul_f64 v[22:23], v[22:23], v[16:17]
	v_fmac_f64_e32 v[44:45], v[48:49], v[14:15]
	v_add_f64 v[40:41], v[2:3], v[40:41]
	v_fmac_f64_e32 v[22:23], v[24:25], v[14:15]
	ds_read_b128 v[0:3], v33 offset:64
	ds_read_b128 v[14:17], v32 offset:2048
	v_add_f64 v[34:35], v[44:45], v[34:35]
	v_add_f64 v[42:43], v[18:19], v[42:43]
	;; [unrolled: 1-line block ×3, first 2 shown]
	ds_read_b128 v[18:21], v32 offset:2304
	ds_read_b128 v[22:25], v33 offset:80
	s_waitcnt lgkmcnt(2)
	v_mul_f64 v[46:47], v[2:3], v[16:17]
	v_add_f64 v[26:27], v[50:51], v[26:27]
	v_fma_f64 v[46:47], v[0:1], v[14:15], -v[46:47]
	v_mul_f64 v[48:49], v[0:1], v[16:17]
	v_add_f64 v[28:29], v[28:29], v[52:53]
	v_fmac_f64_e32 v[48:49], v[2:3], v[14:15]
	v_add_f64 v[46:47], v[26:27], v[46:47]
	s_waitcnt lgkmcnt(1)
	v_mul_f64 v[26:27], v[2:3], v[20:21]
	v_add_f64 v[48:49], v[48:49], v[28:29]
	v_fma_f64 v[50:51], v[0:1], v[18:19], -v[26:27]
	ds_read_b128 v[26:29], v33 offset:2112
	v_mul_f64 v[0:1], v[0:1], v[20:21]
	v_fmac_f64_e32 v[0:1], v[2:3], v[18:19]
	v_add_f64 v[36:37], v[36:37], v[50:51]
	v_add_f64 v[34:35], v[0:1], v[34:35]
	ds_read_b128 v[0:3], v33 offset:2128
	s_waitcnt lgkmcnt(1)
	v_mul_f64 v[50:51], v[28:29], v[16:17]
	v_mul_f64 v[16:17], v[26:27], v[16:17]
	v_fma_f64 v[50:51], v[26:27], v[14:15], -v[50:51]
	v_fmac_f64_e32 v[16:17], v[28:29], v[14:15]
	v_mul_f64 v[14:15], v[28:29], v[20:21]
	v_add_f64 v[38:39], v[38:39], v[50:51]
	v_add_f64 v[40:41], v[16:17], v[40:41]
	v_fma_f64 v[50:51], v[26:27], v[18:19], -v[14:15]
	v_mul_f64 v[20:21], v[26:27], v[20:21]
	ds_read_b128 v[14:17], v32 offset:2560
	v_fmac_f64_e32 v[20:21], v[28:29], v[18:19]
	v_add_f64 v[28:29], v[20:21], v[44:45]
	ds_read_b128 v[18:21], v32 offset:2816
	v_add_f64 v[26:27], v[42:43], v[50:51]
	s_waitcnt lgkmcnt(1)
	v_mul_f64 v[42:43], v[24:25], v[16:17]
	v_fma_f64 v[42:43], v[22:23], v[14:15], -v[42:43]
	v_add_f64 v[42:43], v[46:47], v[42:43]
	s_waitcnt lgkmcnt(0)
	v_mul_f64 v[46:47], v[24:25], v[20:21]
	v_mul_f64 v[44:45], v[22:23], v[16:17]
	v_fma_f64 v[46:47], v[22:23], v[18:19], -v[46:47]
	v_mul_f64 v[22:23], v[22:23], v[20:21]
	v_fmac_f64_e32 v[22:23], v[24:25], v[18:19]
	v_add_f64 v[34:35], v[22:23], v[34:35]
	v_mul_f64 v[22:23], v[2:3], v[16:17]
	v_mul_f64 v[16:17], v[0:1], v[16:17]
	v_fmac_f64_e32 v[44:45], v[24:25], v[14:15]
	v_fma_f64 v[22:23], v[0:1], v[14:15], -v[22:23]
	v_fmac_f64_e32 v[16:17], v[2:3], v[14:15]
	v_mul_f64 v[14:15], v[2:3], v[20:21]
	v_mul_f64 v[20:21], v[0:1], v[20:21]
	v_add_f64 v[38:39], v[38:39], v[22:23]
	v_add_f64 v[40:41], v[16:17], v[40:41]
	v_fma_f64 v[22:23], v[0:1], v[18:19], -v[14:15]
	v_fmac_f64_e32 v[20:21], v[2:3], v[18:19]
	ds_read_b128 v[0:3], v33 offset:96
	ds_read_b128 v[14:17], v32 offset:3072
	v_add_f64 v[44:45], v[44:45], v[48:49]
	v_add_f64 v[36:37], v[36:37], v[46:47]
	;; [unrolled: 1-line block ×4, first 2 shown]
	ds_read_b128 v[18:21], v32 offset:3328
	ds_read_b128 v[22:25], v33 offset:112
	s_waitcnt lgkmcnt(2)
	v_mul_f64 v[26:27], v[2:3], v[16:17]
	v_fma_f64 v[26:27], v[0:1], v[14:15], -v[26:27]
	v_mul_f64 v[28:29], v[0:1], v[16:17]
	v_fmac_f64_e32 v[28:29], v[2:3], v[14:15]
	v_add_f64 v[42:43], v[42:43], v[26:27]
	s_waitcnt lgkmcnt(1)
	v_mul_f64 v[26:27], v[2:3], v[20:21]
	v_add_f64 v[44:45], v[28:29], v[44:45]
	v_fma_f64 v[50:51], v[0:1], v[18:19], -v[26:27]
	ds_read_b128 v[26:29], v33 offset:2144
	v_mul_f64 v[0:1], v[0:1], v[20:21]
	v_fmac_f64_e32 v[0:1], v[2:3], v[18:19]
	v_add_f64 v[52:53], v[0:1], v[34:35]
	ds_read_b128 v[0:3], v33 offset:2160
	s_waitcnt lgkmcnt(1)
	v_mul_f64 v[34:35], v[28:29], v[16:17]
	v_mul_f64 v[16:17], v[26:27], v[16:17]
	v_fma_f64 v[34:35], v[26:27], v[14:15], -v[34:35]
	v_fmac_f64_e32 v[16:17], v[28:29], v[14:15]
	v_mul_f64 v[14:15], v[28:29], v[20:21]
	v_add_f64 v[38:39], v[38:39], v[34:35]
	v_add_f64 v[40:41], v[16:17], v[40:41]
	v_fma_f64 v[34:35], v[26:27], v[18:19], -v[14:15]
	ds_read_b128 v[14:17], v32 offset:3584
	v_add_f64 v[50:51], v[36:37], v[50:51]
	v_add_f64 v[46:47], v[46:47], v[34:35]
	ds_read_b128 v[34:37], v32 offset:3840
	v_mul_f64 v[20:21], v[26:27], v[20:21]
	v_fmac_f64_e32 v[20:21], v[28:29], v[18:19]
	s_waitcnt lgkmcnt(1)
	v_mul_f64 v[18:19], v[24:25], v[16:17]
	v_fma_f64 v[18:19], v[22:23], v[14:15], -v[18:19]
	v_add_f64 v[48:49], v[20:21], v[48:49]
	v_mul_f64 v[20:21], v[22:23], v[16:17]
	v_add_f64 v[26:27], v[42:43], v[18:19]
	s_waitcnt lgkmcnt(0)
	v_mul_f64 v[18:19], v[24:25], v[36:37]
	v_fmac_f64_e32 v[20:21], v[24:25], v[14:15]
	v_fma_f64 v[18:19], v[22:23], v[34:35], -v[18:19]
	v_add_f64 v[28:29], v[20:21], v[44:45]
	v_mul_f64 v[20:21], v[22:23], v[36:37]
	v_add_f64 v[22:23], v[50:51], v[18:19]
	v_mul_f64 v[18:19], v[2:3], v[16:17]
	v_mul_f64 v[16:17], v[0:1], v[16:17]
	v_fma_f64 v[18:19], v[0:1], v[14:15], -v[18:19]
	v_fmac_f64_e32 v[16:17], v[2:3], v[14:15]
	v_mul_f64 v[14:15], v[2:3], v[36:37]
	v_fma_f64 v[14:15], v[0:1], v[34:35], -v[14:15]
	v_mul_f64 v[0:1], v[0:1], v[36:37]
	v_fmac_f64_e32 v[20:21], v[24:25], v[34:35]
	v_fmac_f64_e32 v[0:1], v[2:3], v[34:35]
	s_addc_u32 s11, s11, 0
	v_add_f64 v[24:25], v[20:21], v[52:53]
	v_add_f64 v[20:21], v[16:17], v[40:41]
	v_add_f64 v[16:17], v[46:47], v[14:15]
	v_add_f64 v[14:15], v[0:1], v[48:49]
	v_mov_b64_e32 v[0:1], s[10:11]
	v_cmp_gt_i64_e32 vcc, s[8:9], v[0:1]
	v_add_f64 v[18:19], v[38:39], v[18:19]
	s_barrier
	s_cbranch_vccz .LBB557_14
.LBB557_8:                              ; =>This Inner Loop Header: Depth=1
	v_mov_b64_e32 v[0:1], 0
	v_mov_b64_e32 v[2:3], 0
	s_and_saveexec_b64 s[12:13], s[0:1]
	s_cbranch_execz .LBB557_12
; %bb.9:                                ;   in Loop: Header=BB557_8 Depth=1
	v_add_u32_e32 v12, s10, v6
	v_cmp_gt_u64_e32 vcc, s[8:9], v[12:13]
	v_mov_b64_e32 v[2:3], 0
	v_mov_b64_e32 v[0:1], 0
	s_and_saveexec_b64 s[14:15], vcc
	s_cbranch_execz .LBB557_11
; %bb.10:                               ;   in Loop: Header=BB557_8 Depth=1
	v_lshl_add_u64 v[0:1], v[12:13], 4, v[8:9]
	flat_load_dwordx4 v[0:3], v[0:1]
	s_waitcnt vmcnt(0) lgkmcnt(0)
	v_xor_b32_e32 v3, 0x80000000, v3
.LBB557_11:                             ;   in Loop: Header=BB557_8 Depth=1
	s_or_b64 exec, exec, s[14:15]
.LBB557_12:                             ;   in Loop: Header=BB557_8 Depth=1
	s_or_b64 exec, exec, s[12:13]
	v_add_u32_e32 v12, s10, v4
	v_cmp_gt_u64_e32 vcc, s[8:9], v[12:13]
	ds_write_b128 v30, v[0:3]
	s_and_b64 s[14:15], vcc, s[2:3]
	v_mov_b64_e32 v[0:1], 0
	v_mov_b64_e32 v[2:3], 0
	s_and_saveexec_b64 s[12:13], s[14:15]
	s_cbranch_execz .LBB557_7
; %bb.13:                               ;   in Loop: Header=BB557_8 Depth=1
	v_mad_u64_u32 v[0:1], s[14:15], s20, v12, 0
	v_mov_b32_e32 v2, v1
	v_mad_u64_u32 v[2:3], s[14:15], s21, v12, v[2:3]
	v_mov_b32_e32 v1, v2
	v_lshl_add_u64 v[0:1], v[0:1], 4, v[10:11]
	flat_load_dwordx4 v[0:3], v[0:1]
	s_waitcnt vmcnt(0) lgkmcnt(0)
	v_xor_b32_e32 v3, 0x80000000, v3
	s_branch .LBB557_7
.LBB557_14:
	s_lshl_b64 s[0:1], s[30:31], 4
	v_add_u32_e32 v10, s26, v7
	s_waitcnt lgkmcnt(0)
	s_add_u32 s8, s4, s0
	v_ashrrev_i32_e32 v0, 31, v10
	s_addc_u32 s9, s5, s1
	v_cmp_neq_f64_e64 s[0:1], s[36:37], 0
	s_xor_b64 s[4:5], s[6:7], -1
	v_mul_lo_u32 v2, s28, v0
	v_mul_lo_u32 v3, s29, v10
	v_mad_u64_u32 v[0:1], s[2:3], s28, v10, 0
	v_add_u32_e32 v4, s25, v5
	v_add3_u32 v1, v1, v2, v3
	s_or_b64 s[0:1], s[0:1], s[4:5]
	v_lshl_add_u64 v[8:9], v[0:1], 4, s[8:9]
	v_cmp_le_i32_e32 vcc, v10, v4
	v_cmp_gt_i32_e64 s[2:3], s24, v4
	v_cndmask_b32_e64 v0, 0, 1, s[0:1]
	s_and_b64 s[6:7], vcc, s[2:3]
	v_ashrrev_i32_e32 v5, 31, v4
	v_cmp_ne_u32_e64 s[0:1], 1, v0
	s_and_saveexec_b64 s[4:5], s[6:7]
	s_cbranch_execz .LBB557_18
; %bb.15:
	v_mul_f64 v[0:1], s[42:43], v[28:29]
	v_mul_f64 v[2:3], s[40:41], v[28:29]
	v_fma_f64 v[0:1], s[40:41], v[26:27], -v[0:1]
	v_fmac_f64_e32 v[2:3], s[42:43], v[26:27]
	s_and_b64 vcc, exec, s[0:1]
	v_lshl_add_u64 v[6:7], v[4:5], 4, v[8:9]
	s_cbranch_vccnz .LBB557_17
; %bb.16:
	flat_load_dwordx4 v[26:29], v[6:7]
	s_waitcnt vmcnt(0) lgkmcnt(0)
	v_mul_f64 v[12:13], s[38:39], v[28:29]
	v_mul_f64 v[28:29], s[36:37], v[28:29]
	v_fma_f64 v[12:13], s[36:37], v[26:27], -v[12:13]
	v_fmac_f64_e32 v[28:29], s[38:39], v[26:27]
	v_add_f64 v[0:1], v[0:1], v[12:13]
	v_add_f64 v[2:3], v[2:3], v[28:29]
.LBB557_17:
	flat_store_dwordx4 v[6:7], v[0:3]
.LBB557_18:
	s_or_b64 exec, exec, s[4:5]
	v_add_u32_e32 v6, 16, v4
	v_cmp_le_i32_e32 vcc, v10, v6
	v_cmp_gt_i32_e64 s[4:5], s24, v6
	s_and_b64 s[10:11], vcc, s[4:5]
	v_ashrrev_i32_e32 v7, 31, v6
	s_and_saveexec_b64 s[6:7], s[10:11]
	s_cbranch_execz .LBB557_22
; %bb.19:
	v_mul_f64 v[0:1], s[42:43], v[24:25]
	v_mul_f64 v[2:3], s[40:41], v[24:25]
	v_fma_f64 v[0:1], s[40:41], v[22:23], -v[0:1]
	v_fmac_f64_e32 v[2:3], s[42:43], v[22:23]
	s_and_b64 vcc, exec, s[0:1]
	v_lshl_add_u64 v[8:9], v[6:7], 4, v[8:9]
	s_cbranch_vccnz .LBB557_21
; %bb.20:
	flat_load_dwordx4 v[22:25], v[8:9]
	s_waitcnt vmcnt(0) lgkmcnt(0)
	v_mul_f64 v[12:13], s[38:39], v[24:25]
	v_mul_f64 v[24:25], s[36:37], v[24:25]
	v_fma_f64 v[12:13], s[36:37], v[22:23], -v[12:13]
	v_fmac_f64_e32 v[24:25], s[38:39], v[22:23]
	v_add_f64 v[0:1], v[0:1], v[12:13]
	v_add_f64 v[2:3], v[2:3], v[24:25]
.LBB557_21:
	flat_store_dwordx4 v[8:9], v[0:3]
.LBB557_22:
	s_or_b64 exec, exec, s[6:7]
	v_add_u32_e32 v10, 16, v10
	v_ashrrev_i32_e32 v0, 31, v10
	v_mul_lo_u32 v2, s28, v0
	v_mul_lo_u32 v3, s29, v10
	v_mad_u64_u32 v[0:1], s[6:7], s28, v10, 0
	v_add3_u32 v1, v1, v2, v3
	v_cmp_le_i32_e32 vcc, v10, v4
	v_lshl_add_u64 v[8:9], v[0:1], 4, s[8:9]
	s_and_b64 s[6:7], vcc, s[2:3]
	s_and_saveexec_b64 s[2:3], s[6:7]
	s_cbranch_execz .LBB557_26
; %bb.23:
	v_mul_f64 v[0:1], s[42:43], v[20:21]
	v_mul_f64 v[2:3], s[40:41], v[20:21]
	v_fma_f64 v[0:1], s[40:41], v[18:19], -v[0:1]
	v_fmac_f64_e32 v[2:3], s[42:43], v[18:19]
	s_and_b64 vcc, exec, s[0:1]
	v_lshl_add_u64 v[4:5], v[4:5], 4, v[8:9]
	s_cbranch_vccnz .LBB557_25
; %bb.24:
	flat_load_dwordx4 v[18:21], v[4:5]
	s_waitcnt vmcnt(0) lgkmcnt(0)
	v_mul_f64 v[12:13], s[38:39], v[20:21]
	v_mul_f64 v[20:21], s[36:37], v[20:21]
	v_fma_f64 v[12:13], s[36:37], v[18:19], -v[12:13]
	v_fmac_f64_e32 v[20:21], s[38:39], v[18:19]
	v_add_f64 v[0:1], v[0:1], v[12:13]
	v_add_f64 v[2:3], v[2:3], v[20:21]
.LBB557_25:
	flat_store_dwordx4 v[4:5], v[0:3]
.LBB557_26:
	s_or_b64 exec, exec, s[2:3]
	v_cmp_le_i32_e32 vcc, v10, v6
	s_and_b64 s[2:3], vcc, s[4:5]
	s_and_saveexec_b64 s[4:5], s[2:3]
	s_cbranch_execz .LBB557_30
; %bb.27:
	v_mul_f64 v[0:1], s[42:43], v[14:15]
	v_mul_f64 v[2:3], s[40:41], v[14:15]
	v_fma_f64 v[0:1], s[40:41], v[16:17], -v[0:1]
	v_fmac_f64_e32 v[2:3], s[42:43], v[16:17]
	s_and_b64 vcc, exec, s[0:1]
	v_lshl_add_u64 v[4:5], v[6:7], 4, v[8:9]
	s_cbranch_vccnz .LBB557_29
; %bb.28:
	flat_load_dwordx4 v[6:9], v[4:5]
	s_waitcnt vmcnt(0) lgkmcnt(0)
	v_mul_f64 v[10:11], s[38:39], v[8:9]
	v_mul_f64 v[8:9], s[36:37], v[8:9]
	v_fma_f64 v[10:11], s[36:37], v[6:7], -v[10:11]
	v_fmac_f64_e32 v[8:9], s[38:39], v[6:7]
	v_add_f64 v[0:1], v[0:1], v[10:11]
	v_add_f64 v[2:3], v[2:3], v[8:9]
.LBB557_29:
	flat_store_dwordx4 v[4:5], v[0:3]
.LBB557_30:
	s_endpgm
	.section	.rodata,"a",@progbits
	.p2align	6, 0x0
	.amdhsa_kernel _ZL29rocblas_internal_gemmt_kernelIlLi16ELi32ELi8ELc67ELc67ELc76ELb1ELb1E19rocblas_complex_numIdEPKS1_PKS3_PKPS1_EviT_T9_T10_S9_lSB_S9_lSA_T11_S9_li
		.amdhsa_group_segment_fixed_size 8192
		.amdhsa_private_segment_fixed_size 0
		.amdhsa_kernarg_size 108
		.amdhsa_user_sgpr_count 2
		.amdhsa_user_sgpr_dispatch_ptr 0
		.amdhsa_user_sgpr_queue_ptr 0
		.amdhsa_user_sgpr_kernarg_segment_ptr 1
		.amdhsa_user_sgpr_dispatch_id 0
		.amdhsa_user_sgpr_kernarg_preload_length 0
		.amdhsa_user_sgpr_kernarg_preload_offset 0
		.amdhsa_user_sgpr_private_segment_size 0
		.amdhsa_uses_dynamic_stack 0
		.amdhsa_enable_private_segment 0
		.amdhsa_system_sgpr_workgroup_id_x 1
		.amdhsa_system_sgpr_workgroup_id_y 1
		.amdhsa_system_sgpr_workgroup_id_z 1
		.amdhsa_system_sgpr_workgroup_info 0
		.amdhsa_system_vgpr_workitem_id 1
		.amdhsa_next_free_vgpr 60
		.amdhsa_next_free_sgpr 44
		.amdhsa_accum_offset 60
		.amdhsa_reserve_vcc 1
		.amdhsa_float_round_mode_32 0
		.amdhsa_float_round_mode_16_64 0
		.amdhsa_float_denorm_mode_32 3
		.amdhsa_float_denorm_mode_16_64 3
		.amdhsa_dx10_clamp 1
		.amdhsa_ieee_mode 1
		.amdhsa_fp16_overflow 0
		.amdhsa_tg_split 0
		.amdhsa_exception_fp_ieee_invalid_op 0
		.amdhsa_exception_fp_denorm_src 0
		.amdhsa_exception_fp_ieee_div_zero 0
		.amdhsa_exception_fp_ieee_overflow 0
		.amdhsa_exception_fp_ieee_underflow 0
		.amdhsa_exception_fp_ieee_inexact 0
		.amdhsa_exception_int_div_zero 0
	.end_amdhsa_kernel
	.section	.text._ZL29rocblas_internal_gemmt_kernelIlLi16ELi32ELi8ELc67ELc67ELc76ELb1ELb1E19rocblas_complex_numIdEPKS1_PKS3_PKPS1_EviT_T9_T10_S9_lSB_S9_lSA_T11_S9_li,"axG",@progbits,_ZL29rocblas_internal_gemmt_kernelIlLi16ELi32ELi8ELc67ELc67ELc76ELb1ELb1E19rocblas_complex_numIdEPKS1_PKS3_PKPS1_EviT_T9_T10_S9_lSB_S9_lSA_T11_S9_li,comdat
.Lfunc_end557:
	.size	_ZL29rocblas_internal_gemmt_kernelIlLi16ELi32ELi8ELc67ELc67ELc76ELb1ELb1E19rocblas_complex_numIdEPKS1_PKS3_PKPS1_EviT_T9_T10_S9_lSB_S9_lSA_T11_S9_li, .Lfunc_end557-_ZL29rocblas_internal_gemmt_kernelIlLi16ELi32ELi8ELc67ELc67ELc76ELb1ELb1E19rocblas_complex_numIdEPKS1_PKS3_PKPS1_EviT_T9_T10_S9_lSB_S9_lSA_T11_S9_li
                                        ; -- End function
	.set _ZL29rocblas_internal_gemmt_kernelIlLi16ELi32ELi8ELc67ELc67ELc76ELb1ELb1E19rocblas_complex_numIdEPKS1_PKS3_PKPS1_EviT_T9_T10_S9_lSB_S9_lSA_T11_S9_li.num_vgpr, 60
	.set _ZL29rocblas_internal_gemmt_kernelIlLi16ELi32ELi8ELc67ELc67ELc76ELb1ELb1E19rocblas_complex_numIdEPKS1_PKS3_PKPS1_EviT_T9_T10_S9_lSB_S9_lSA_T11_S9_li.num_agpr, 0
	.set _ZL29rocblas_internal_gemmt_kernelIlLi16ELi32ELi8ELc67ELc67ELc76ELb1ELb1E19rocblas_complex_numIdEPKS1_PKS3_PKPS1_EviT_T9_T10_S9_lSB_S9_lSA_T11_S9_li.numbered_sgpr, 44
	.set _ZL29rocblas_internal_gemmt_kernelIlLi16ELi32ELi8ELc67ELc67ELc76ELb1ELb1E19rocblas_complex_numIdEPKS1_PKS3_PKPS1_EviT_T9_T10_S9_lSB_S9_lSA_T11_S9_li.num_named_barrier, 0
	.set _ZL29rocblas_internal_gemmt_kernelIlLi16ELi32ELi8ELc67ELc67ELc76ELb1ELb1E19rocblas_complex_numIdEPKS1_PKS3_PKPS1_EviT_T9_T10_S9_lSB_S9_lSA_T11_S9_li.private_seg_size, 0
	.set _ZL29rocblas_internal_gemmt_kernelIlLi16ELi32ELi8ELc67ELc67ELc76ELb1ELb1E19rocblas_complex_numIdEPKS1_PKS3_PKPS1_EviT_T9_T10_S9_lSB_S9_lSA_T11_S9_li.uses_vcc, 1
	.set _ZL29rocblas_internal_gemmt_kernelIlLi16ELi32ELi8ELc67ELc67ELc76ELb1ELb1E19rocblas_complex_numIdEPKS1_PKS3_PKPS1_EviT_T9_T10_S9_lSB_S9_lSA_T11_S9_li.uses_flat_scratch, 0
	.set _ZL29rocblas_internal_gemmt_kernelIlLi16ELi32ELi8ELc67ELc67ELc76ELb1ELb1E19rocblas_complex_numIdEPKS1_PKS3_PKPS1_EviT_T9_T10_S9_lSB_S9_lSA_T11_S9_li.has_dyn_sized_stack, 0
	.set _ZL29rocblas_internal_gemmt_kernelIlLi16ELi32ELi8ELc67ELc67ELc76ELb1ELb1E19rocblas_complex_numIdEPKS1_PKS3_PKPS1_EviT_T9_T10_S9_lSB_S9_lSA_T11_S9_li.has_recursion, 0
	.set _ZL29rocblas_internal_gemmt_kernelIlLi16ELi32ELi8ELc67ELc67ELc76ELb1ELb1E19rocblas_complex_numIdEPKS1_PKS3_PKPS1_EviT_T9_T10_S9_lSB_S9_lSA_T11_S9_li.has_indirect_call, 0
	.section	.AMDGPU.csdata,"",@progbits
; Kernel info:
; codeLenInByte = 3148
; TotalNumSgprs: 50
; NumVgprs: 60
; NumAgprs: 0
; TotalNumVgprs: 60
; ScratchSize: 0
; MemoryBound: 1
; FloatMode: 240
; IeeeMode: 1
; LDSByteSize: 8192 bytes/workgroup (compile time only)
; SGPRBlocks: 6
; VGPRBlocks: 7
; NumSGPRsForWavesPerEU: 50
; NumVGPRsForWavesPerEU: 60
; AccumOffset: 60
; Occupancy: 8
; WaveLimiterHint : 1
; COMPUTE_PGM_RSRC2:SCRATCH_EN: 0
; COMPUTE_PGM_RSRC2:USER_SGPR: 2
; COMPUTE_PGM_RSRC2:TRAP_HANDLER: 0
; COMPUTE_PGM_RSRC2:TGID_X_EN: 1
; COMPUTE_PGM_RSRC2:TGID_Y_EN: 1
; COMPUTE_PGM_RSRC2:TGID_Z_EN: 1
; COMPUTE_PGM_RSRC2:TIDIG_COMP_CNT: 1
; COMPUTE_PGM_RSRC3_GFX90A:ACCUM_OFFSET: 14
; COMPUTE_PGM_RSRC3_GFX90A:TG_SPLIT: 0
	.section	.text._ZL29rocblas_internal_gemmt_kernelIlLi16ELi32ELi8ELc78ELc78ELc85ELb0ELb0E19rocblas_complex_numIdES1_PKPKS1_PKPS1_EviT_T9_T10_S9_lSB_S9_lSA_T11_S9_li,"axG",@progbits,_ZL29rocblas_internal_gemmt_kernelIlLi16ELi32ELi8ELc78ELc78ELc85ELb0ELb0E19rocblas_complex_numIdES1_PKPKS1_PKPS1_EviT_T9_T10_S9_lSB_S9_lSA_T11_S9_li,comdat
	.globl	_ZL29rocblas_internal_gemmt_kernelIlLi16ELi32ELi8ELc78ELc78ELc85ELb0ELb0E19rocblas_complex_numIdES1_PKPKS1_PKPS1_EviT_T9_T10_S9_lSB_S9_lSA_T11_S9_li ; -- Begin function _ZL29rocblas_internal_gemmt_kernelIlLi16ELi32ELi8ELc78ELc78ELc85ELb0ELb0E19rocblas_complex_numIdES1_PKPKS1_PKPS1_EviT_T9_T10_S9_lSB_S9_lSA_T11_S9_li
	.p2align	8
	.type	_ZL29rocblas_internal_gemmt_kernelIlLi16ELi32ELi8ELc78ELc78ELc85ELb0ELb0E19rocblas_complex_numIdES1_PKPKS1_PKPS1_EviT_T9_T10_S9_lSB_S9_lSA_T11_S9_li,@function
_ZL29rocblas_internal_gemmt_kernelIlLi16ELi32ELi8ELc78ELc78ELc85ELb0ELb0E19rocblas_complex_numIdES1_PKPKS1_PKPS1_EviT_T9_T10_S9_lSB_S9_lSA_T11_S9_li: ; @_ZL29rocblas_internal_gemmt_kernelIlLi16ELi32ELi8ELc78ELc78ELc85ELb0ELb0E19rocblas_complex_numIdES1_PKPKS1_PKPS1_EviT_T9_T10_S9_lSB_S9_lSA_T11_S9_li
; %bb.0:
	s_load_dwordx8 s[24:31], s[0:1], 0x48
	s_load_dwordx16 s[8:23], s[0:1], 0x8
	s_mov_b64 s[34:35], 0
	s_waitcnt lgkmcnt(0)
	v_cmp_eq_f64_e64 s[36:37], s[26:27], 1.0
	v_cmp_eq_f64_e64 s[6:7], s[28:29], 0
	s_and_b64 s[36:37], s[36:37], s[6:7]
	s_andn2_b64 vcc, exec, s[36:37]
	s_mov_b64 s[36:37], -1
	s_cbranch_vccnz .LBB558_4
; %bb.1:
	s_cmp_lg_u64 s[8:9], 0
	s_cbranch_scc0 .LBB558_3
; %bb.2:
	v_cmp_neq_f64_e64 s[34:35], s[10:11], 0
	v_cmp_neq_f64_e64 s[36:37], s[12:13], 0
	s_or_b64 s[34:35], s[34:35], s[36:37]
.LBB558_3:
	s_mov_b64 s[36:37], s[34:35]
.LBB558_4:
	s_and_b64 vcc, exec, s[36:37]
	s_cbranch_vccz .LBB558_34
; %bb.5:
	s_mov_b32 s5, 0
	s_load_dwordx4 s[36:39], s[0:1], 0x68
	s_load_dword s33, s[0:1], 0x0
	s_lshl_b64 s[0:1], s[4:5], 3
	s_add_u32 s4, s30, s0
	s_addc_u32 s5, s31, s1
	s_load_dwordx2 s[4:5], s[4:5], 0x0
	s_lshl_b32 s30, s2, 5
	s_lshl_b32 s31, s3, 5
	v_cmp_eq_f64_e64 s[2:3], s[10:11], 0
	v_cmp_eq_f64_e64 s[34:35], s[12:13], 0
	s_and_b64 s[2:3], s[2:3], s[34:35]
	v_cmp_lt_i64_e64 s[34:35], s[8:9], 1
	s_or_b64 s[2:3], s[2:3], s[34:35]
	v_and_b32_e32 v1, 0x3ff, v0
	v_bfe_u32 v3, v0, 10, 10
	v_mov_b64_e32 v[24:25], 0
	s_and_b64 vcc, exec, s[2:3]
	v_mov_b64_e32 v[26:27], 0
	v_mov_b64_e32 v[20:21], 0
	;; [unrolled: 1-line block ×7, first 2 shown]
	s_cbranch_vccnz .LBB558_18
; %bb.6:
	s_add_u32 s2, s20, s0
	s_addc_u32 s3, s21, s1
	s_load_dwordx2 s[2:3], s[2:3], 0x0
	s_lshl_b64 s[20:21], s[24:25], 4
	v_lshl_add_u32 v4, v3, 4, v1
	v_and_b32_e32 v0, 7, v1
	v_lshrrev_b32_e32 v6, 3, v4
	s_waitcnt lgkmcnt(0)
	s_add_u32 s20, s2, s20
	s_addc_u32 s21, s3, s21
	s_add_u32 s0, s14, s0
	s_addc_u32 s1, s15, s1
	s_load_dwordx2 s[0:1], s[0:1], 0x0
	v_and_b32_e32 v5, 31, v4
	s_lshl_b64 s[2:3], s[18:19], 4
	v_lshlrev_b32_e32 v8, 4, v0
	v_lshrrev_b32_e32 v2, 5, v4
	v_add_u32_e32 v7, s31, v6
	v_or_b32_e32 v4, s30, v5
	s_waitcnt lgkmcnt(0)
	s_add_u32 s14, s0, s2
	v_lshlrev_b32_e32 v5, 4, v5
	v_lshl_or_b32 v6, v6, 7, v8
	s_addc_u32 s15, s1, s3
	v_lshl_or_b32 v28, v2, 9, v5
	v_ashrrev_i32_e32 v5, 31, v4
	v_add_u32_e32 v29, 0x1000, v6
	v_ashrrev_i32_e32 v6, 31, v7
	v_cmp_gt_i32_e64 s[0:1], s33, v4
	v_cmp_le_i32_e64 s[2:3], s33, v4
	v_lshl_add_u64 v[4:5], v[4:5], 4, s[14:15]
	v_cmp_gt_i32_e32 vcc, s33, v7
	v_mul_lo_u32 v8, s22, v6
	v_mul_lo_u32 v9, s23, v7
	v_mad_u64_u32 v[6:7], s[14:15], s22, v7, 0
	v_add3_u32 v7, v7, v8, v9
	v_mov_b32_e32 v8, 0x1000
	v_mov_b32_e32 v9, 0
	v_lshl_add_u64 v[6:7], v[6:7], 4, s[20:21]
	v_lshlrev_b32_e32 v30, 4, v1
	v_lshl_add_u32 v31, v3, 7, v8
	v_mov_b64_e32 v[12:13], 0
	s_mov_b64 s[14:15], 0
	s_xor_b64 s[18:19], vcc, -1
	v_mov_b32_e32 v32, v9
	v_mov_b32_e32 v33, v9
	;; [unrolled: 1-line block ×4, first 2 shown]
	v_mov_b64_e32 v[14:15], 0
	v_mov_b64_e32 v[18:19], 0
	;; [unrolled: 1-line block ×7, first 2 shown]
                                        ; implicit-def: $vgpr10_vgpr11
	s_branch .LBB558_8
.LBB558_7:                              ;   in Loop: Header=BB558_8 Depth=1
	s_or_b64 exec, exec, s[20:21]
	s_waitcnt lgkmcnt(0)
	s_barrier
	ds_read_b128 v[36:39], v30
	ds_read_b128 v[40:43], v31
	ds_read_b128 v[44:47], v31 offset:16
	ds_read_b128 v[48:51], v31 offset:32
	;; [unrolled: 1-line block ×4, first 2 shown]
	s_waitcnt lgkmcnt(4)
	v_mul_f64 v[60:61], v[42:43], v[38:39]
	v_fma_f64 v[60:61], v[40:41], v[36:37], -v[60:61]
	v_mul_f64 v[62:63], v[40:41], v[38:39]
	v_fmac_f64_e32 v[62:63], v[42:43], v[36:37]
	v_add_f64 v[60:61], v[24:25], v[60:61]
	s_waitcnt lgkmcnt(0)
	v_mul_f64 v[24:25], v[42:43], v[58:59]
	v_add_f64 v[62:63], v[62:63], v[26:27]
	v_fma_f64 v[64:65], v[40:41], v[56:57], -v[24:25]
	ds_read_b128 v[24:27], v31 offset:2048
	v_mul_f64 v[40:41], v[40:41], v[58:59]
	v_fmac_f64_e32 v[40:41], v[42:43], v[56:57]
	v_add_f64 v[42:43], v[20:21], v[64:65]
	v_add_f64 v[40:41], v[40:41], v[22:23]
	ds_read_b128 v[20:23], v31 offset:2064
	s_waitcnt lgkmcnt(1)
	v_mul_f64 v[64:65], v[26:27], v[38:39]
	v_fma_f64 v[64:65], v[24:25], v[36:37], -v[64:65]
	v_mul_f64 v[38:39], v[24:25], v[38:39]
	v_fmac_f64_e32 v[38:39], v[26:27], v[36:37]
	v_add_f64 v[36:37], v[16:17], v[64:65]
	v_mul_f64 v[16:17], v[26:27], v[58:59]
	v_add_f64 v[38:39], v[38:39], v[18:19]
	v_fma_f64 v[64:65], v[24:25], v[56:57], -v[16:17]
	v_mul_f64 v[24:25], v[24:25], v[58:59]
	ds_read_b128 v[16:19], v30 offset:512
	v_fmac_f64_e32 v[24:25], v[26:27], v[56:57]
	v_add_f64 v[26:27], v[14:15], v[64:65]
	v_add_f64 v[24:25], v[24:25], v[12:13]
	ds_read_b128 v[12:15], v30 offset:768
	s_waitcnt lgkmcnt(1)
	v_mul_f64 v[56:57], v[46:47], v[18:19]
	v_fma_f64 v[56:57], v[44:45], v[16:17], -v[56:57]
	v_add_f64 v[56:57], v[60:61], v[56:57]
	v_mul_f64 v[58:59], v[44:45], v[18:19]
	s_waitcnt lgkmcnt(0)
	v_mul_f64 v[60:61], v[46:47], v[14:15]
	v_fma_f64 v[60:61], v[44:45], v[12:13], -v[60:61]
	v_mul_f64 v[44:45], v[44:45], v[14:15]
	v_fmac_f64_e32 v[44:45], v[46:47], v[12:13]
	v_add_f64 v[40:41], v[44:45], v[40:41]
	v_mul_f64 v[44:45], v[22:23], v[18:19]
	v_mul_f64 v[18:19], v[20:21], v[18:19]
	v_fmac_f64_e32 v[58:59], v[46:47], v[16:17]
	v_fma_f64 v[44:45], v[20:21], v[16:17], -v[44:45]
	v_fmac_f64_e32 v[18:19], v[22:23], v[16:17]
	v_mul_f64 v[16:17], v[22:23], v[14:15]
	v_add_f64 v[46:47], v[18:19], v[38:39]
	v_fma_f64 v[18:19], v[20:21], v[12:13], -v[16:17]
	v_mul_f64 v[20:21], v[20:21], v[14:15]
	ds_read_b128 v[14:17], v30 offset:1024
	v_fmac_f64_e32 v[20:21], v[22:23], v[12:13]
	v_add_f64 v[42:43], v[42:43], v[60:61]
	v_add_f64 v[26:27], v[26:27], v[18:19]
	;; [unrolled: 1-line block ×3, first 2 shown]
	ds_read_b128 v[18:21], v30 offset:1280
	s_waitcnt lgkmcnt(1)
	v_mul_f64 v[22:23], v[48:49], v[16:17]
	v_add_f64 v[58:59], v[58:59], v[62:63]
	v_fmac_f64_e32 v[22:23], v[50:51], v[14:15]
	v_add_f64 v[58:59], v[22:23], v[58:59]
	ds_read_b128 v[22:25], v31 offset:2080
	v_mul_f64 v[12:13], v[50:51], v[16:17]
	v_fma_f64 v[12:13], v[48:49], v[14:15], -v[12:13]
	v_add_f64 v[44:45], v[36:37], v[44:45]
	v_add_f64 v[56:57], v[56:57], v[12:13]
	s_waitcnt lgkmcnt(1)
	v_mul_f64 v[12:13], v[50:51], v[20:21]
	v_mul_f64 v[36:37], v[48:49], v[20:21]
	v_fma_f64 v[12:13], v[48:49], v[18:19], -v[12:13]
	v_fmac_f64_e32 v[36:37], v[50:51], v[18:19]
	v_add_f64 v[42:43], v[42:43], v[12:13]
	v_add_f64 v[40:41], v[36:37], v[40:41]
	ds_read_b128 v[36:39], v31 offset:2096
	s_waitcnt lgkmcnt(1)
	v_mul_f64 v[12:13], v[24:25], v[16:17]
	v_fma_f64 v[12:13], v[22:23], v[14:15], -v[12:13]
	v_mul_f64 v[16:17], v[22:23], v[16:17]
	v_fmac_f64_e32 v[16:17], v[24:25], v[14:15]
	v_add_f64 v[44:45], v[44:45], v[12:13]
	v_mul_f64 v[12:13], v[24:25], v[20:21]
	v_add_f64 v[46:47], v[16:17], v[46:47]
	v_fma_f64 v[16:17], v[22:23], v[18:19], -v[12:13]
	ds_read_b128 v[12:15], v30 offset:1536
	v_mul_f64 v[20:21], v[22:23], v[20:21]
	v_fmac_f64_e32 v[20:21], v[24:25], v[18:19]
	v_add_f64 v[22:23], v[26:27], v[16:17]
	ds_read_b128 v[16:19], v30 offset:1792
	s_waitcnt lgkmcnt(1)
	v_mul_f64 v[24:25], v[54:55], v[14:15]
	v_fma_f64 v[24:25], v[52:53], v[12:13], -v[24:25]
	v_mul_f64 v[26:27], v[52:53], v[14:15]
	v_fmac_f64_e32 v[26:27], v[54:55], v[12:13]
	v_add_f64 v[48:49], v[56:57], v[24:25]
	s_waitcnt lgkmcnt(0)
	v_mul_f64 v[24:25], v[54:55], v[18:19]
	v_add_f64 v[50:51], v[26:27], v[58:59]
	v_fma_f64 v[24:25], v[52:53], v[16:17], -v[24:25]
	v_mul_f64 v[26:27], v[52:53], v[18:19]
	v_fmac_f64_e32 v[26:27], v[54:55], v[16:17]
	v_add_f64 v[42:43], v[42:43], v[24:25]
	v_mul_f64 v[24:25], v[38:39], v[14:15]
	v_mul_f64 v[14:15], v[36:37], v[14:15]
	v_add_f64 v[40:41], v[26:27], v[40:41]
	v_fma_f64 v[24:25], v[36:37], v[12:13], -v[24:25]
	v_fmac_f64_e32 v[14:15], v[38:39], v[12:13]
	v_mul_f64 v[12:13], v[38:39], v[18:19]
	v_mul_f64 v[26:27], v[36:37], v[18:19]
	v_add_f64 v[44:45], v[44:45], v[24:25]
	v_add_f64 v[46:47], v[14:15], v[46:47]
	v_fma_f64 v[24:25], v[36:37], v[16:17], -v[12:13]
	v_fmac_f64_e32 v[26:27], v[38:39], v[16:17]
	ds_read_b128 v[12:15], v31 offset:64
	ds_read_b128 v[16:19], v30 offset:2048
	v_add_f64 v[20:21], v[20:21], v[60:61]
	v_add_f64 v[52:53], v[22:23], v[24:25]
	;; [unrolled: 1-line block ×3, first 2 shown]
	ds_read_b128 v[20:23], v30 offset:2304
	ds_read_b128 v[24:27], v31 offset:80
	s_waitcnt lgkmcnt(2)
	v_mul_f64 v[36:37], v[14:15], v[18:19]
	v_fma_f64 v[36:37], v[12:13], v[16:17], -v[36:37]
	v_mul_f64 v[38:39], v[12:13], v[18:19]
	v_fmac_f64_e32 v[38:39], v[14:15], v[16:17]
	v_add_f64 v[48:49], v[48:49], v[36:37]
	s_waitcnt lgkmcnt(1)
	v_mul_f64 v[36:37], v[14:15], v[22:23]
	v_add_f64 v[50:51], v[38:39], v[50:51]
	v_fma_f64 v[56:57], v[12:13], v[20:21], -v[36:37]
	ds_read_b128 v[36:39], v31 offset:2112
	v_mul_f64 v[12:13], v[12:13], v[22:23]
	v_fmac_f64_e32 v[12:13], v[14:15], v[20:21]
	v_add_f64 v[42:43], v[42:43], v[56:57]
	v_add_f64 v[40:41], v[12:13], v[40:41]
	ds_read_b128 v[12:15], v31 offset:2128
	s_waitcnt lgkmcnt(1)
	v_mul_f64 v[56:57], v[38:39], v[18:19]
	v_mul_f64 v[18:19], v[36:37], v[18:19]
	v_fma_f64 v[56:57], v[36:37], v[16:17], -v[56:57]
	v_fmac_f64_e32 v[18:19], v[38:39], v[16:17]
	v_mul_f64 v[16:17], v[38:39], v[22:23]
	v_add_f64 v[44:45], v[44:45], v[56:57]
	v_add_f64 v[46:47], v[18:19], v[46:47]
	v_fma_f64 v[56:57], v[36:37], v[20:21], -v[16:17]
	v_mul_f64 v[22:23], v[36:37], v[22:23]
	ds_read_b128 v[16:19], v30 offset:2560
	v_fmac_f64_e32 v[22:23], v[38:39], v[20:21]
	v_add_f64 v[38:39], v[22:23], v[54:55]
	ds_read_b128 v[20:23], v30 offset:2816
	v_add_f64 v[36:37], v[52:53], v[56:57]
	s_waitcnt lgkmcnt(1)
	v_mul_f64 v[52:53], v[26:27], v[18:19]
	v_fma_f64 v[52:53], v[24:25], v[16:17], -v[52:53]
	v_add_f64 v[48:49], v[48:49], v[52:53]
	s_waitcnt lgkmcnt(0)
	v_mul_f64 v[52:53], v[26:27], v[22:23]
	v_mul_f64 v[54:55], v[24:25], v[18:19]
	v_fma_f64 v[52:53], v[24:25], v[20:21], -v[52:53]
	v_mul_f64 v[24:25], v[24:25], v[22:23]
	v_fmac_f64_e32 v[24:25], v[26:27], v[20:21]
	v_add_f64 v[40:41], v[24:25], v[40:41]
	v_mul_f64 v[24:25], v[14:15], v[18:19]
	v_mul_f64 v[18:19], v[12:13], v[18:19]
	v_fmac_f64_e32 v[54:55], v[26:27], v[16:17]
	v_fma_f64 v[24:25], v[12:13], v[16:17], -v[24:25]
	v_fmac_f64_e32 v[18:19], v[14:15], v[16:17]
	v_mul_f64 v[16:17], v[14:15], v[22:23]
	v_mul_f64 v[22:23], v[12:13], v[22:23]
	v_add_f64 v[44:45], v[44:45], v[24:25]
	v_add_f64 v[46:47], v[18:19], v[46:47]
	v_fma_f64 v[24:25], v[12:13], v[20:21], -v[16:17]
	v_fmac_f64_e32 v[22:23], v[14:15], v[20:21]
	ds_read_b128 v[12:15], v31 offset:96
	ds_read_b128 v[16:19], v30 offset:3072
	v_add_f64 v[50:51], v[54:55], v[50:51]
	v_add_f64 v[42:43], v[42:43], v[52:53]
	;; [unrolled: 1-line block ×4, first 2 shown]
	ds_read_b128 v[20:23], v30 offset:3328
	ds_read_b128 v[36:39], v31 offset:112
	s_waitcnt lgkmcnt(2)
	v_mul_f64 v[24:25], v[14:15], v[18:19]
	v_fma_f64 v[24:25], v[12:13], v[16:17], -v[24:25]
	v_mul_f64 v[26:27], v[12:13], v[18:19]
	v_fmac_f64_e32 v[26:27], v[14:15], v[16:17]
	v_add_f64 v[48:49], v[48:49], v[24:25]
	s_waitcnt lgkmcnt(1)
	v_mul_f64 v[24:25], v[14:15], v[22:23]
	v_add_f64 v[50:51], v[26:27], v[50:51]
	v_fma_f64 v[56:57], v[12:13], v[20:21], -v[24:25]
	ds_read_b128 v[24:27], v31 offset:2144
	v_mul_f64 v[12:13], v[12:13], v[22:23]
	v_fmac_f64_e32 v[12:13], v[14:15], v[20:21]
	v_add_f64 v[58:59], v[12:13], v[40:41]
	ds_read_b128 v[12:15], v31 offset:2160
	s_waitcnt lgkmcnt(1)
	v_mul_f64 v[40:41], v[26:27], v[18:19]
	v_mul_f64 v[18:19], v[24:25], v[18:19]
	v_fma_f64 v[40:41], v[24:25], v[16:17], -v[40:41]
	v_fmac_f64_e32 v[18:19], v[26:27], v[16:17]
	v_mul_f64 v[16:17], v[26:27], v[22:23]
	v_add_f64 v[44:45], v[44:45], v[40:41]
	v_add_f64 v[46:47], v[18:19], v[46:47]
	v_fma_f64 v[40:41], v[24:25], v[20:21], -v[16:17]
	ds_read_b128 v[16:19], v30 offset:3584
	v_add_f64 v[56:57], v[42:43], v[56:57]
	v_add_f64 v[52:53], v[52:53], v[40:41]
	ds_read_b128 v[40:43], v30 offset:3840
	v_mul_f64 v[22:23], v[24:25], v[22:23]
	v_fmac_f64_e32 v[22:23], v[26:27], v[20:21]
	s_waitcnt lgkmcnt(1)
	v_mul_f64 v[20:21], v[38:39], v[18:19]
	v_add_f64 v[54:55], v[22:23], v[54:55]
	v_fma_f64 v[20:21], v[36:37], v[16:17], -v[20:21]
	v_mul_f64 v[22:23], v[36:37], v[18:19]
	v_fmac_f64_e32 v[22:23], v[38:39], v[16:17]
	v_add_f64 v[24:25], v[48:49], v[20:21]
	s_waitcnt lgkmcnt(0)
	v_mul_f64 v[20:21], v[38:39], v[42:43]
	v_add_f64 v[26:27], v[22:23], v[50:51]
	v_fma_f64 v[20:21], v[36:37], v[40:41], -v[20:21]
	v_mul_f64 v[22:23], v[36:37], v[42:43]
	v_mul_f64 v[36:37], v[14:15], v[18:19]
	v_fma_f64 v[36:37], v[12:13], v[16:17], -v[36:37]
	v_mul_f64 v[18:19], v[12:13], v[18:19]
	v_fmac_f64_e32 v[18:19], v[14:15], v[16:17]
	v_add_f64 v[16:17], v[44:45], v[36:37]
	v_mul_f64 v[36:37], v[14:15], v[42:43]
	s_add_u32 s14, s14, 8
	v_fma_f64 v[36:37], v[12:13], v[40:41], -v[36:37]
	v_mul_f64 v[12:13], v[12:13], v[42:43]
	s_addc_u32 s15, s15, 0
	v_fmac_f64_e32 v[12:13], v[14:15], v[40:41]
	v_add_f64 v[14:15], v[52:53], v[36:37]
	v_mov_b64_e32 v[36:37], s[14:15]
	v_fmac_f64_e32 v[22:23], v[38:39], v[40:41]
	v_cmp_gt_i64_e32 vcc, s[8:9], v[36:37]
	v_add_f64 v[20:21], v[56:57], v[20:21]
	v_add_f64 v[22:23], v[22:23], v[58:59]
	;; [unrolled: 1-line block ×4, first 2 shown]
	s_barrier
	s_cbranch_vccz .LBB558_18
.LBB558_8:                              ; =>This Inner Loop Header: Depth=1
	s_mov_b64 s[24:25], s[2:3]
	s_mov_b64 s[20:21], 0
	s_and_saveexec_b64 s[22:23], s[0:1]
	s_cbranch_execnz .LBB558_16
; %bb.9:                                ;   in Loop: Header=BB558_8 Depth=1
	s_or_b64 exec, exec, s[22:23]
	s_and_saveexec_b64 s[22:23], s[24:25]
	s_xor_b64 s[22:23], exec, s[22:23]
	s_cbranch_execnz .LBB558_17
.LBB558_10:                             ;   in Loop: Header=BB558_8 Depth=1
	s_or_b64 exec, exec, s[22:23]
	s_and_saveexec_b64 s[22:23], s[20:21]
	s_cbranch_execz .LBB558_12
.LBB558_11:                             ;   in Loop: Header=BB558_8 Depth=1
	v_mul_lo_u32 v8, s17, v10
	v_mul_lo_u32 v38, s16, v11
	v_mad_u64_u32 v[36:37], s[20:21], s16, v10, 0
	v_add3_u32 v37, v37, v38, v8
	v_lshl_add_u64 v[36:37], v[36:37], 4, v[4:5]
	flat_load_dwordx4 v[36:39], v[36:37]
	s_waitcnt vmcnt(0) lgkmcnt(0)
	ds_write2_b64 v28, v[36:37], v[38:39] offset1:1
.LBB558_12:                             ;   in Loop: Header=BB558_8 Depth=1
	s_or_b64 exec, exec, s[22:23]
	v_add_u32_e32 v8, s14, v0
	v_cmp_le_u64_e32 vcc, s[8:9], v[8:9]
	s_or_b64 s[20:21], vcc, s[18:19]
	s_and_saveexec_b64 s[22:23], s[20:21]
	s_xor_b64 s[20:21], exec, s[22:23]
; %bb.13:                               ;   in Loop: Header=BB558_8 Depth=1
	ds_write_b128 v29, v[32:35]
; %bb.14:                               ;   in Loop: Header=BB558_8 Depth=1
	s_andn2_saveexec_b64 s[20:21], s[20:21]
	s_cbranch_execz .LBB558_7
; %bb.15:                               ;   in Loop: Header=BB558_8 Depth=1
	v_lshl_add_u64 v[36:37], v[8:9], 4, v[6:7]
	flat_load_dwordx4 v[36:39], v[36:37]
	s_waitcnt vmcnt(0) lgkmcnt(0)
	ds_write2_b64 v29, v[36:37], v[38:39] offset1:1
	s_branch .LBB558_7
.LBB558_16:                             ;   in Loop: Header=BB558_8 Depth=1
	v_add_u32_e32 v8, s14, v2
	v_cmp_le_u64_e32 vcc, s[8:9], v[8:9]
	s_andn2_b64 s[24:25], s[2:3], exec
	s_and_b64 s[34:35], vcc, exec
	s_mov_b64 s[20:21], exec
	s_or_b64 s[24:25], s[24:25], s[34:35]
	v_mov_b64_e32 v[10:11], v[8:9]
	s_or_b64 exec, exec, s[22:23]
	s_and_saveexec_b64 s[22:23], s[24:25]
	s_xor_b64 s[22:23], exec, s[22:23]
	s_cbranch_execz .LBB558_10
.LBB558_17:                             ;   in Loop: Header=BB558_8 Depth=1
	ds_write_b128 v28, v[32:35]
	s_andn2_b64 s[20:21], s[20:21], exec
	s_or_b64 exec, exec, s[22:23]
	s_and_saveexec_b64 s[22:23], s[20:21]
	s_cbranch_execnz .LBB558_11
	s_branch .LBB558_12
.LBB558_18:
	s_waitcnt lgkmcnt(0)
	s_lshl_b64 s[0:1], s[38:39], 4
	v_add_u32_e32 v10, s31, v3
	s_add_u32 s4, s4, s0
	v_ashrrev_i32_e32 v0, 31, v10
	s_addc_u32 s5, s5, s1
	v_add_u32_e32 v4, s30, v1
	v_cmp_neq_f64_e64 s[0:1], s[26:27], 0
	s_xor_b64 s[6:7], s[6:7], -1
	v_mul_lo_u32 v2, s36, v0
	v_mul_lo_u32 v3, s37, v10
	v_mad_u64_u32 v[0:1], s[8:9], s36, v10, 0
	v_add3_u32 v1, v1, v2, v3
	s_or_b64 s[0:1], s[0:1], s[6:7]
	v_cmp_gt_i32_e64 s[2:3], s33, v10
	v_lshl_add_u64 v[8:9], v[0:1], 4, s[4:5]
	v_cmp_le_i32_e32 vcc, v4, v10
	v_cndmask_b32_e64 v0, 0, 1, s[0:1]
	s_and_b64 s[8:9], s[2:3], vcc
	v_ashrrev_i32_e32 v5, 31, v4
	v_cmp_ne_u32_e64 s[0:1], 1, v0
	s_and_saveexec_b64 s[6:7], s[8:9]
	s_cbranch_execz .LBB558_22
; %bb.19:
	v_mul_f64 v[0:1], s[12:13], v[26:27]
	v_mul_f64 v[2:3], s[10:11], v[26:27]
	v_fma_f64 v[0:1], s[10:11], v[24:25], -v[0:1]
	v_fmac_f64_e32 v[2:3], s[12:13], v[24:25]
	s_and_b64 vcc, exec, s[0:1]
	v_lshl_add_u64 v[6:7], v[4:5], 4, v[8:9]
	s_cbranch_vccnz .LBB558_21
; %bb.20:
	flat_load_dwordx4 v[24:27], v[6:7]
	s_waitcnt vmcnt(0) lgkmcnt(0)
	v_mul_f64 v[28:29], s[28:29], v[26:27]
	v_mul_f64 v[26:27], s[26:27], v[26:27]
	v_fma_f64 v[28:29], s[26:27], v[24:25], -v[28:29]
	v_fmac_f64_e32 v[26:27], s[28:29], v[24:25]
	v_add_f64 v[0:1], v[0:1], v[28:29]
	v_add_f64 v[2:3], v[2:3], v[26:27]
.LBB558_21:
	flat_store_dwordx4 v[6:7], v[0:3]
.LBB558_22:
	s_or_b64 exec, exec, s[6:7]
	v_add_u32_e32 v6, 16, v4
	v_cmp_le_i32_e32 vcc, v6, v10
	s_and_b64 s[6:7], s[2:3], vcc
	v_ashrrev_i32_e32 v7, 31, v6
	s_and_saveexec_b64 s[2:3], s[6:7]
	s_cbranch_execz .LBB558_26
; %bb.23:
	v_mul_f64 v[0:1], s[12:13], v[22:23]
	v_mul_f64 v[2:3], s[10:11], v[22:23]
	v_fma_f64 v[0:1], s[10:11], v[20:21], -v[0:1]
	v_fmac_f64_e32 v[2:3], s[12:13], v[20:21]
	s_and_b64 vcc, exec, s[0:1]
	v_lshl_add_u64 v[8:9], v[6:7], 4, v[8:9]
	s_cbranch_vccnz .LBB558_25
; %bb.24:
	flat_load_dwordx4 v[20:23], v[8:9]
	s_waitcnt vmcnt(0) lgkmcnt(0)
	v_mul_f64 v[24:25], s[28:29], v[22:23]
	v_mul_f64 v[22:23], s[26:27], v[22:23]
	v_fma_f64 v[24:25], s[26:27], v[20:21], -v[24:25]
	v_fmac_f64_e32 v[22:23], s[28:29], v[20:21]
	v_add_f64 v[0:1], v[0:1], v[24:25]
	v_add_f64 v[2:3], v[2:3], v[22:23]
.LBB558_25:
	flat_store_dwordx4 v[8:9], v[0:3]
.LBB558_26:
	s_or_b64 exec, exec, s[2:3]
	v_add_u32_e32 v10, 16, v10
	v_ashrrev_i32_e32 v0, 31, v10
	v_mul_lo_u32 v2, s36, v0
	v_mul_lo_u32 v3, s37, v10
	v_mad_u64_u32 v[0:1], s[6:7], s36, v10, 0
	v_cmp_gt_i32_e64 s[2:3], s33, v10
	v_add3_u32 v1, v1, v2, v3
	v_cmp_le_i32_e32 vcc, v4, v10
	v_lshl_add_u64 v[8:9], v[0:1], 4, s[4:5]
	s_and_b64 s[6:7], s[2:3], vcc
	s_and_saveexec_b64 s[4:5], s[6:7]
	s_cbranch_execz .LBB558_30
; %bb.27:
	v_mul_f64 v[0:1], s[12:13], v[18:19]
	v_mul_f64 v[2:3], s[10:11], v[18:19]
	v_fma_f64 v[0:1], s[10:11], v[16:17], -v[0:1]
	v_fmac_f64_e32 v[2:3], s[12:13], v[16:17]
	s_and_b64 vcc, exec, s[0:1]
	v_lshl_add_u64 v[4:5], v[4:5], 4, v[8:9]
	s_cbranch_vccnz .LBB558_29
; %bb.28:
	flat_load_dwordx4 v[16:19], v[4:5]
	s_waitcnt vmcnt(0) lgkmcnt(0)
	v_mul_f64 v[20:21], s[28:29], v[18:19]
	v_mul_f64 v[18:19], s[26:27], v[18:19]
	v_fma_f64 v[20:21], s[26:27], v[16:17], -v[20:21]
	v_fmac_f64_e32 v[18:19], s[28:29], v[16:17]
	v_add_f64 v[0:1], v[0:1], v[20:21]
	v_add_f64 v[2:3], v[2:3], v[18:19]
.LBB558_29:
	flat_store_dwordx4 v[4:5], v[0:3]
.LBB558_30:
	s_or_b64 exec, exec, s[4:5]
	v_cmp_le_i32_e32 vcc, v6, v10
	s_and_b64 s[2:3], s[2:3], vcc
	s_and_saveexec_b64 s[4:5], s[2:3]
	s_cbranch_execz .LBB558_34
; %bb.31:
	v_mul_f64 v[0:1], s[12:13], v[12:13]
	v_mul_f64 v[2:3], s[10:11], v[12:13]
	v_fma_f64 v[0:1], s[10:11], v[14:15], -v[0:1]
	v_fmac_f64_e32 v[2:3], s[12:13], v[14:15]
	s_and_b64 vcc, exec, s[0:1]
	v_lshl_add_u64 v[4:5], v[6:7], 4, v[8:9]
	s_cbranch_vccnz .LBB558_33
; %bb.32:
	flat_load_dwordx4 v[6:9], v[4:5]
	s_waitcnt vmcnt(0) lgkmcnt(0)
	v_mul_f64 v[10:11], s[28:29], v[8:9]
	v_mul_f64 v[8:9], s[26:27], v[8:9]
	v_fma_f64 v[10:11], s[26:27], v[6:7], -v[10:11]
	v_fmac_f64_e32 v[8:9], s[28:29], v[6:7]
	v_add_f64 v[0:1], v[0:1], v[10:11]
	v_add_f64 v[2:3], v[2:3], v[8:9]
.LBB558_33:
	flat_store_dwordx4 v[4:5], v[0:3]
.LBB558_34:
	s_endpgm
	.section	.rodata,"a",@progbits
	.p2align	6, 0x0
	.amdhsa_kernel _ZL29rocblas_internal_gemmt_kernelIlLi16ELi32ELi8ELc78ELc78ELc85ELb0ELb0E19rocblas_complex_numIdES1_PKPKS1_PKPS1_EviT_T9_T10_S9_lSB_S9_lSA_T11_S9_li
		.amdhsa_group_segment_fixed_size 8192
		.amdhsa_private_segment_fixed_size 0
		.amdhsa_kernarg_size 124
		.amdhsa_user_sgpr_count 2
		.amdhsa_user_sgpr_dispatch_ptr 0
		.amdhsa_user_sgpr_queue_ptr 0
		.amdhsa_user_sgpr_kernarg_segment_ptr 1
		.amdhsa_user_sgpr_dispatch_id 0
		.amdhsa_user_sgpr_kernarg_preload_length 0
		.amdhsa_user_sgpr_kernarg_preload_offset 0
		.amdhsa_user_sgpr_private_segment_size 0
		.amdhsa_uses_dynamic_stack 0
		.amdhsa_enable_private_segment 0
		.amdhsa_system_sgpr_workgroup_id_x 1
		.amdhsa_system_sgpr_workgroup_id_y 1
		.amdhsa_system_sgpr_workgroup_id_z 1
		.amdhsa_system_sgpr_workgroup_info 0
		.amdhsa_system_vgpr_workitem_id 1
		.amdhsa_next_free_vgpr 66
		.amdhsa_next_free_sgpr 40
		.amdhsa_accum_offset 68
		.amdhsa_reserve_vcc 1
		.amdhsa_float_round_mode_32 0
		.amdhsa_float_round_mode_16_64 0
		.amdhsa_float_denorm_mode_32 3
		.amdhsa_float_denorm_mode_16_64 3
		.amdhsa_dx10_clamp 1
		.amdhsa_ieee_mode 1
		.amdhsa_fp16_overflow 0
		.amdhsa_tg_split 0
		.amdhsa_exception_fp_ieee_invalid_op 0
		.amdhsa_exception_fp_denorm_src 0
		.amdhsa_exception_fp_ieee_div_zero 0
		.amdhsa_exception_fp_ieee_overflow 0
		.amdhsa_exception_fp_ieee_underflow 0
		.amdhsa_exception_fp_ieee_inexact 0
		.amdhsa_exception_int_div_zero 0
	.end_amdhsa_kernel
	.section	.text._ZL29rocblas_internal_gemmt_kernelIlLi16ELi32ELi8ELc78ELc78ELc85ELb0ELb0E19rocblas_complex_numIdES1_PKPKS1_PKPS1_EviT_T9_T10_S9_lSB_S9_lSA_T11_S9_li,"axG",@progbits,_ZL29rocblas_internal_gemmt_kernelIlLi16ELi32ELi8ELc78ELc78ELc85ELb0ELb0E19rocblas_complex_numIdES1_PKPKS1_PKPS1_EviT_T9_T10_S9_lSB_S9_lSA_T11_S9_li,comdat
.Lfunc_end558:
	.size	_ZL29rocblas_internal_gemmt_kernelIlLi16ELi32ELi8ELc78ELc78ELc85ELb0ELb0E19rocblas_complex_numIdES1_PKPKS1_PKPS1_EviT_T9_T10_S9_lSB_S9_lSA_T11_S9_li, .Lfunc_end558-_ZL29rocblas_internal_gemmt_kernelIlLi16ELi32ELi8ELc78ELc78ELc85ELb0ELb0E19rocblas_complex_numIdES1_PKPKS1_PKPS1_EviT_T9_T10_S9_lSB_S9_lSA_T11_S9_li
                                        ; -- End function
	.set _ZL29rocblas_internal_gemmt_kernelIlLi16ELi32ELi8ELc78ELc78ELc85ELb0ELb0E19rocblas_complex_numIdES1_PKPKS1_PKPS1_EviT_T9_T10_S9_lSB_S9_lSA_T11_S9_li.num_vgpr, 66
	.set _ZL29rocblas_internal_gemmt_kernelIlLi16ELi32ELi8ELc78ELc78ELc85ELb0ELb0E19rocblas_complex_numIdES1_PKPKS1_PKPS1_EviT_T9_T10_S9_lSB_S9_lSA_T11_S9_li.num_agpr, 0
	.set _ZL29rocblas_internal_gemmt_kernelIlLi16ELi32ELi8ELc78ELc78ELc85ELb0ELb0E19rocblas_complex_numIdES1_PKPKS1_PKPS1_EviT_T9_T10_S9_lSB_S9_lSA_T11_S9_li.numbered_sgpr, 40
	.set _ZL29rocblas_internal_gemmt_kernelIlLi16ELi32ELi8ELc78ELc78ELc85ELb0ELb0E19rocblas_complex_numIdES1_PKPKS1_PKPS1_EviT_T9_T10_S9_lSB_S9_lSA_T11_S9_li.num_named_barrier, 0
	.set _ZL29rocblas_internal_gemmt_kernelIlLi16ELi32ELi8ELc78ELc78ELc85ELb0ELb0E19rocblas_complex_numIdES1_PKPKS1_PKPS1_EviT_T9_T10_S9_lSB_S9_lSA_T11_S9_li.private_seg_size, 0
	.set _ZL29rocblas_internal_gemmt_kernelIlLi16ELi32ELi8ELc78ELc78ELc85ELb0ELb0E19rocblas_complex_numIdES1_PKPKS1_PKPS1_EviT_T9_T10_S9_lSB_S9_lSA_T11_S9_li.uses_vcc, 1
	.set _ZL29rocblas_internal_gemmt_kernelIlLi16ELi32ELi8ELc78ELc78ELc85ELb0ELb0E19rocblas_complex_numIdES1_PKPKS1_PKPS1_EviT_T9_T10_S9_lSB_S9_lSA_T11_S9_li.uses_flat_scratch, 0
	.set _ZL29rocblas_internal_gemmt_kernelIlLi16ELi32ELi8ELc78ELc78ELc85ELb0ELb0E19rocblas_complex_numIdES1_PKPKS1_PKPS1_EviT_T9_T10_S9_lSB_S9_lSA_T11_S9_li.has_dyn_sized_stack, 0
	.set _ZL29rocblas_internal_gemmt_kernelIlLi16ELi32ELi8ELc78ELc78ELc85ELb0ELb0E19rocblas_complex_numIdES1_PKPKS1_PKPS1_EviT_T9_T10_S9_lSB_S9_lSA_T11_S9_li.has_recursion, 0
	.set _ZL29rocblas_internal_gemmt_kernelIlLi16ELi32ELi8ELc78ELc78ELc85ELb0ELb0E19rocblas_complex_numIdES1_PKPKS1_PKPS1_EviT_T9_T10_S9_lSB_S9_lSA_T11_S9_li.has_indirect_call, 0
	.section	.AMDGPU.csdata,"",@progbits
; Kernel info:
; codeLenInByte = 3236
; TotalNumSgprs: 46
; NumVgprs: 66
; NumAgprs: 0
; TotalNumVgprs: 66
; ScratchSize: 0
; MemoryBound: 0
; FloatMode: 240
; IeeeMode: 1
; LDSByteSize: 8192 bytes/workgroup (compile time only)
; SGPRBlocks: 5
; VGPRBlocks: 8
; NumSGPRsForWavesPerEU: 46
; NumVGPRsForWavesPerEU: 66
; AccumOffset: 68
; Occupancy: 7
; WaveLimiterHint : 1
; COMPUTE_PGM_RSRC2:SCRATCH_EN: 0
; COMPUTE_PGM_RSRC2:USER_SGPR: 2
; COMPUTE_PGM_RSRC2:TRAP_HANDLER: 0
; COMPUTE_PGM_RSRC2:TGID_X_EN: 1
; COMPUTE_PGM_RSRC2:TGID_Y_EN: 1
; COMPUTE_PGM_RSRC2:TGID_Z_EN: 1
; COMPUTE_PGM_RSRC2:TIDIG_COMP_CNT: 1
; COMPUTE_PGM_RSRC3_GFX90A:ACCUM_OFFSET: 16
; COMPUTE_PGM_RSRC3_GFX90A:TG_SPLIT: 0
	.section	.text._ZL29rocblas_internal_gemmt_kernelIlLi16ELi32ELi8ELc78ELc84ELc85ELb0ELb0E19rocblas_complex_numIdES1_PKPKS1_PKPS1_EviT_T9_T10_S9_lSB_S9_lSA_T11_S9_li,"axG",@progbits,_ZL29rocblas_internal_gemmt_kernelIlLi16ELi32ELi8ELc78ELc84ELc85ELb0ELb0E19rocblas_complex_numIdES1_PKPKS1_PKPS1_EviT_T9_T10_S9_lSB_S9_lSA_T11_S9_li,comdat
	.globl	_ZL29rocblas_internal_gemmt_kernelIlLi16ELi32ELi8ELc78ELc84ELc85ELb0ELb0E19rocblas_complex_numIdES1_PKPKS1_PKPS1_EviT_T9_T10_S9_lSB_S9_lSA_T11_S9_li ; -- Begin function _ZL29rocblas_internal_gemmt_kernelIlLi16ELi32ELi8ELc78ELc84ELc85ELb0ELb0E19rocblas_complex_numIdES1_PKPKS1_PKPS1_EviT_T9_T10_S9_lSB_S9_lSA_T11_S9_li
	.p2align	8
	.type	_ZL29rocblas_internal_gemmt_kernelIlLi16ELi32ELi8ELc78ELc84ELc85ELb0ELb0E19rocblas_complex_numIdES1_PKPKS1_PKPS1_EviT_T9_T10_S9_lSB_S9_lSA_T11_S9_li,@function
_ZL29rocblas_internal_gemmt_kernelIlLi16ELi32ELi8ELc78ELc84ELc85ELb0ELb0E19rocblas_complex_numIdES1_PKPKS1_PKPS1_EviT_T9_T10_S9_lSB_S9_lSA_T11_S9_li: ; @_ZL29rocblas_internal_gemmt_kernelIlLi16ELi32ELi8ELc78ELc84ELc85ELb0ELb0E19rocblas_complex_numIdES1_PKPKS1_PKPS1_EviT_T9_T10_S9_lSB_S9_lSA_T11_S9_li
; %bb.0:
	s_load_dwordx8 s[24:31], s[0:1], 0x48
	s_load_dwordx16 s[8:23], s[0:1], 0x8
	s_mov_b64 s[34:35], 0
	s_waitcnt lgkmcnt(0)
	v_cmp_eq_f64_e64 s[36:37], s[26:27], 1.0
	v_cmp_eq_f64_e64 s[6:7], s[28:29], 0
	s_and_b64 s[36:37], s[36:37], s[6:7]
	s_andn2_b64 vcc, exec, s[36:37]
	s_mov_b64 s[36:37], -1
	s_cbranch_vccnz .LBB559_4
; %bb.1:
	s_cmp_lg_u64 s[8:9], 0
	s_cbranch_scc0 .LBB559_3
; %bb.2:
	v_cmp_neq_f64_e64 s[34:35], s[10:11], 0
	v_cmp_neq_f64_e64 s[36:37], s[12:13], 0
	s_or_b64 s[34:35], s[34:35], s[36:37]
.LBB559_3:
	s_mov_b64 s[36:37], s[34:35]
.LBB559_4:
	s_and_b64 vcc, exec, s[36:37]
	s_cbranch_vccz .LBB559_34
; %bb.5:
	s_mov_b32 s5, 0
	s_load_dwordx4 s[36:39], s[0:1], 0x68
	s_load_dword s33, s[0:1], 0x0
	s_lshl_b64 s[0:1], s[4:5], 3
	s_add_u32 s4, s30, s0
	s_addc_u32 s5, s31, s1
	s_load_dwordx2 s[4:5], s[4:5], 0x0
	s_lshl_b32 s34, s2, 5
	s_lshl_b32 s35, s3, 5
	v_cmp_eq_f64_e64 s[2:3], s[10:11], 0
	v_cmp_eq_f64_e64 s[30:31], s[12:13], 0
	s_and_b64 s[2:3], s[2:3], s[30:31]
	v_cmp_lt_i64_e64 s[30:31], s[8:9], 1
	s_or_b64 s[2:3], s[2:3], s[30:31]
	v_and_b32_e32 v1, 0x3ff, v0
	v_bfe_u32 v3, v0, 10, 10
	v_mov_b64_e32 v[24:25], 0
	s_and_b64 vcc, exec, s[2:3]
	v_mov_b64_e32 v[26:27], 0
	v_mov_b64_e32 v[20:21], 0
	;; [unrolled: 1-line block ×7, first 2 shown]
	s_cbranch_vccnz .LBB559_18
; %bb.6:
	s_add_u32 s2, s20, s0
	s_addc_u32 s3, s21, s1
	s_load_dwordx2 s[2:3], s[2:3], 0x0
	s_lshl_b64 s[20:21], s[24:25], 4
	v_lshl_add_u32 v4, v3, 4, v1
	v_and_b32_e32 v0, 7, v1
	v_lshrrev_b32_e32 v7, 3, v4
	s_waitcnt lgkmcnt(0)
	s_add_u32 s20, s2, s20
	s_addc_u32 s21, s3, s21
	s_add_u32 s0, s14, s0
	s_addc_u32 s1, s15, s1
	s_load_dwordx2 s[0:1], s[0:1], 0x0
	v_and_b32_e32 v5, 31, v4
	s_lshl_b64 s[2:3], s[18:19], 4
	v_lshlrev_b32_e32 v8, 4, v0
	v_lshrrev_b32_e32 v2, 5, v4
	v_add_u32_e32 v6, s35, v7
	v_or_b32_e32 v4, s34, v5
	s_waitcnt lgkmcnt(0)
	s_add_u32 s14, s0, s2
	v_lshlrev_b32_e32 v5, 4, v5
	v_lshl_or_b32 v7, v7, 7, v8
	s_addc_u32 s15, s1, s3
	v_lshl_or_b32 v28, v2, 9, v5
	v_ashrrev_i32_e32 v5, 31, v4
	v_cmp_gt_i32_e32 vcc, s33, v6
	v_add_u32_e32 v29, 0x1000, v7
	v_ashrrev_i32_e32 v7, 31, v6
	v_mov_b32_e32 v8, 0x1000
	v_mov_b32_e32 v9, 0
	v_cmp_gt_i32_e64 s[0:1], s33, v4
	v_cmp_le_i32_e64 s[2:3], s33, v4
	v_lshl_add_u64 v[4:5], v[4:5], 4, s[14:15]
	v_lshl_add_u64 v[6:7], v[6:7], 4, s[20:21]
	v_lshlrev_b32_e32 v30, 4, v1
	v_lshl_add_u32 v31, v3, 7, v8
	v_mov_b64_e32 v[12:13], 0
	s_mov_b64 s[14:15], 0
	s_xor_b64 s[18:19], vcc, -1
	v_mov_b32_e32 v32, v9
	v_mov_b32_e32 v33, v9
	;; [unrolled: 1-line block ×4, first 2 shown]
	v_mov_b64_e32 v[14:15], 0
	v_mov_b64_e32 v[18:19], 0
	;; [unrolled: 1-line block ×7, first 2 shown]
                                        ; implicit-def: $vgpr10_vgpr11
	s_branch .LBB559_8
.LBB559_7:                              ;   in Loop: Header=BB559_8 Depth=1
	s_or_b64 exec, exec, s[20:21]
	s_waitcnt lgkmcnt(0)
	s_barrier
	ds_read_b128 v[36:39], v30
	ds_read_b128 v[40:43], v31
	ds_read_b128 v[44:47], v31 offset:16
	ds_read_b128 v[48:51], v31 offset:32
	;; [unrolled: 1-line block ×4, first 2 shown]
	s_waitcnt lgkmcnt(4)
	v_mul_f64 v[60:61], v[42:43], v[38:39]
	v_fma_f64 v[60:61], v[40:41], v[36:37], -v[60:61]
	v_mul_f64 v[62:63], v[40:41], v[38:39]
	v_fmac_f64_e32 v[62:63], v[42:43], v[36:37]
	v_add_f64 v[60:61], v[24:25], v[60:61]
	s_waitcnt lgkmcnt(0)
	v_mul_f64 v[24:25], v[42:43], v[58:59]
	v_add_f64 v[62:63], v[62:63], v[26:27]
	v_fma_f64 v[64:65], v[40:41], v[56:57], -v[24:25]
	ds_read_b128 v[24:27], v31 offset:2048
	v_mul_f64 v[40:41], v[40:41], v[58:59]
	v_fmac_f64_e32 v[40:41], v[42:43], v[56:57]
	v_add_f64 v[42:43], v[20:21], v[64:65]
	v_add_f64 v[40:41], v[40:41], v[22:23]
	ds_read_b128 v[20:23], v31 offset:2064
	s_waitcnt lgkmcnt(1)
	v_mul_f64 v[64:65], v[26:27], v[38:39]
	v_fma_f64 v[64:65], v[24:25], v[36:37], -v[64:65]
	v_mul_f64 v[38:39], v[24:25], v[38:39]
	v_fmac_f64_e32 v[38:39], v[26:27], v[36:37]
	v_add_f64 v[36:37], v[16:17], v[64:65]
	v_mul_f64 v[16:17], v[26:27], v[58:59]
	v_add_f64 v[38:39], v[38:39], v[18:19]
	v_fma_f64 v[64:65], v[24:25], v[56:57], -v[16:17]
	v_mul_f64 v[24:25], v[24:25], v[58:59]
	ds_read_b128 v[16:19], v30 offset:512
	v_fmac_f64_e32 v[24:25], v[26:27], v[56:57]
	v_add_f64 v[26:27], v[14:15], v[64:65]
	v_add_f64 v[24:25], v[24:25], v[12:13]
	ds_read_b128 v[12:15], v30 offset:768
	s_waitcnt lgkmcnt(1)
	v_mul_f64 v[56:57], v[46:47], v[18:19]
	v_fma_f64 v[56:57], v[44:45], v[16:17], -v[56:57]
	v_add_f64 v[56:57], v[60:61], v[56:57]
	v_mul_f64 v[58:59], v[44:45], v[18:19]
	s_waitcnt lgkmcnt(0)
	v_mul_f64 v[60:61], v[46:47], v[14:15]
	v_fma_f64 v[60:61], v[44:45], v[12:13], -v[60:61]
	v_mul_f64 v[44:45], v[44:45], v[14:15]
	v_fmac_f64_e32 v[44:45], v[46:47], v[12:13]
	v_add_f64 v[40:41], v[44:45], v[40:41]
	v_mul_f64 v[44:45], v[22:23], v[18:19]
	v_mul_f64 v[18:19], v[20:21], v[18:19]
	v_fmac_f64_e32 v[58:59], v[46:47], v[16:17]
	v_fma_f64 v[44:45], v[20:21], v[16:17], -v[44:45]
	v_fmac_f64_e32 v[18:19], v[22:23], v[16:17]
	v_mul_f64 v[16:17], v[22:23], v[14:15]
	v_add_f64 v[46:47], v[18:19], v[38:39]
	v_fma_f64 v[18:19], v[20:21], v[12:13], -v[16:17]
	v_mul_f64 v[20:21], v[20:21], v[14:15]
	ds_read_b128 v[14:17], v30 offset:1024
	v_fmac_f64_e32 v[20:21], v[22:23], v[12:13]
	v_add_f64 v[42:43], v[42:43], v[60:61]
	v_add_f64 v[26:27], v[26:27], v[18:19]
	;; [unrolled: 1-line block ×3, first 2 shown]
	ds_read_b128 v[18:21], v30 offset:1280
	s_waitcnt lgkmcnt(1)
	v_mul_f64 v[22:23], v[48:49], v[16:17]
	v_add_f64 v[58:59], v[58:59], v[62:63]
	v_fmac_f64_e32 v[22:23], v[50:51], v[14:15]
	v_add_f64 v[58:59], v[22:23], v[58:59]
	ds_read_b128 v[22:25], v31 offset:2080
	v_mul_f64 v[12:13], v[50:51], v[16:17]
	v_fma_f64 v[12:13], v[48:49], v[14:15], -v[12:13]
	v_add_f64 v[44:45], v[36:37], v[44:45]
	v_add_f64 v[56:57], v[56:57], v[12:13]
	s_waitcnt lgkmcnt(1)
	v_mul_f64 v[12:13], v[50:51], v[20:21]
	v_mul_f64 v[36:37], v[48:49], v[20:21]
	v_fma_f64 v[12:13], v[48:49], v[18:19], -v[12:13]
	v_fmac_f64_e32 v[36:37], v[50:51], v[18:19]
	v_add_f64 v[42:43], v[42:43], v[12:13]
	v_add_f64 v[40:41], v[36:37], v[40:41]
	ds_read_b128 v[36:39], v31 offset:2096
	s_waitcnt lgkmcnt(1)
	v_mul_f64 v[12:13], v[24:25], v[16:17]
	v_fma_f64 v[12:13], v[22:23], v[14:15], -v[12:13]
	v_mul_f64 v[16:17], v[22:23], v[16:17]
	v_fmac_f64_e32 v[16:17], v[24:25], v[14:15]
	v_add_f64 v[44:45], v[44:45], v[12:13]
	v_mul_f64 v[12:13], v[24:25], v[20:21]
	v_add_f64 v[46:47], v[16:17], v[46:47]
	v_fma_f64 v[16:17], v[22:23], v[18:19], -v[12:13]
	ds_read_b128 v[12:15], v30 offset:1536
	v_mul_f64 v[20:21], v[22:23], v[20:21]
	v_fmac_f64_e32 v[20:21], v[24:25], v[18:19]
	v_add_f64 v[22:23], v[26:27], v[16:17]
	ds_read_b128 v[16:19], v30 offset:1792
	s_waitcnt lgkmcnt(1)
	v_mul_f64 v[24:25], v[54:55], v[14:15]
	v_fma_f64 v[24:25], v[52:53], v[12:13], -v[24:25]
	v_mul_f64 v[26:27], v[52:53], v[14:15]
	v_fmac_f64_e32 v[26:27], v[54:55], v[12:13]
	v_add_f64 v[48:49], v[56:57], v[24:25]
	s_waitcnt lgkmcnt(0)
	v_mul_f64 v[24:25], v[54:55], v[18:19]
	v_add_f64 v[50:51], v[26:27], v[58:59]
	v_fma_f64 v[24:25], v[52:53], v[16:17], -v[24:25]
	v_mul_f64 v[26:27], v[52:53], v[18:19]
	v_fmac_f64_e32 v[26:27], v[54:55], v[16:17]
	v_add_f64 v[42:43], v[42:43], v[24:25]
	v_mul_f64 v[24:25], v[38:39], v[14:15]
	v_mul_f64 v[14:15], v[36:37], v[14:15]
	v_add_f64 v[40:41], v[26:27], v[40:41]
	v_fma_f64 v[24:25], v[36:37], v[12:13], -v[24:25]
	v_fmac_f64_e32 v[14:15], v[38:39], v[12:13]
	v_mul_f64 v[12:13], v[38:39], v[18:19]
	v_mul_f64 v[26:27], v[36:37], v[18:19]
	v_add_f64 v[44:45], v[44:45], v[24:25]
	v_add_f64 v[46:47], v[14:15], v[46:47]
	v_fma_f64 v[24:25], v[36:37], v[16:17], -v[12:13]
	v_fmac_f64_e32 v[26:27], v[38:39], v[16:17]
	ds_read_b128 v[12:15], v31 offset:64
	ds_read_b128 v[16:19], v30 offset:2048
	v_add_f64 v[20:21], v[20:21], v[60:61]
	v_add_f64 v[52:53], v[22:23], v[24:25]
	;; [unrolled: 1-line block ×3, first 2 shown]
	ds_read_b128 v[20:23], v30 offset:2304
	ds_read_b128 v[24:27], v31 offset:80
	s_waitcnt lgkmcnt(2)
	v_mul_f64 v[36:37], v[14:15], v[18:19]
	v_fma_f64 v[36:37], v[12:13], v[16:17], -v[36:37]
	v_mul_f64 v[38:39], v[12:13], v[18:19]
	v_fmac_f64_e32 v[38:39], v[14:15], v[16:17]
	v_add_f64 v[48:49], v[48:49], v[36:37]
	s_waitcnt lgkmcnt(1)
	v_mul_f64 v[36:37], v[14:15], v[22:23]
	v_add_f64 v[50:51], v[38:39], v[50:51]
	v_fma_f64 v[56:57], v[12:13], v[20:21], -v[36:37]
	ds_read_b128 v[36:39], v31 offset:2112
	v_mul_f64 v[12:13], v[12:13], v[22:23]
	v_fmac_f64_e32 v[12:13], v[14:15], v[20:21]
	v_add_f64 v[42:43], v[42:43], v[56:57]
	v_add_f64 v[40:41], v[12:13], v[40:41]
	ds_read_b128 v[12:15], v31 offset:2128
	s_waitcnt lgkmcnt(1)
	v_mul_f64 v[56:57], v[38:39], v[18:19]
	v_mul_f64 v[18:19], v[36:37], v[18:19]
	v_fma_f64 v[56:57], v[36:37], v[16:17], -v[56:57]
	v_fmac_f64_e32 v[18:19], v[38:39], v[16:17]
	v_mul_f64 v[16:17], v[38:39], v[22:23]
	v_add_f64 v[44:45], v[44:45], v[56:57]
	v_add_f64 v[46:47], v[18:19], v[46:47]
	v_fma_f64 v[56:57], v[36:37], v[20:21], -v[16:17]
	v_mul_f64 v[22:23], v[36:37], v[22:23]
	ds_read_b128 v[16:19], v30 offset:2560
	v_fmac_f64_e32 v[22:23], v[38:39], v[20:21]
	v_add_f64 v[38:39], v[22:23], v[54:55]
	ds_read_b128 v[20:23], v30 offset:2816
	v_add_f64 v[36:37], v[52:53], v[56:57]
	s_waitcnt lgkmcnt(1)
	v_mul_f64 v[52:53], v[26:27], v[18:19]
	v_fma_f64 v[52:53], v[24:25], v[16:17], -v[52:53]
	v_add_f64 v[48:49], v[48:49], v[52:53]
	s_waitcnt lgkmcnt(0)
	v_mul_f64 v[52:53], v[26:27], v[22:23]
	v_mul_f64 v[54:55], v[24:25], v[18:19]
	v_fma_f64 v[52:53], v[24:25], v[20:21], -v[52:53]
	v_mul_f64 v[24:25], v[24:25], v[22:23]
	v_fmac_f64_e32 v[24:25], v[26:27], v[20:21]
	v_add_f64 v[40:41], v[24:25], v[40:41]
	v_mul_f64 v[24:25], v[14:15], v[18:19]
	v_mul_f64 v[18:19], v[12:13], v[18:19]
	v_fmac_f64_e32 v[54:55], v[26:27], v[16:17]
	v_fma_f64 v[24:25], v[12:13], v[16:17], -v[24:25]
	v_fmac_f64_e32 v[18:19], v[14:15], v[16:17]
	v_mul_f64 v[16:17], v[14:15], v[22:23]
	v_mul_f64 v[22:23], v[12:13], v[22:23]
	v_add_f64 v[44:45], v[44:45], v[24:25]
	v_add_f64 v[46:47], v[18:19], v[46:47]
	v_fma_f64 v[24:25], v[12:13], v[20:21], -v[16:17]
	v_fmac_f64_e32 v[22:23], v[14:15], v[20:21]
	ds_read_b128 v[12:15], v31 offset:96
	ds_read_b128 v[16:19], v30 offset:3072
	v_add_f64 v[50:51], v[54:55], v[50:51]
	v_add_f64 v[42:43], v[42:43], v[52:53]
	;; [unrolled: 1-line block ×4, first 2 shown]
	ds_read_b128 v[20:23], v30 offset:3328
	ds_read_b128 v[36:39], v31 offset:112
	s_waitcnt lgkmcnt(2)
	v_mul_f64 v[24:25], v[14:15], v[18:19]
	v_fma_f64 v[24:25], v[12:13], v[16:17], -v[24:25]
	v_mul_f64 v[26:27], v[12:13], v[18:19]
	v_fmac_f64_e32 v[26:27], v[14:15], v[16:17]
	v_add_f64 v[48:49], v[48:49], v[24:25]
	s_waitcnt lgkmcnt(1)
	v_mul_f64 v[24:25], v[14:15], v[22:23]
	v_add_f64 v[50:51], v[26:27], v[50:51]
	v_fma_f64 v[56:57], v[12:13], v[20:21], -v[24:25]
	ds_read_b128 v[24:27], v31 offset:2144
	v_mul_f64 v[12:13], v[12:13], v[22:23]
	v_fmac_f64_e32 v[12:13], v[14:15], v[20:21]
	v_add_f64 v[58:59], v[12:13], v[40:41]
	ds_read_b128 v[12:15], v31 offset:2160
	s_waitcnt lgkmcnt(1)
	v_mul_f64 v[40:41], v[26:27], v[18:19]
	v_mul_f64 v[18:19], v[24:25], v[18:19]
	v_fma_f64 v[40:41], v[24:25], v[16:17], -v[40:41]
	v_fmac_f64_e32 v[18:19], v[26:27], v[16:17]
	v_mul_f64 v[16:17], v[26:27], v[22:23]
	v_add_f64 v[44:45], v[44:45], v[40:41]
	v_add_f64 v[46:47], v[18:19], v[46:47]
	v_fma_f64 v[40:41], v[24:25], v[20:21], -v[16:17]
	ds_read_b128 v[16:19], v30 offset:3584
	v_add_f64 v[56:57], v[42:43], v[56:57]
	v_add_f64 v[52:53], v[52:53], v[40:41]
	ds_read_b128 v[40:43], v30 offset:3840
	v_mul_f64 v[22:23], v[24:25], v[22:23]
	v_fmac_f64_e32 v[22:23], v[26:27], v[20:21]
	s_waitcnt lgkmcnt(1)
	v_mul_f64 v[20:21], v[38:39], v[18:19]
	v_add_f64 v[54:55], v[22:23], v[54:55]
	v_fma_f64 v[20:21], v[36:37], v[16:17], -v[20:21]
	v_mul_f64 v[22:23], v[36:37], v[18:19]
	v_fmac_f64_e32 v[22:23], v[38:39], v[16:17]
	v_add_f64 v[24:25], v[48:49], v[20:21]
	s_waitcnt lgkmcnt(0)
	v_mul_f64 v[20:21], v[38:39], v[42:43]
	v_add_f64 v[26:27], v[22:23], v[50:51]
	v_fma_f64 v[20:21], v[36:37], v[40:41], -v[20:21]
	v_mul_f64 v[22:23], v[36:37], v[42:43]
	v_mul_f64 v[36:37], v[14:15], v[18:19]
	v_fma_f64 v[36:37], v[12:13], v[16:17], -v[36:37]
	v_mul_f64 v[18:19], v[12:13], v[18:19]
	v_fmac_f64_e32 v[18:19], v[14:15], v[16:17]
	v_add_f64 v[16:17], v[44:45], v[36:37]
	v_mul_f64 v[36:37], v[14:15], v[42:43]
	s_add_u32 s14, s14, 8
	v_fma_f64 v[36:37], v[12:13], v[40:41], -v[36:37]
	v_mul_f64 v[12:13], v[12:13], v[42:43]
	s_addc_u32 s15, s15, 0
	v_fmac_f64_e32 v[12:13], v[14:15], v[40:41]
	v_add_f64 v[14:15], v[52:53], v[36:37]
	v_mov_b64_e32 v[36:37], s[14:15]
	v_fmac_f64_e32 v[22:23], v[38:39], v[40:41]
	v_cmp_gt_i64_e32 vcc, s[8:9], v[36:37]
	v_add_f64 v[20:21], v[56:57], v[20:21]
	v_add_f64 v[22:23], v[22:23], v[58:59]
	;; [unrolled: 1-line block ×4, first 2 shown]
	s_barrier
	s_cbranch_vccz .LBB559_18
.LBB559_8:                              ; =>This Inner Loop Header: Depth=1
	s_mov_b64 s[30:31], s[2:3]
	s_mov_b64 s[20:21], 0
	s_and_saveexec_b64 s[24:25], s[0:1]
	s_cbranch_execnz .LBB559_16
; %bb.9:                                ;   in Loop: Header=BB559_8 Depth=1
	s_or_b64 exec, exec, s[24:25]
	s_and_saveexec_b64 s[24:25], s[30:31]
	s_xor_b64 s[24:25], exec, s[24:25]
	s_cbranch_execnz .LBB559_17
.LBB559_10:                             ;   in Loop: Header=BB559_8 Depth=1
	s_or_b64 exec, exec, s[24:25]
	s_and_saveexec_b64 s[24:25], s[20:21]
	s_cbranch_execz .LBB559_12
.LBB559_11:                             ;   in Loop: Header=BB559_8 Depth=1
	v_mul_lo_u32 v8, s17, v10
	v_mul_lo_u32 v38, s16, v11
	v_mad_u64_u32 v[36:37], s[20:21], s16, v10, 0
	v_add3_u32 v37, v37, v38, v8
	v_lshl_add_u64 v[36:37], v[36:37], 4, v[4:5]
	flat_load_dwordx4 v[36:39], v[36:37]
	s_waitcnt vmcnt(0) lgkmcnt(0)
	ds_write2_b64 v28, v[36:37], v[38:39] offset1:1
.LBB559_12:                             ;   in Loop: Header=BB559_8 Depth=1
	s_or_b64 exec, exec, s[24:25]
	v_add_u32_e32 v8, s14, v0
	v_cmp_le_u64_e32 vcc, s[8:9], v[8:9]
	s_or_b64 s[20:21], vcc, s[18:19]
	s_and_saveexec_b64 s[24:25], s[20:21]
	s_xor_b64 s[20:21], exec, s[24:25]
; %bb.13:                               ;   in Loop: Header=BB559_8 Depth=1
	ds_write_b128 v29, v[32:35]
; %bb.14:                               ;   in Loop: Header=BB559_8 Depth=1
	s_andn2_saveexec_b64 s[20:21], s[20:21]
	s_cbranch_execz .LBB559_7
; %bb.15:                               ;   in Loop: Header=BB559_8 Depth=1
	v_mad_u64_u32 v[36:37], s[24:25], s22, v8, 0
	v_mov_b32_e32 v38, v37
	v_mad_u64_u32 v[38:39], s[24:25], s23, v8, v[38:39]
	v_mov_b32_e32 v37, v38
	v_lshl_add_u64 v[36:37], v[36:37], 4, v[6:7]
	flat_load_dwordx4 v[36:39], v[36:37]
	s_waitcnt vmcnt(0) lgkmcnt(0)
	ds_write2_b64 v29, v[36:37], v[38:39] offset1:1
	s_branch .LBB559_7
.LBB559_16:                             ;   in Loop: Header=BB559_8 Depth=1
	v_add_u32_e32 v8, s14, v2
	v_cmp_le_u64_e32 vcc, s[8:9], v[8:9]
	s_andn2_b64 s[30:31], s[2:3], exec
	s_and_b64 s[40:41], vcc, exec
	s_mov_b64 s[20:21], exec
	s_or_b64 s[30:31], s[30:31], s[40:41]
	v_mov_b64_e32 v[10:11], v[8:9]
	s_or_b64 exec, exec, s[24:25]
	s_and_saveexec_b64 s[24:25], s[30:31]
	s_xor_b64 s[24:25], exec, s[24:25]
	s_cbranch_execz .LBB559_10
.LBB559_17:                             ;   in Loop: Header=BB559_8 Depth=1
	ds_write_b128 v28, v[32:35]
	s_andn2_b64 s[20:21], s[20:21], exec
	s_or_b64 exec, exec, s[24:25]
	s_and_saveexec_b64 s[24:25], s[20:21]
	s_cbranch_execnz .LBB559_11
	s_branch .LBB559_12
.LBB559_18:
	s_waitcnt lgkmcnt(0)
	s_lshl_b64 s[0:1], s[38:39], 4
	v_add_u32_e32 v10, s35, v3
	s_add_u32 s4, s4, s0
	v_ashrrev_i32_e32 v0, 31, v10
	s_addc_u32 s5, s5, s1
	v_add_u32_e32 v4, s34, v1
	v_cmp_neq_f64_e64 s[0:1], s[26:27], 0
	s_xor_b64 s[6:7], s[6:7], -1
	v_mul_lo_u32 v2, s36, v0
	v_mul_lo_u32 v3, s37, v10
	v_mad_u64_u32 v[0:1], s[8:9], s36, v10, 0
	v_add3_u32 v1, v1, v2, v3
	s_or_b64 s[0:1], s[0:1], s[6:7]
	v_cmp_gt_i32_e64 s[2:3], s33, v10
	v_lshl_add_u64 v[8:9], v[0:1], 4, s[4:5]
	v_cmp_le_i32_e32 vcc, v4, v10
	v_cndmask_b32_e64 v0, 0, 1, s[0:1]
	s_and_b64 s[8:9], s[2:3], vcc
	v_ashrrev_i32_e32 v5, 31, v4
	v_cmp_ne_u32_e64 s[0:1], 1, v0
	s_and_saveexec_b64 s[6:7], s[8:9]
	s_cbranch_execz .LBB559_22
; %bb.19:
	v_mul_f64 v[0:1], s[12:13], v[26:27]
	v_mul_f64 v[2:3], s[10:11], v[26:27]
	v_fma_f64 v[0:1], s[10:11], v[24:25], -v[0:1]
	v_fmac_f64_e32 v[2:3], s[12:13], v[24:25]
	s_and_b64 vcc, exec, s[0:1]
	v_lshl_add_u64 v[6:7], v[4:5], 4, v[8:9]
	s_cbranch_vccnz .LBB559_21
; %bb.20:
	flat_load_dwordx4 v[24:27], v[6:7]
	s_waitcnt vmcnt(0) lgkmcnt(0)
	v_mul_f64 v[28:29], s[28:29], v[26:27]
	v_mul_f64 v[26:27], s[26:27], v[26:27]
	v_fma_f64 v[28:29], s[26:27], v[24:25], -v[28:29]
	v_fmac_f64_e32 v[26:27], s[28:29], v[24:25]
	v_add_f64 v[0:1], v[0:1], v[28:29]
	v_add_f64 v[2:3], v[2:3], v[26:27]
.LBB559_21:
	flat_store_dwordx4 v[6:7], v[0:3]
.LBB559_22:
	s_or_b64 exec, exec, s[6:7]
	v_add_u32_e32 v6, 16, v4
	v_cmp_le_i32_e32 vcc, v6, v10
	s_and_b64 s[6:7], s[2:3], vcc
	v_ashrrev_i32_e32 v7, 31, v6
	s_and_saveexec_b64 s[2:3], s[6:7]
	s_cbranch_execz .LBB559_26
; %bb.23:
	v_mul_f64 v[0:1], s[12:13], v[22:23]
	v_mul_f64 v[2:3], s[10:11], v[22:23]
	v_fma_f64 v[0:1], s[10:11], v[20:21], -v[0:1]
	v_fmac_f64_e32 v[2:3], s[12:13], v[20:21]
	s_and_b64 vcc, exec, s[0:1]
	v_lshl_add_u64 v[8:9], v[6:7], 4, v[8:9]
	s_cbranch_vccnz .LBB559_25
; %bb.24:
	flat_load_dwordx4 v[20:23], v[8:9]
	s_waitcnt vmcnt(0) lgkmcnt(0)
	v_mul_f64 v[24:25], s[28:29], v[22:23]
	v_mul_f64 v[22:23], s[26:27], v[22:23]
	v_fma_f64 v[24:25], s[26:27], v[20:21], -v[24:25]
	v_fmac_f64_e32 v[22:23], s[28:29], v[20:21]
	v_add_f64 v[0:1], v[0:1], v[24:25]
	v_add_f64 v[2:3], v[2:3], v[22:23]
.LBB559_25:
	flat_store_dwordx4 v[8:9], v[0:3]
.LBB559_26:
	s_or_b64 exec, exec, s[2:3]
	v_add_u32_e32 v10, 16, v10
	v_ashrrev_i32_e32 v0, 31, v10
	v_mul_lo_u32 v2, s36, v0
	v_mul_lo_u32 v3, s37, v10
	v_mad_u64_u32 v[0:1], s[6:7], s36, v10, 0
	v_cmp_gt_i32_e64 s[2:3], s33, v10
	v_add3_u32 v1, v1, v2, v3
	v_cmp_le_i32_e32 vcc, v4, v10
	v_lshl_add_u64 v[8:9], v[0:1], 4, s[4:5]
	s_and_b64 s[6:7], s[2:3], vcc
	s_and_saveexec_b64 s[4:5], s[6:7]
	s_cbranch_execz .LBB559_30
; %bb.27:
	v_mul_f64 v[0:1], s[12:13], v[18:19]
	v_mul_f64 v[2:3], s[10:11], v[18:19]
	v_fma_f64 v[0:1], s[10:11], v[16:17], -v[0:1]
	v_fmac_f64_e32 v[2:3], s[12:13], v[16:17]
	s_and_b64 vcc, exec, s[0:1]
	v_lshl_add_u64 v[4:5], v[4:5], 4, v[8:9]
	s_cbranch_vccnz .LBB559_29
; %bb.28:
	flat_load_dwordx4 v[16:19], v[4:5]
	s_waitcnt vmcnt(0) lgkmcnt(0)
	v_mul_f64 v[20:21], s[28:29], v[18:19]
	v_mul_f64 v[18:19], s[26:27], v[18:19]
	v_fma_f64 v[20:21], s[26:27], v[16:17], -v[20:21]
	v_fmac_f64_e32 v[18:19], s[28:29], v[16:17]
	v_add_f64 v[0:1], v[0:1], v[20:21]
	v_add_f64 v[2:3], v[2:3], v[18:19]
.LBB559_29:
	flat_store_dwordx4 v[4:5], v[0:3]
.LBB559_30:
	s_or_b64 exec, exec, s[4:5]
	v_cmp_le_i32_e32 vcc, v6, v10
	s_and_b64 s[2:3], s[2:3], vcc
	s_and_saveexec_b64 s[4:5], s[2:3]
	s_cbranch_execz .LBB559_34
; %bb.31:
	v_mul_f64 v[0:1], s[12:13], v[12:13]
	v_mul_f64 v[2:3], s[10:11], v[12:13]
	v_fma_f64 v[0:1], s[10:11], v[14:15], -v[0:1]
	v_fmac_f64_e32 v[2:3], s[12:13], v[14:15]
	s_and_b64 vcc, exec, s[0:1]
	v_lshl_add_u64 v[4:5], v[6:7], 4, v[8:9]
	s_cbranch_vccnz .LBB559_33
; %bb.32:
	flat_load_dwordx4 v[6:9], v[4:5]
	s_waitcnt vmcnt(0) lgkmcnt(0)
	v_mul_f64 v[10:11], s[28:29], v[8:9]
	v_mul_f64 v[8:9], s[26:27], v[8:9]
	v_fma_f64 v[10:11], s[26:27], v[6:7], -v[10:11]
	v_fmac_f64_e32 v[8:9], s[28:29], v[6:7]
	v_add_f64 v[0:1], v[0:1], v[10:11]
	v_add_f64 v[2:3], v[2:3], v[8:9]
.LBB559_33:
	flat_store_dwordx4 v[4:5], v[0:3]
.LBB559_34:
	s_endpgm
	.section	.rodata,"a",@progbits
	.p2align	6, 0x0
	.amdhsa_kernel _ZL29rocblas_internal_gemmt_kernelIlLi16ELi32ELi8ELc78ELc84ELc85ELb0ELb0E19rocblas_complex_numIdES1_PKPKS1_PKPS1_EviT_T9_T10_S9_lSB_S9_lSA_T11_S9_li
		.amdhsa_group_segment_fixed_size 8192
		.amdhsa_private_segment_fixed_size 0
		.amdhsa_kernarg_size 124
		.amdhsa_user_sgpr_count 2
		.amdhsa_user_sgpr_dispatch_ptr 0
		.amdhsa_user_sgpr_queue_ptr 0
		.amdhsa_user_sgpr_kernarg_segment_ptr 1
		.amdhsa_user_sgpr_dispatch_id 0
		.amdhsa_user_sgpr_kernarg_preload_length 0
		.amdhsa_user_sgpr_kernarg_preload_offset 0
		.amdhsa_user_sgpr_private_segment_size 0
		.amdhsa_uses_dynamic_stack 0
		.amdhsa_enable_private_segment 0
		.amdhsa_system_sgpr_workgroup_id_x 1
		.amdhsa_system_sgpr_workgroup_id_y 1
		.amdhsa_system_sgpr_workgroup_id_z 1
		.amdhsa_system_sgpr_workgroup_info 0
		.amdhsa_system_vgpr_workitem_id 1
		.amdhsa_next_free_vgpr 66
		.amdhsa_next_free_sgpr 42
		.amdhsa_accum_offset 68
		.amdhsa_reserve_vcc 1
		.amdhsa_float_round_mode_32 0
		.amdhsa_float_round_mode_16_64 0
		.amdhsa_float_denorm_mode_32 3
		.amdhsa_float_denorm_mode_16_64 3
		.amdhsa_dx10_clamp 1
		.amdhsa_ieee_mode 1
		.amdhsa_fp16_overflow 0
		.amdhsa_tg_split 0
		.amdhsa_exception_fp_ieee_invalid_op 0
		.amdhsa_exception_fp_denorm_src 0
		.amdhsa_exception_fp_ieee_div_zero 0
		.amdhsa_exception_fp_ieee_overflow 0
		.amdhsa_exception_fp_ieee_underflow 0
		.amdhsa_exception_fp_ieee_inexact 0
		.amdhsa_exception_int_div_zero 0
	.end_amdhsa_kernel
	.section	.text._ZL29rocblas_internal_gemmt_kernelIlLi16ELi32ELi8ELc78ELc84ELc85ELb0ELb0E19rocblas_complex_numIdES1_PKPKS1_PKPS1_EviT_T9_T10_S9_lSB_S9_lSA_T11_S9_li,"axG",@progbits,_ZL29rocblas_internal_gemmt_kernelIlLi16ELi32ELi8ELc78ELc84ELc85ELb0ELb0E19rocblas_complex_numIdES1_PKPKS1_PKPS1_EviT_T9_T10_S9_lSB_S9_lSA_T11_S9_li,comdat
.Lfunc_end559:
	.size	_ZL29rocblas_internal_gemmt_kernelIlLi16ELi32ELi8ELc78ELc84ELc85ELb0ELb0E19rocblas_complex_numIdES1_PKPKS1_PKPS1_EviT_T9_T10_S9_lSB_S9_lSA_T11_S9_li, .Lfunc_end559-_ZL29rocblas_internal_gemmt_kernelIlLi16ELi32ELi8ELc78ELc84ELc85ELb0ELb0E19rocblas_complex_numIdES1_PKPKS1_PKPS1_EviT_T9_T10_S9_lSB_S9_lSA_T11_S9_li
                                        ; -- End function
	.set _ZL29rocblas_internal_gemmt_kernelIlLi16ELi32ELi8ELc78ELc84ELc85ELb0ELb0E19rocblas_complex_numIdES1_PKPKS1_PKPS1_EviT_T9_T10_S9_lSB_S9_lSA_T11_S9_li.num_vgpr, 66
	.set _ZL29rocblas_internal_gemmt_kernelIlLi16ELi32ELi8ELc78ELc84ELc85ELb0ELb0E19rocblas_complex_numIdES1_PKPKS1_PKPS1_EviT_T9_T10_S9_lSB_S9_lSA_T11_S9_li.num_agpr, 0
	.set _ZL29rocblas_internal_gemmt_kernelIlLi16ELi32ELi8ELc78ELc84ELc85ELb0ELb0E19rocblas_complex_numIdES1_PKPKS1_PKPS1_EviT_T9_T10_S9_lSB_S9_lSA_T11_S9_li.numbered_sgpr, 42
	.set _ZL29rocblas_internal_gemmt_kernelIlLi16ELi32ELi8ELc78ELc84ELc85ELb0ELb0E19rocblas_complex_numIdES1_PKPKS1_PKPS1_EviT_T9_T10_S9_lSB_S9_lSA_T11_S9_li.num_named_barrier, 0
	.set _ZL29rocblas_internal_gemmt_kernelIlLi16ELi32ELi8ELc78ELc84ELc85ELb0ELb0E19rocblas_complex_numIdES1_PKPKS1_PKPS1_EviT_T9_T10_S9_lSB_S9_lSA_T11_S9_li.private_seg_size, 0
	.set _ZL29rocblas_internal_gemmt_kernelIlLi16ELi32ELi8ELc78ELc84ELc85ELb0ELb0E19rocblas_complex_numIdES1_PKPKS1_PKPS1_EviT_T9_T10_S9_lSB_S9_lSA_T11_S9_li.uses_vcc, 1
	.set _ZL29rocblas_internal_gemmt_kernelIlLi16ELi32ELi8ELc78ELc84ELc85ELb0ELb0E19rocblas_complex_numIdES1_PKPKS1_PKPS1_EviT_T9_T10_S9_lSB_S9_lSA_T11_S9_li.uses_flat_scratch, 0
	.set _ZL29rocblas_internal_gemmt_kernelIlLi16ELi32ELi8ELc78ELc84ELc85ELb0ELb0E19rocblas_complex_numIdES1_PKPKS1_PKPS1_EviT_T9_T10_S9_lSB_S9_lSA_T11_S9_li.has_dyn_sized_stack, 0
	.set _ZL29rocblas_internal_gemmt_kernelIlLi16ELi32ELi8ELc78ELc84ELc85ELb0ELb0E19rocblas_complex_numIdES1_PKPKS1_PKPS1_EviT_T9_T10_S9_lSB_S9_lSA_T11_S9_li.has_recursion, 0
	.set _ZL29rocblas_internal_gemmt_kernelIlLi16ELi32ELi8ELc78ELc84ELc85ELb0ELb0E19rocblas_complex_numIdES1_PKPKS1_PKPS1_EviT_T9_T10_S9_lSB_S9_lSA_T11_S9_li.has_indirect_call, 0
	.section	.AMDGPU.csdata,"",@progbits
; Kernel info:
; codeLenInByte = 3228
; TotalNumSgprs: 48
; NumVgprs: 66
; NumAgprs: 0
; TotalNumVgprs: 66
; ScratchSize: 0
; MemoryBound: 0
; FloatMode: 240
; IeeeMode: 1
; LDSByteSize: 8192 bytes/workgroup (compile time only)
; SGPRBlocks: 5
; VGPRBlocks: 8
; NumSGPRsForWavesPerEU: 48
; NumVGPRsForWavesPerEU: 66
; AccumOffset: 68
; Occupancy: 7
; WaveLimiterHint : 1
; COMPUTE_PGM_RSRC2:SCRATCH_EN: 0
; COMPUTE_PGM_RSRC2:USER_SGPR: 2
; COMPUTE_PGM_RSRC2:TRAP_HANDLER: 0
; COMPUTE_PGM_RSRC2:TGID_X_EN: 1
; COMPUTE_PGM_RSRC2:TGID_Y_EN: 1
; COMPUTE_PGM_RSRC2:TGID_Z_EN: 1
; COMPUTE_PGM_RSRC2:TIDIG_COMP_CNT: 1
; COMPUTE_PGM_RSRC3_GFX90A:ACCUM_OFFSET: 16
; COMPUTE_PGM_RSRC3_GFX90A:TG_SPLIT: 0
	.section	.text._ZL29rocblas_internal_gemmt_kernelIlLi16ELi32ELi8ELc78ELc67ELc85ELb0ELb1E19rocblas_complex_numIdES1_PKPKS1_PKPS1_EviT_T9_T10_S9_lSB_S9_lSA_T11_S9_li,"axG",@progbits,_ZL29rocblas_internal_gemmt_kernelIlLi16ELi32ELi8ELc78ELc67ELc85ELb0ELb1E19rocblas_complex_numIdES1_PKPKS1_PKPS1_EviT_T9_T10_S9_lSB_S9_lSA_T11_S9_li,comdat
	.globl	_ZL29rocblas_internal_gemmt_kernelIlLi16ELi32ELi8ELc78ELc67ELc85ELb0ELb1E19rocblas_complex_numIdES1_PKPKS1_PKPS1_EviT_T9_T10_S9_lSB_S9_lSA_T11_S9_li ; -- Begin function _ZL29rocblas_internal_gemmt_kernelIlLi16ELi32ELi8ELc78ELc67ELc85ELb0ELb1E19rocblas_complex_numIdES1_PKPKS1_PKPS1_EviT_T9_T10_S9_lSB_S9_lSA_T11_S9_li
	.p2align	8
	.type	_ZL29rocblas_internal_gemmt_kernelIlLi16ELi32ELi8ELc78ELc67ELc85ELb0ELb1E19rocblas_complex_numIdES1_PKPKS1_PKPS1_EviT_T9_T10_S9_lSB_S9_lSA_T11_S9_li,@function
_ZL29rocblas_internal_gemmt_kernelIlLi16ELi32ELi8ELc78ELc67ELc85ELb0ELb1E19rocblas_complex_numIdES1_PKPKS1_PKPS1_EviT_T9_T10_S9_lSB_S9_lSA_T11_S9_li: ; @_ZL29rocblas_internal_gemmt_kernelIlLi16ELi32ELi8ELc78ELc67ELc85ELb0ELb1E19rocblas_complex_numIdES1_PKPKS1_PKPS1_EviT_T9_T10_S9_lSB_S9_lSA_T11_S9_li
; %bb.0:
	s_load_dwordx8 s[24:31], s[0:1], 0x48
	s_load_dwordx16 s[8:23], s[0:1], 0x8
	s_mov_b64 s[34:35], 0
	s_waitcnt lgkmcnt(0)
	v_cmp_eq_f64_e64 s[36:37], s[26:27], 1.0
	v_cmp_eq_f64_e64 s[6:7], s[28:29], 0
	s_and_b64 s[36:37], s[36:37], s[6:7]
	s_andn2_b64 vcc, exec, s[36:37]
	s_mov_b64 s[36:37], -1
	s_cbranch_vccnz .LBB560_4
; %bb.1:
	s_cmp_lg_u64 s[8:9], 0
	s_cbranch_scc0 .LBB560_3
; %bb.2:
	v_cmp_neq_f64_e64 s[34:35], s[10:11], 0
	v_cmp_neq_f64_e64 s[36:37], s[12:13], 0
	s_or_b64 s[34:35], s[34:35], s[36:37]
.LBB560_3:
	s_mov_b64 s[36:37], s[34:35]
.LBB560_4:
	s_and_b64 vcc, exec, s[36:37]
	s_cbranch_vccz .LBB560_32
; %bb.5:
	s_mov_b32 s5, 0
	s_load_dwordx4 s[36:39], s[0:1], 0x68
	s_load_dword s33, s[0:1], 0x0
	s_lshl_b64 s[0:1], s[4:5], 3
	s_add_u32 s4, s30, s0
	s_addc_u32 s5, s31, s1
	s_load_dwordx2 s[4:5], s[4:5], 0x0
	s_lshl_b32 s34, s2, 5
	s_lshl_b32 s35, s3, 5
	v_cmp_eq_f64_e64 s[2:3], s[10:11], 0
	v_cmp_eq_f64_e64 s[30:31], s[12:13], 0
	s_and_b64 s[2:3], s[2:3], s[30:31]
	v_cmp_lt_i64_e64 s[30:31], s[8:9], 1
	s_or_b64 s[2:3], s[2:3], s[30:31]
	v_and_b32_e32 v5, 0x3ff, v0
	v_bfe_u32 v7, v0, 10, 10
	v_mov_b64_e32 v[28:29], 0
	s_and_b64 vcc, exec, s[2:3]
	v_mov_b64_e32 v[30:31], 0
	v_mov_b64_e32 v[24:25], 0
	;; [unrolled: 1-line block ×7, first 2 shown]
	s_cbranch_vccnz .LBB560_16
; %bb.6:
	s_add_u32 s2, s20, s0
	s_addc_u32 s3, s21, s1
	s_load_dwordx2 s[2:3], s[2:3], 0x0
	s_lshl_b64 s[20:21], s[24:25], 4
	v_lshl_add_u32 v1, v7, 4, v5
	v_lshrrev_b32_e32 v6, 5, v1
	v_lshrrev_b32_e32 v10, 3, v1
	s_waitcnt lgkmcnt(0)
	s_add_u32 s20, s2, s20
	s_addc_u32 s21, s3, s21
	s_add_u32 s0, s14, s0
	s_addc_u32 s1, s15, s1
	s_load_dwordx2 s[0:1], s[0:1], 0x0
	v_and_b32_e32 v1, 31, v1
	v_and_b32_e32 v4, 7, v5
	v_or_b32_e32 v2, s34, v1
	v_lshlrev_b32_e32 v1, 4, v1
	s_lshl_b64 s[2:3], s[18:19], 4
	v_lshl_or_b32 v32, v6, 9, v1
	v_lshlrev_b32_e32 v1, 4, v4
	v_add_u32_e32 v0, s35, v10
	s_waitcnt lgkmcnt(0)
	s_add_u32 s2, s0, s2
	v_lshl_or_b32 v1, v10, 7, v1
	s_addc_u32 s3, s1, s3
	v_ashrrev_i32_e32 v3, 31, v2
	v_add_u32_e32 v33, 0x1000, v1
	v_ashrrev_i32_e32 v1, 31, v0
	v_lshl_add_u64 v[8:9], v[2:3], 4, s[2:3]
	v_cmp_gt_i32_e64 s[2:3], s33, v0
	v_lshl_add_u64 v[10:11], v[0:1], 4, s[20:21]
	v_mov_b32_e32 v0, 0x1000
	v_mov_b32_e32 v13, 0
	v_cmp_gt_i32_e64 s[0:1], s33, v2
	v_cmp_le_i32_e64 s[14:15], s33, v2
	v_lshlrev_b32_e32 v34, 4, v5
	v_lshl_add_u32 v35, v7, 7, v0
	v_mov_b64_e32 v[16:17], 0
	s_mov_b64 s[18:19], 0
	v_mov_b32_e32 v36, v13
	v_mov_b32_e32 v37, v13
	;; [unrolled: 1-line block ×4, first 2 shown]
	v_mov_b64_e32 v[18:19], 0
	v_mov_b64_e32 v[22:23], 0
	;; [unrolled: 1-line block ×7, first 2 shown]
                                        ; implicit-def: $vgpr14_vgpr15
	s_branch .LBB560_8
.LBB560_7:                              ;   in Loop: Header=BB560_8 Depth=1
	s_or_b64 exec, exec, s[20:21]
	ds_write_b128 v33, v[0:3]
	s_waitcnt lgkmcnt(0)
	s_barrier
	ds_read_b128 v[0:3], v34
	ds_read_b128 v[40:43], v35
	ds_read_b128 v[44:47], v35 offset:16
	ds_read_b128 v[48:51], v35 offset:32
	;; [unrolled: 1-line block ×4, first 2 shown]
	s_waitcnt lgkmcnt(4)
	v_mul_f64 v[60:61], v[42:43], v[2:3]
	v_fma_f64 v[60:61], v[40:41], v[0:1], -v[60:61]
	v_mul_f64 v[62:63], v[40:41], v[2:3]
	v_fmac_f64_e32 v[62:63], v[42:43], v[0:1]
	v_add_f64 v[60:61], v[28:29], v[60:61]
	s_waitcnt lgkmcnt(0)
	v_mul_f64 v[28:29], v[42:43], v[58:59]
	v_add_f64 v[62:63], v[62:63], v[30:31]
	v_fma_f64 v[64:65], v[40:41], v[56:57], -v[28:29]
	ds_read_b128 v[28:31], v35 offset:2048
	v_mul_f64 v[40:41], v[40:41], v[58:59]
	v_fmac_f64_e32 v[40:41], v[42:43], v[56:57]
	v_add_f64 v[42:43], v[24:25], v[64:65]
	v_add_f64 v[40:41], v[40:41], v[26:27]
	ds_read_b128 v[24:27], v35 offset:2064
	s_waitcnt lgkmcnt(1)
	v_mul_f64 v[64:65], v[30:31], v[2:3]
	v_mul_f64 v[2:3], v[28:29], v[2:3]
	v_fma_f64 v[64:65], v[28:29], v[0:1], -v[64:65]
	v_fmac_f64_e32 v[2:3], v[30:31], v[0:1]
	v_mul_f64 v[0:1], v[30:31], v[58:59]
	v_add_f64 v[20:21], v[20:21], v[64:65]
	v_add_f64 v[22:23], v[2:3], v[22:23]
	v_fma_f64 v[64:65], v[28:29], v[56:57], -v[0:1]
	v_mul_f64 v[28:29], v[28:29], v[58:59]
	ds_read_b128 v[0:3], v34 offset:512
	v_fmac_f64_e32 v[28:29], v[30:31], v[56:57]
	v_add_f64 v[30:31], v[18:19], v[64:65]
	v_add_f64 v[28:29], v[28:29], v[16:17]
	ds_read_b128 v[16:19], v34 offset:768
	s_waitcnt lgkmcnt(1)
	v_mul_f64 v[56:57], v[46:47], v[2:3]
	v_fma_f64 v[56:57], v[44:45], v[0:1], -v[56:57]
	v_add_f64 v[56:57], v[60:61], v[56:57]
	v_mul_f64 v[58:59], v[44:45], v[2:3]
	s_waitcnt lgkmcnt(0)
	v_mul_f64 v[60:61], v[46:47], v[18:19]
	v_fma_f64 v[60:61], v[44:45], v[16:17], -v[60:61]
	v_mul_f64 v[44:45], v[44:45], v[18:19]
	v_fmac_f64_e32 v[44:45], v[46:47], v[16:17]
	v_add_f64 v[40:41], v[44:45], v[40:41]
	v_mul_f64 v[44:45], v[26:27], v[2:3]
	v_mul_f64 v[2:3], v[24:25], v[2:3]
	v_fmac_f64_e32 v[58:59], v[46:47], v[0:1]
	v_fma_f64 v[44:45], v[24:25], v[0:1], -v[44:45]
	v_fmac_f64_e32 v[2:3], v[26:27], v[0:1]
	v_mul_f64 v[0:1], v[26:27], v[18:19]
	v_add_f64 v[44:45], v[20:21], v[44:45]
	v_add_f64 v[46:47], v[2:3], v[22:23]
	v_fma_f64 v[20:21], v[24:25], v[16:17], -v[0:1]
	v_mul_f64 v[18:19], v[24:25], v[18:19]
	ds_read_b128 v[0:3], v34 offset:1024
	v_fmac_f64_e32 v[18:19], v[26:27], v[16:17]
	v_add_f64 v[28:29], v[18:19], v[28:29]
	ds_read_b128 v[16:19], v34 offset:1280
	v_add_f64 v[30:31], v[30:31], v[20:21]
	s_waitcnt lgkmcnt(1)
	v_mul_f64 v[20:21], v[50:51], v[2:3]
	v_fma_f64 v[20:21], v[48:49], v[0:1], -v[20:21]
	v_mul_f64 v[22:23], v[48:49], v[2:3]
	v_add_f64 v[58:59], v[58:59], v[62:63]
	v_fmac_f64_e32 v[22:23], v[50:51], v[0:1]
	v_add_f64 v[56:57], v[56:57], v[20:21]
	s_waitcnt lgkmcnt(0)
	v_mul_f64 v[20:21], v[50:51], v[18:19]
	v_add_f64 v[58:59], v[22:23], v[58:59]
	v_fma_f64 v[24:25], v[48:49], v[16:17], -v[20:21]
	ds_read_b128 v[20:23], v35 offset:2080
	v_mul_f64 v[26:27], v[48:49], v[18:19]
	v_add_f64 v[42:43], v[42:43], v[60:61]
	v_fmac_f64_e32 v[26:27], v[50:51], v[16:17]
	v_add_f64 v[42:43], v[42:43], v[24:25]
	v_add_f64 v[40:41], v[26:27], v[40:41]
	ds_read_b128 v[24:27], v35 offset:2096
	s_waitcnt lgkmcnt(1)
	v_mul_f64 v[48:49], v[22:23], v[2:3]
	v_mul_f64 v[2:3], v[20:21], v[2:3]
	v_fma_f64 v[48:49], v[20:21], v[0:1], -v[48:49]
	v_fmac_f64_e32 v[2:3], v[22:23], v[0:1]
	v_mul_f64 v[0:1], v[22:23], v[18:19]
	v_mul_f64 v[18:19], v[20:21], v[18:19]
	v_fmac_f64_e32 v[18:19], v[22:23], v[16:17]
	v_add_f64 v[44:45], v[44:45], v[48:49]
	v_add_f64 v[46:47], v[2:3], v[46:47]
	v_fma_f64 v[48:49], v[20:21], v[16:17], -v[0:1]
	ds_read_b128 v[0:3], v34 offset:1536
	v_add_f64 v[22:23], v[18:19], v[28:29]
	ds_read_b128 v[16:19], v34 offset:1792
	v_add_f64 v[20:21], v[30:31], v[48:49]
	s_add_u32 s18, s18, 8
	s_waitcnt lgkmcnt(1)
	v_mul_f64 v[28:29], v[54:55], v[2:3]
	v_mul_f64 v[30:31], v[52:53], v[2:3]
	s_waitcnt lgkmcnt(0)
	v_mul_f64 v[48:49], v[54:55], v[18:19]
	v_fma_f64 v[48:49], v[52:53], v[16:17], -v[48:49]
	v_add_f64 v[42:43], v[42:43], v[48:49]
	v_mul_f64 v[48:49], v[26:27], v[2:3]
	v_mul_f64 v[2:3], v[24:25], v[2:3]
	v_fma_f64 v[28:29], v[52:53], v[0:1], -v[28:29]
	v_fmac_f64_e32 v[30:31], v[54:55], v[0:1]
	v_fma_f64 v[48:49], v[24:25], v[0:1], -v[48:49]
	v_fmac_f64_e32 v[2:3], v[26:27], v[0:1]
	v_mul_f64 v[0:1], v[26:27], v[18:19]
	v_mul_f64 v[50:51], v[52:53], v[18:19]
	v_add_f64 v[44:45], v[44:45], v[48:49]
	v_fma_f64 v[48:49], v[24:25], v[16:17], -v[0:1]
	v_mul_f64 v[24:25], v[24:25], v[18:19]
	v_fmac_f64_e32 v[50:51], v[54:55], v[16:17]
	v_add_f64 v[46:47], v[2:3], v[46:47]
	v_fmac_f64_e32 v[24:25], v[26:27], v[16:17]
	ds_read_b128 v[0:3], v35 offset:64
	ds_read_b128 v[16:19], v34 offset:2048
	v_add_f64 v[40:41], v[50:51], v[40:41]
	v_add_f64 v[48:49], v[20:21], v[48:49]
	;; [unrolled: 1-line block ×3, first 2 shown]
	ds_read_b128 v[20:23], v34 offset:2304
	ds_read_b128 v[24:27], v35 offset:80
	s_waitcnt lgkmcnt(2)
	v_mul_f64 v[52:53], v[2:3], v[18:19]
	v_add_f64 v[28:29], v[56:57], v[28:29]
	v_fma_f64 v[52:53], v[0:1], v[16:17], -v[52:53]
	v_mul_f64 v[54:55], v[0:1], v[18:19]
	v_add_f64 v[30:31], v[30:31], v[58:59]
	v_fmac_f64_e32 v[54:55], v[2:3], v[16:17]
	v_add_f64 v[52:53], v[28:29], v[52:53]
	s_waitcnt lgkmcnt(1)
	v_mul_f64 v[28:29], v[2:3], v[22:23]
	v_add_f64 v[54:55], v[54:55], v[30:31]
	v_fma_f64 v[56:57], v[0:1], v[20:21], -v[28:29]
	ds_read_b128 v[28:31], v35 offset:2112
	v_mul_f64 v[0:1], v[0:1], v[22:23]
	v_fmac_f64_e32 v[0:1], v[2:3], v[20:21]
	v_add_f64 v[42:43], v[42:43], v[56:57]
	v_add_f64 v[40:41], v[0:1], v[40:41]
	ds_read_b128 v[0:3], v35 offset:2128
	s_waitcnt lgkmcnt(1)
	v_mul_f64 v[56:57], v[30:31], v[18:19]
	v_mul_f64 v[18:19], v[28:29], v[18:19]
	v_fma_f64 v[56:57], v[28:29], v[16:17], -v[56:57]
	v_fmac_f64_e32 v[18:19], v[30:31], v[16:17]
	v_mul_f64 v[16:17], v[30:31], v[22:23]
	v_add_f64 v[44:45], v[44:45], v[56:57]
	v_add_f64 v[46:47], v[18:19], v[46:47]
	v_fma_f64 v[56:57], v[28:29], v[20:21], -v[16:17]
	v_mul_f64 v[22:23], v[28:29], v[22:23]
	ds_read_b128 v[16:19], v34 offset:2560
	v_fmac_f64_e32 v[22:23], v[30:31], v[20:21]
	v_add_f64 v[30:31], v[22:23], v[50:51]
	ds_read_b128 v[20:23], v34 offset:2816
	v_add_f64 v[28:29], v[48:49], v[56:57]
	s_waitcnt lgkmcnt(1)
	v_mul_f64 v[48:49], v[26:27], v[18:19]
	v_fma_f64 v[48:49], v[24:25], v[16:17], -v[48:49]
	v_add_f64 v[48:49], v[52:53], v[48:49]
	s_waitcnt lgkmcnt(0)
	v_mul_f64 v[52:53], v[26:27], v[22:23]
	v_mul_f64 v[50:51], v[24:25], v[18:19]
	v_fma_f64 v[52:53], v[24:25], v[20:21], -v[52:53]
	v_mul_f64 v[24:25], v[24:25], v[22:23]
	v_fmac_f64_e32 v[24:25], v[26:27], v[20:21]
	v_add_f64 v[40:41], v[24:25], v[40:41]
	v_mul_f64 v[24:25], v[2:3], v[18:19]
	v_mul_f64 v[18:19], v[0:1], v[18:19]
	v_fmac_f64_e32 v[50:51], v[26:27], v[16:17]
	v_fma_f64 v[24:25], v[0:1], v[16:17], -v[24:25]
	v_fmac_f64_e32 v[18:19], v[2:3], v[16:17]
	v_mul_f64 v[16:17], v[2:3], v[22:23]
	v_mul_f64 v[22:23], v[0:1], v[22:23]
	v_add_f64 v[44:45], v[44:45], v[24:25]
	v_add_f64 v[46:47], v[18:19], v[46:47]
	v_fma_f64 v[24:25], v[0:1], v[20:21], -v[16:17]
	v_fmac_f64_e32 v[22:23], v[2:3], v[20:21]
	ds_read_b128 v[0:3], v35 offset:96
	ds_read_b128 v[16:19], v34 offset:3072
	v_add_f64 v[50:51], v[50:51], v[54:55]
	v_add_f64 v[42:43], v[42:43], v[52:53]
	;; [unrolled: 1-line block ×4, first 2 shown]
	ds_read_b128 v[20:23], v34 offset:3328
	ds_read_b128 v[24:27], v35 offset:112
	s_waitcnt lgkmcnt(2)
	v_mul_f64 v[28:29], v[2:3], v[18:19]
	v_fma_f64 v[28:29], v[0:1], v[16:17], -v[28:29]
	v_mul_f64 v[30:31], v[0:1], v[18:19]
	v_fmac_f64_e32 v[30:31], v[2:3], v[16:17]
	v_add_f64 v[48:49], v[48:49], v[28:29]
	s_waitcnt lgkmcnt(1)
	v_mul_f64 v[28:29], v[2:3], v[22:23]
	v_add_f64 v[50:51], v[30:31], v[50:51]
	v_fma_f64 v[56:57], v[0:1], v[20:21], -v[28:29]
	ds_read_b128 v[28:31], v35 offset:2144
	v_mul_f64 v[0:1], v[0:1], v[22:23]
	v_fmac_f64_e32 v[0:1], v[2:3], v[20:21]
	v_add_f64 v[58:59], v[0:1], v[40:41]
	ds_read_b128 v[0:3], v35 offset:2160
	s_waitcnt lgkmcnt(1)
	v_mul_f64 v[40:41], v[30:31], v[18:19]
	v_mul_f64 v[18:19], v[28:29], v[18:19]
	v_fma_f64 v[40:41], v[28:29], v[16:17], -v[40:41]
	v_fmac_f64_e32 v[18:19], v[30:31], v[16:17]
	v_mul_f64 v[16:17], v[30:31], v[22:23]
	v_add_f64 v[44:45], v[44:45], v[40:41]
	v_add_f64 v[46:47], v[18:19], v[46:47]
	v_fma_f64 v[40:41], v[28:29], v[20:21], -v[16:17]
	ds_read_b128 v[16:19], v34 offset:3584
	v_add_f64 v[56:57], v[42:43], v[56:57]
	v_add_f64 v[52:53], v[52:53], v[40:41]
	ds_read_b128 v[40:43], v34 offset:3840
	v_mul_f64 v[22:23], v[28:29], v[22:23]
	v_fmac_f64_e32 v[22:23], v[30:31], v[20:21]
	s_waitcnt lgkmcnt(1)
	v_mul_f64 v[20:21], v[26:27], v[18:19]
	v_fma_f64 v[20:21], v[24:25], v[16:17], -v[20:21]
	v_add_f64 v[54:55], v[22:23], v[54:55]
	v_mul_f64 v[22:23], v[24:25], v[18:19]
	v_add_f64 v[28:29], v[48:49], v[20:21]
	s_waitcnt lgkmcnt(0)
	v_mul_f64 v[20:21], v[26:27], v[42:43]
	v_fmac_f64_e32 v[22:23], v[26:27], v[16:17]
	v_fma_f64 v[20:21], v[24:25], v[40:41], -v[20:21]
	v_add_f64 v[30:31], v[22:23], v[50:51]
	v_mul_f64 v[22:23], v[24:25], v[42:43]
	v_add_f64 v[24:25], v[56:57], v[20:21]
	v_mul_f64 v[20:21], v[2:3], v[18:19]
	v_mul_f64 v[18:19], v[0:1], v[18:19]
	v_fma_f64 v[20:21], v[0:1], v[16:17], -v[20:21]
	v_fmac_f64_e32 v[18:19], v[2:3], v[16:17]
	v_mul_f64 v[16:17], v[2:3], v[42:43]
	v_fma_f64 v[16:17], v[0:1], v[40:41], -v[16:17]
	v_mul_f64 v[0:1], v[0:1], v[42:43]
	v_fmac_f64_e32 v[22:23], v[26:27], v[40:41]
	v_fmac_f64_e32 v[0:1], v[2:3], v[40:41]
	s_addc_u32 s19, s19, 0
	v_add_f64 v[26:27], v[22:23], v[58:59]
	v_add_f64 v[22:23], v[18:19], v[46:47]
	;; [unrolled: 1-line block ×4, first 2 shown]
	v_mov_b64_e32 v[0:1], s[18:19]
	v_cmp_gt_i64_e32 vcc, s[8:9], v[0:1]
	v_add_f64 v[20:21], v[44:45], v[20:21]
	s_barrier
	s_cbranch_vccz .LBB560_16
.LBB560_8:                              ; =>This Inner Loop Header: Depth=1
	s_mov_b64 s[30:31], s[14:15]
	s_mov_b64 s[20:21], 0
	s_and_saveexec_b64 s[24:25], s[0:1]
	s_cbranch_execnz .LBB560_14
; %bb.9:                                ;   in Loop: Header=BB560_8 Depth=1
	s_or_b64 exec, exec, s[24:25]
	s_and_saveexec_b64 s[24:25], s[30:31]
	s_xor_b64 s[24:25], exec, s[24:25]
	s_cbranch_execnz .LBB560_15
.LBB560_10:                             ;   in Loop: Header=BB560_8 Depth=1
	s_or_b64 exec, exec, s[24:25]
	s_and_saveexec_b64 s[24:25], s[20:21]
	s_cbranch_execz .LBB560_12
.LBB560_11:                             ;   in Loop: Header=BB560_8 Depth=1
	v_mul_lo_u32 v2, s17, v14
	v_mul_lo_u32 v3, s16, v15
	v_mad_u64_u32 v[0:1], s[20:21], s16, v14, 0
	v_add3_u32 v1, v1, v3, v2
	v_lshl_add_u64 v[0:1], v[0:1], 4, v[8:9]
	flat_load_dwordx4 v[0:3], v[0:1]
	s_waitcnt vmcnt(0) lgkmcnt(0)
	ds_write2_b64 v32, v[0:1], v[2:3] offset1:1
.LBB560_12:                             ;   in Loop: Header=BB560_8 Depth=1
	s_or_b64 exec, exec, s[24:25]
	v_add_u32_e32 v12, s18, v4
	v_cmp_gt_u64_e32 vcc, s[8:9], v[12:13]
	s_and_b64 s[24:25], vcc, s[2:3]
	v_mov_b64_e32 v[0:1], 0
	v_mov_b64_e32 v[2:3], 0
	s_and_saveexec_b64 s[20:21], s[24:25]
	s_cbranch_execz .LBB560_7
; %bb.13:                               ;   in Loop: Header=BB560_8 Depth=1
	v_mad_u64_u32 v[0:1], s[24:25], s22, v12, 0
	v_mov_b32_e32 v2, v1
	v_mad_u64_u32 v[2:3], s[24:25], s23, v12, v[2:3]
	v_mov_b32_e32 v1, v2
	v_lshl_add_u64 v[0:1], v[0:1], 4, v[10:11]
	flat_load_dwordx4 v[0:3], v[0:1]
	s_waitcnt vmcnt(0) lgkmcnt(0)
	v_xor_b32_e32 v3, 0x80000000, v3
	s_branch .LBB560_7
.LBB560_14:                             ;   in Loop: Header=BB560_8 Depth=1
	v_add_u32_e32 v12, s18, v6
	v_cmp_le_u64_e32 vcc, s[8:9], v[12:13]
	s_andn2_b64 s[30:31], s[14:15], exec
	s_and_b64 s[40:41], vcc, exec
	s_mov_b64 s[20:21], exec
	s_or_b64 s[30:31], s[30:31], s[40:41]
	v_mov_b64_e32 v[14:15], v[12:13]
	s_or_b64 exec, exec, s[24:25]
	s_and_saveexec_b64 s[24:25], s[30:31]
	s_xor_b64 s[24:25], exec, s[24:25]
	s_cbranch_execz .LBB560_10
.LBB560_15:                             ;   in Loop: Header=BB560_8 Depth=1
	ds_write_b128 v32, v[36:39]
	s_andn2_b64 s[20:21], s[20:21], exec
	s_or_b64 exec, exec, s[24:25]
	s_and_saveexec_b64 s[24:25], s[20:21]
	s_cbranch_execnz .LBB560_11
	s_branch .LBB560_12
.LBB560_16:
	s_waitcnt lgkmcnt(0)
	s_lshl_b64 s[0:1], s[38:39], 4
	v_add_u32_e32 v10, s35, v7
	s_add_u32 s4, s4, s0
	v_ashrrev_i32_e32 v0, 31, v10
	s_addc_u32 s5, s5, s1
	v_cmp_neq_f64_e64 s[0:1], s[26:27], 0
	s_xor_b64 s[6:7], s[6:7], -1
	v_mul_lo_u32 v2, s36, v0
	v_mul_lo_u32 v3, s37, v10
	v_mad_u64_u32 v[0:1], s[8:9], s36, v10, 0
	v_add_u32_e32 v4, s34, v5
	v_add3_u32 v1, v1, v2, v3
	s_or_b64 s[0:1], s[0:1], s[6:7]
	v_cmp_gt_i32_e64 s[2:3], s33, v10
	v_lshl_add_u64 v[8:9], v[0:1], 4, s[4:5]
	v_cmp_le_i32_e32 vcc, v4, v10
	v_cndmask_b32_e64 v0, 0, 1, s[0:1]
	s_and_b64 s[8:9], s[2:3], vcc
	v_ashrrev_i32_e32 v5, 31, v4
	v_cmp_ne_u32_e64 s[0:1], 1, v0
	s_and_saveexec_b64 s[6:7], s[8:9]
	s_cbranch_execz .LBB560_20
; %bb.17:
	v_mul_f64 v[0:1], s[12:13], v[30:31]
	v_mul_f64 v[2:3], s[10:11], v[30:31]
	v_fma_f64 v[0:1], s[10:11], v[28:29], -v[0:1]
	v_fmac_f64_e32 v[2:3], s[12:13], v[28:29]
	s_and_b64 vcc, exec, s[0:1]
	v_lshl_add_u64 v[6:7], v[4:5], 4, v[8:9]
	s_cbranch_vccnz .LBB560_19
; %bb.18:
	flat_load_dwordx4 v[12:15], v[6:7]
	s_waitcnt vmcnt(0) lgkmcnt(0)
	v_mul_f64 v[28:29], s[28:29], v[14:15]
	v_mul_f64 v[14:15], s[26:27], v[14:15]
	v_fma_f64 v[28:29], s[26:27], v[12:13], -v[28:29]
	v_fmac_f64_e32 v[14:15], s[28:29], v[12:13]
	v_add_f64 v[0:1], v[0:1], v[28:29]
	v_add_f64 v[2:3], v[2:3], v[14:15]
.LBB560_19:
	flat_store_dwordx4 v[6:7], v[0:3]
.LBB560_20:
	s_or_b64 exec, exec, s[6:7]
	v_add_u32_e32 v6, 16, v4
	v_cmp_le_i32_e32 vcc, v6, v10
	s_and_b64 s[6:7], s[2:3], vcc
	v_ashrrev_i32_e32 v7, 31, v6
	s_and_saveexec_b64 s[2:3], s[6:7]
	s_cbranch_execz .LBB560_24
; %bb.21:
	v_mul_f64 v[0:1], s[12:13], v[26:27]
	v_mul_f64 v[2:3], s[10:11], v[26:27]
	v_fma_f64 v[0:1], s[10:11], v[24:25], -v[0:1]
	v_fmac_f64_e32 v[2:3], s[12:13], v[24:25]
	s_and_b64 vcc, exec, s[0:1]
	v_lshl_add_u64 v[8:9], v[6:7], 4, v[8:9]
	s_cbranch_vccnz .LBB560_23
; %bb.22:
	flat_load_dwordx4 v[12:15], v[8:9]
	s_waitcnt vmcnt(0) lgkmcnt(0)
	v_mul_f64 v[24:25], s[28:29], v[14:15]
	v_mul_f64 v[14:15], s[26:27], v[14:15]
	v_fma_f64 v[24:25], s[26:27], v[12:13], -v[24:25]
	v_fmac_f64_e32 v[14:15], s[28:29], v[12:13]
	v_add_f64 v[0:1], v[0:1], v[24:25]
	v_add_f64 v[2:3], v[2:3], v[14:15]
.LBB560_23:
	flat_store_dwordx4 v[8:9], v[0:3]
.LBB560_24:
	s_or_b64 exec, exec, s[2:3]
	v_add_u32_e32 v10, 16, v10
	v_ashrrev_i32_e32 v0, 31, v10
	v_mul_lo_u32 v2, s36, v0
	v_mul_lo_u32 v3, s37, v10
	v_mad_u64_u32 v[0:1], s[6:7], s36, v10, 0
	v_cmp_gt_i32_e64 s[2:3], s33, v10
	v_add3_u32 v1, v1, v2, v3
	v_cmp_le_i32_e32 vcc, v4, v10
	v_lshl_add_u64 v[8:9], v[0:1], 4, s[4:5]
	s_and_b64 s[6:7], s[2:3], vcc
	s_and_saveexec_b64 s[4:5], s[6:7]
	s_cbranch_execz .LBB560_28
; %bb.25:
	v_mul_f64 v[0:1], s[12:13], v[22:23]
	v_mul_f64 v[2:3], s[10:11], v[22:23]
	v_fma_f64 v[0:1], s[10:11], v[20:21], -v[0:1]
	v_fmac_f64_e32 v[2:3], s[12:13], v[20:21]
	s_and_b64 vcc, exec, s[0:1]
	v_lshl_add_u64 v[4:5], v[4:5], 4, v[8:9]
	s_cbranch_vccnz .LBB560_27
; %bb.26:
	flat_load_dwordx4 v[12:15], v[4:5]
	s_waitcnt vmcnt(0) lgkmcnt(0)
	v_mul_f64 v[20:21], s[28:29], v[14:15]
	v_mul_f64 v[14:15], s[26:27], v[14:15]
	v_fma_f64 v[20:21], s[26:27], v[12:13], -v[20:21]
	v_fmac_f64_e32 v[14:15], s[28:29], v[12:13]
	v_add_f64 v[0:1], v[0:1], v[20:21]
	v_add_f64 v[2:3], v[2:3], v[14:15]
.LBB560_27:
	flat_store_dwordx4 v[4:5], v[0:3]
.LBB560_28:
	s_or_b64 exec, exec, s[4:5]
	v_cmp_le_i32_e32 vcc, v6, v10
	s_and_b64 s[2:3], s[2:3], vcc
	s_and_saveexec_b64 s[4:5], s[2:3]
	s_cbranch_execz .LBB560_32
; %bb.29:
	v_mul_f64 v[0:1], s[12:13], v[16:17]
	v_mul_f64 v[2:3], s[10:11], v[16:17]
	v_fma_f64 v[0:1], s[10:11], v[18:19], -v[0:1]
	v_fmac_f64_e32 v[2:3], s[12:13], v[18:19]
	s_and_b64 vcc, exec, s[0:1]
	v_lshl_add_u64 v[4:5], v[6:7], 4, v[8:9]
	s_cbranch_vccnz .LBB560_31
; %bb.30:
	flat_load_dwordx4 v[6:9], v[4:5]
	s_waitcnt vmcnt(0) lgkmcnt(0)
	v_mul_f64 v[10:11], s[28:29], v[8:9]
	v_mul_f64 v[8:9], s[26:27], v[8:9]
	v_fma_f64 v[10:11], s[26:27], v[6:7], -v[10:11]
	v_fmac_f64_e32 v[8:9], s[28:29], v[6:7]
	v_add_f64 v[0:1], v[0:1], v[10:11]
	v_add_f64 v[2:3], v[2:3], v[8:9]
.LBB560_31:
	flat_store_dwordx4 v[4:5], v[0:3]
.LBB560_32:
	s_endpgm
	.section	.rodata,"a",@progbits
	.p2align	6, 0x0
	.amdhsa_kernel _ZL29rocblas_internal_gemmt_kernelIlLi16ELi32ELi8ELc78ELc67ELc85ELb0ELb1E19rocblas_complex_numIdES1_PKPKS1_PKPS1_EviT_T9_T10_S9_lSB_S9_lSA_T11_S9_li
		.amdhsa_group_segment_fixed_size 8192
		.amdhsa_private_segment_fixed_size 0
		.amdhsa_kernarg_size 124
		.amdhsa_user_sgpr_count 2
		.amdhsa_user_sgpr_dispatch_ptr 0
		.amdhsa_user_sgpr_queue_ptr 0
		.amdhsa_user_sgpr_kernarg_segment_ptr 1
		.amdhsa_user_sgpr_dispatch_id 0
		.amdhsa_user_sgpr_kernarg_preload_length 0
		.amdhsa_user_sgpr_kernarg_preload_offset 0
		.amdhsa_user_sgpr_private_segment_size 0
		.amdhsa_uses_dynamic_stack 0
		.amdhsa_enable_private_segment 0
		.amdhsa_system_sgpr_workgroup_id_x 1
		.amdhsa_system_sgpr_workgroup_id_y 1
		.amdhsa_system_sgpr_workgroup_id_z 1
		.amdhsa_system_sgpr_workgroup_info 0
		.amdhsa_system_vgpr_workitem_id 1
		.amdhsa_next_free_vgpr 66
		.amdhsa_next_free_sgpr 42
		.amdhsa_accum_offset 68
		.amdhsa_reserve_vcc 1
		.amdhsa_float_round_mode_32 0
		.amdhsa_float_round_mode_16_64 0
		.amdhsa_float_denorm_mode_32 3
		.amdhsa_float_denorm_mode_16_64 3
		.amdhsa_dx10_clamp 1
		.amdhsa_ieee_mode 1
		.amdhsa_fp16_overflow 0
		.amdhsa_tg_split 0
		.amdhsa_exception_fp_ieee_invalid_op 0
		.amdhsa_exception_fp_denorm_src 0
		.amdhsa_exception_fp_ieee_div_zero 0
		.amdhsa_exception_fp_ieee_overflow 0
		.amdhsa_exception_fp_ieee_underflow 0
		.amdhsa_exception_fp_ieee_inexact 0
		.amdhsa_exception_int_div_zero 0
	.end_amdhsa_kernel
	.section	.text._ZL29rocblas_internal_gemmt_kernelIlLi16ELi32ELi8ELc78ELc67ELc85ELb0ELb1E19rocblas_complex_numIdES1_PKPKS1_PKPS1_EviT_T9_T10_S9_lSB_S9_lSA_T11_S9_li,"axG",@progbits,_ZL29rocblas_internal_gemmt_kernelIlLi16ELi32ELi8ELc78ELc67ELc85ELb0ELb1E19rocblas_complex_numIdES1_PKPKS1_PKPS1_EviT_T9_T10_S9_lSB_S9_lSA_T11_S9_li,comdat
.Lfunc_end560:
	.size	_ZL29rocblas_internal_gemmt_kernelIlLi16ELi32ELi8ELc78ELc67ELc85ELb0ELb1E19rocblas_complex_numIdES1_PKPKS1_PKPS1_EviT_T9_T10_S9_lSB_S9_lSA_T11_S9_li, .Lfunc_end560-_ZL29rocblas_internal_gemmt_kernelIlLi16ELi32ELi8ELc78ELc67ELc85ELb0ELb1E19rocblas_complex_numIdES1_PKPKS1_PKPS1_EviT_T9_T10_S9_lSB_S9_lSA_T11_S9_li
                                        ; -- End function
	.set _ZL29rocblas_internal_gemmt_kernelIlLi16ELi32ELi8ELc78ELc67ELc85ELb0ELb1E19rocblas_complex_numIdES1_PKPKS1_PKPS1_EviT_T9_T10_S9_lSB_S9_lSA_T11_S9_li.num_vgpr, 66
	.set _ZL29rocblas_internal_gemmt_kernelIlLi16ELi32ELi8ELc78ELc67ELc85ELb0ELb1E19rocblas_complex_numIdES1_PKPKS1_PKPS1_EviT_T9_T10_S9_lSB_S9_lSA_T11_S9_li.num_agpr, 0
	.set _ZL29rocblas_internal_gemmt_kernelIlLi16ELi32ELi8ELc78ELc67ELc85ELb0ELb1E19rocblas_complex_numIdES1_PKPKS1_PKPS1_EviT_T9_T10_S9_lSB_S9_lSA_T11_S9_li.numbered_sgpr, 42
	.set _ZL29rocblas_internal_gemmt_kernelIlLi16ELi32ELi8ELc78ELc67ELc85ELb0ELb1E19rocblas_complex_numIdES1_PKPKS1_PKPS1_EviT_T9_T10_S9_lSB_S9_lSA_T11_S9_li.num_named_barrier, 0
	.set _ZL29rocblas_internal_gemmt_kernelIlLi16ELi32ELi8ELc78ELc67ELc85ELb0ELb1E19rocblas_complex_numIdES1_PKPKS1_PKPS1_EviT_T9_T10_S9_lSB_S9_lSA_T11_S9_li.private_seg_size, 0
	.set _ZL29rocblas_internal_gemmt_kernelIlLi16ELi32ELi8ELc78ELc67ELc85ELb0ELb1E19rocblas_complex_numIdES1_PKPKS1_PKPS1_EviT_T9_T10_S9_lSB_S9_lSA_T11_S9_li.uses_vcc, 1
	.set _ZL29rocblas_internal_gemmt_kernelIlLi16ELi32ELi8ELc78ELc67ELc85ELb0ELb1E19rocblas_complex_numIdES1_PKPKS1_PKPS1_EviT_T9_T10_S9_lSB_S9_lSA_T11_S9_li.uses_flat_scratch, 0
	.set _ZL29rocblas_internal_gemmt_kernelIlLi16ELi32ELi8ELc78ELc67ELc85ELb0ELb1E19rocblas_complex_numIdES1_PKPKS1_PKPS1_EviT_T9_T10_S9_lSB_S9_lSA_T11_S9_li.has_dyn_sized_stack, 0
	.set _ZL29rocblas_internal_gemmt_kernelIlLi16ELi32ELi8ELc78ELc67ELc85ELb0ELb1E19rocblas_complex_numIdES1_PKPKS1_PKPS1_EviT_T9_T10_S9_lSB_S9_lSA_T11_S9_li.has_recursion, 0
	.set _ZL29rocblas_internal_gemmt_kernelIlLi16ELi32ELi8ELc78ELc67ELc85ELb0ELb1E19rocblas_complex_numIdES1_PKPKS1_PKPS1_EviT_T9_T10_S9_lSB_S9_lSA_T11_S9_li.has_indirect_call, 0
	.section	.AMDGPU.csdata,"",@progbits
; Kernel info:
; codeLenInByte = 3228
; TotalNumSgprs: 48
; NumVgprs: 66
; NumAgprs: 0
; TotalNumVgprs: 66
; ScratchSize: 0
; MemoryBound: 1
; FloatMode: 240
; IeeeMode: 1
; LDSByteSize: 8192 bytes/workgroup (compile time only)
; SGPRBlocks: 5
; VGPRBlocks: 8
; NumSGPRsForWavesPerEU: 48
; NumVGPRsForWavesPerEU: 66
; AccumOffset: 68
; Occupancy: 7
; WaveLimiterHint : 1
; COMPUTE_PGM_RSRC2:SCRATCH_EN: 0
; COMPUTE_PGM_RSRC2:USER_SGPR: 2
; COMPUTE_PGM_RSRC2:TRAP_HANDLER: 0
; COMPUTE_PGM_RSRC2:TGID_X_EN: 1
; COMPUTE_PGM_RSRC2:TGID_Y_EN: 1
; COMPUTE_PGM_RSRC2:TGID_Z_EN: 1
; COMPUTE_PGM_RSRC2:TIDIG_COMP_CNT: 1
; COMPUTE_PGM_RSRC3_GFX90A:ACCUM_OFFSET: 16
; COMPUTE_PGM_RSRC3_GFX90A:TG_SPLIT: 0
	.section	.text._ZL29rocblas_internal_gemmt_kernelIlLi16ELi32ELi8ELc84ELc78ELc85ELb0ELb0E19rocblas_complex_numIdES1_PKPKS1_PKPS1_EviT_T9_T10_S9_lSB_S9_lSA_T11_S9_li,"axG",@progbits,_ZL29rocblas_internal_gemmt_kernelIlLi16ELi32ELi8ELc84ELc78ELc85ELb0ELb0E19rocblas_complex_numIdES1_PKPKS1_PKPS1_EviT_T9_T10_S9_lSB_S9_lSA_T11_S9_li,comdat
	.globl	_ZL29rocblas_internal_gemmt_kernelIlLi16ELi32ELi8ELc84ELc78ELc85ELb0ELb0E19rocblas_complex_numIdES1_PKPKS1_PKPS1_EviT_T9_T10_S9_lSB_S9_lSA_T11_S9_li ; -- Begin function _ZL29rocblas_internal_gemmt_kernelIlLi16ELi32ELi8ELc84ELc78ELc85ELb0ELb0E19rocblas_complex_numIdES1_PKPKS1_PKPS1_EviT_T9_T10_S9_lSB_S9_lSA_T11_S9_li
	.p2align	8
	.type	_ZL29rocblas_internal_gemmt_kernelIlLi16ELi32ELi8ELc84ELc78ELc85ELb0ELb0E19rocblas_complex_numIdES1_PKPKS1_PKPS1_EviT_T9_T10_S9_lSB_S9_lSA_T11_S9_li,@function
_ZL29rocblas_internal_gemmt_kernelIlLi16ELi32ELi8ELc84ELc78ELc85ELb0ELb0E19rocblas_complex_numIdES1_PKPKS1_PKPS1_EviT_T9_T10_S9_lSB_S9_lSA_T11_S9_li: ; @_ZL29rocblas_internal_gemmt_kernelIlLi16ELi32ELi8ELc84ELc78ELc85ELb0ELb0E19rocblas_complex_numIdES1_PKPKS1_PKPS1_EviT_T9_T10_S9_lSB_S9_lSA_T11_S9_li
; %bb.0:
	s_load_dwordx8 s[24:31], s[0:1], 0x48
	s_load_dwordx16 s[8:23], s[0:1], 0x8
	s_mov_b64 s[34:35], 0
	s_waitcnt lgkmcnt(0)
	v_cmp_eq_f64_e64 s[36:37], s[26:27], 1.0
	v_cmp_eq_f64_e64 s[6:7], s[28:29], 0
	s_and_b64 s[36:37], s[36:37], s[6:7]
	s_andn2_b64 vcc, exec, s[36:37]
	s_mov_b64 s[36:37], -1
	s_cbranch_vccnz .LBB561_4
; %bb.1:
	s_cmp_lg_u64 s[8:9], 0
	s_cbranch_scc0 .LBB561_3
; %bb.2:
	v_cmp_neq_f64_e64 s[34:35], s[10:11], 0
	v_cmp_neq_f64_e64 s[36:37], s[12:13], 0
	s_or_b64 s[34:35], s[34:35], s[36:37]
.LBB561_3:
	s_mov_b64 s[36:37], s[34:35]
.LBB561_4:
	s_and_b64 vcc, exec, s[36:37]
	s_cbranch_vccz .LBB561_34
; %bb.5:
	s_mov_b32 s5, 0
	s_load_dwordx4 s[36:39], s[0:1], 0x68
	s_load_dword s33, s[0:1], 0x0
	s_lshl_b64 s[0:1], s[4:5], 3
	s_add_u32 s4, s30, s0
	s_addc_u32 s5, s31, s1
	s_load_dwordx2 s[4:5], s[4:5], 0x0
	s_lshl_b32 s30, s2, 5
	s_lshl_b32 s31, s3, 5
	v_cmp_eq_f64_e64 s[2:3], s[10:11], 0
	v_cmp_eq_f64_e64 s[34:35], s[12:13], 0
	s_and_b64 s[2:3], s[2:3], s[34:35]
	v_cmp_lt_i64_e64 s[34:35], s[8:9], 1
	s_or_b64 s[2:3], s[2:3], s[34:35]
	v_and_b32_e32 v1, 0x3ff, v0
	v_bfe_u32 v3, v0, 10, 10
	v_mov_b64_e32 v[24:25], 0
	s_and_b64 vcc, exec, s[2:3]
	v_mov_b64_e32 v[26:27], 0
	v_mov_b64_e32 v[20:21], 0
	;; [unrolled: 1-line block ×7, first 2 shown]
	s_cbranch_vccnz .LBB561_18
; %bb.6:
	s_add_u32 s2, s20, s0
	s_addc_u32 s3, s21, s1
	s_load_dwordx2 s[2:3], s[2:3], 0x0
	s_lshl_b64 s[20:21], s[24:25], 4
	v_lshl_add_u32 v4, v3, 4, v1
	v_lshrrev_b32_e32 v2, 5, v4
	v_lshrrev_b32_e32 v6, 3, v4
	s_waitcnt lgkmcnt(0)
	s_add_u32 s20, s2, s20
	s_addc_u32 s21, s3, s21
	s_add_u32 s0, s14, s0
	s_addc_u32 s1, s15, s1
	s_load_dwordx2 s[0:1], s[0:1], 0x0
	s_lshl_b64 s[2:3], s[18:19], 4
	v_and_b32_e32 v4, 31, v4
	v_or_b32_e32 v5, s30, v4
	v_lshlrev_b32_e32 v4, 4, v4
	s_waitcnt lgkmcnt(0)
	s_add_u32 s14, s0, s2
	s_addc_u32 s15, s1, s3
	s_ashr_i32 s24, s30, 31
	v_and_b32_e32 v0, 7, v1
	v_cmp_gt_i32_e64 s[0:1], s33, v5
	v_cmp_le_i32_e64 s[2:3], s33, v5
	v_lshl_or_b32 v28, v2, 9, v4
	v_mul_lo_u32 v8, s17, v5
	v_mad_u64_u32 v[4:5], s[18:19], s16, v5, 0
	s_mul_i32 s16, s16, s24
	v_add3_u32 v5, v5, s16, v8
	v_lshlrev_b32_e32 v8, 4, v0
	v_add_u32_e32 v7, s31, v6
	v_lshl_or_b32 v6, v6, 7, v8
	v_add_u32_e32 v29, 0x1000, v6
	v_ashrrev_i32_e32 v6, 31, v7
	v_lshl_add_u64 v[4:5], v[4:5], 4, s[14:15]
	v_cmp_gt_i32_e32 vcc, s33, v7
	v_mul_lo_u32 v8, s22, v6
	v_mul_lo_u32 v9, s23, v7
	v_mad_u64_u32 v[6:7], s[14:15], s22, v7, 0
	v_add3_u32 v7, v7, v8, v9
	v_mov_b32_e32 v8, 0x1000
	v_mov_b32_e32 v9, 0
	v_lshl_add_u64 v[6:7], v[6:7], 4, s[20:21]
	v_lshlrev_b32_e32 v30, 4, v1
	v_lshl_add_u32 v31, v3, 7, v8
	v_mov_b64_e32 v[12:13], 0
	s_mov_b64 s[14:15], 0
	s_xor_b64 s[16:17], vcc, -1
	v_mov_b32_e32 v32, v9
	v_mov_b32_e32 v33, v9
	;; [unrolled: 1-line block ×4, first 2 shown]
	v_mov_b64_e32 v[14:15], 0
	v_mov_b64_e32 v[18:19], 0
	;; [unrolled: 1-line block ×7, first 2 shown]
                                        ; implicit-def: $vgpr10_vgpr11
	s_branch .LBB561_8
.LBB561_7:                              ;   in Loop: Header=BB561_8 Depth=1
	s_or_b64 exec, exec, s[18:19]
	s_waitcnt lgkmcnt(0)
	s_barrier
	ds_read_b128 v[36:39], v30
	ds_read_b128 v[40:43], v31
	ds_read_b128 v[44:47], v31 offset:16
	ds_read_b128 v[48:51], v31 offset:32
	;; [unrolled: 1-line block ×4, first 2 shown]
	s_waitcnt lgkmcnt(4)
	v_mul_f64 v[60:61], v[42:43], v[38:39]
	v_fma_f64 v[60:61], v[40:41], v[36:37], -v[60:61]
	v_mul_f64 v[62:63], v[40:41], v[38:39]
	v_fmac_f64_e32 v[62:63], v[42:43], v[36:37]
	v_add_f64 v[60:61], v[24:25], v[60:61]
	s_waitcnt lgkmcnt(0)
	v_mul_f64 v[24:25], v[42:43], v[58:59]
	v_add_f64 v[62:63], v[62:63], v[26:27]
	v_fma_f64 v[64:65], v[40:41], v[56:57], -v[24:25]
	ds_read_b128 v[24:27], v31 offset:2048
	v_mul_f64 v[40:41], v[40:41], v[58:59]
	v_fmac_f64_e32 v[40:41], v[42:43], v[56:57]
	v_add_f64 v[42:43], v[20:21], v[64:65]
	v_add_f64 v[40:41], v[40:41], v[22:23]
	ds_read_b128 v[20:23], v31 offset:2064
	s_waitcnt lgkmcnt(1)
	v_mul_f64 v[64:65], v[26:27], v[38:39]
	v_fma_f64 v[64:65], v[24:25], v[36:37], -v[64:65]
	v_mul_f64 v[38:39], v[24:25], v[38:39]
	v_fmac_f64_e32 v[38:39], v[26:27], v[36:37]
	v_add_f64 v[36:37], v[16:17], v[64:65]
	v_mul_f64 v[16:17], v[26:27], v[58:59]
	v_add_f64 v[38:39], v[38:39], v[18:19]
	v_fma_f64 v[64:65], v[24:25], v[56:57], -v[16:17]
	v_mul_f64 v[24:25], v[24:25], v[58:59]
	ds_read_b128 v[16:19], v30 offset:512
	v_fmac_f64_e32 v[24:25], v[26:27], v[56:57]
	v_add_f64 v[26:27], v[14:15], v[64:65]
	v_add_f64 v[24:25], v[24:25], v[12:13]
	ds_read_b128 v[12:15], v30 offset:768
	s_waitcnt lgkmcnt(1)
	v_mul_f64 v[56:57], v[46:47], v[18:19]
	v_fma_f64 v[56:57], v[44:45], v[16:17], -v[56:57]
	v_add_f64 v[56:57], v[60:61], v[56:57]
	v_mul_f64 v[58:59], v[44:45], v[18:19]
	s_waitcnt lgkmcnt(0)
	v_mul_f64 v[60:61], v[46:47], v[14:15]
	v_fma_f64 v[60:61], v[44:45], v[12:13], -v[60:61]
	v_mul_f64 v[44:45], v[44:45], v[14:15]
	v_fmac_f64_e32 v[44:45], v[46:47], v[12:13]
	v_add_f64 v[40:41], v[44:45], v[40:41]
	v_mul_f64 v[44:45], v[22:23], v[18:19]
	v_mul_f64 v[18:19], v[20:21], v[18:19]
	v_fmac_f64_e32 v[58:59], v[46:47], v[16:17]
	v_fma_f64 v[44:45], v[20:21], v[16:17], -v[44:45]
	v_fmac_f64_e32 v[18:19], v[22:23], v[16:17]
	v_mul_f64 v[16:17], v[22:23], v[14:15]
	v_add_f64 v[46:47], v[18:19], v[38:39]
	v_fma_f64 v[18:19], v[20:21], v[12:13], -v[16:17]
	v_mul_f64 v[20:21], v[20:21], v[14:15]
	ds_read_b128 v[14:17], v30 offset:1024
	v_fmac_f64_e32 v[20:21], v[22:23], v[12:13]
	v_add_f64 v[42:43], v[42:43], v[60:61]
	v_add_f64 v[26:27], v[26:27], v[18:19]
	;; [unrolled: 1-line block ×3, first 2 shown]
	ds_read_b128 v[18:21], v30 offset:1280
	s_waitcnt lgkmcnt(1)
	v_mul_f64 v[22:23], v[48:49], v[16:17]
	v_add_f64 v[58:59], v[58:59], v[62:63]
	v_fmac_f64_e32 v[22:23], v[50:51], v[14:15]
	v_add_f64 v[58:59], v[22:23], v[58:59]
	ds_read_b128 v[22:25], v31 offset:2080
	v_mul_f64 v[12:13], v[50:51], v[16:17]
	v_fma_f64 v[12:13], v[48:49], v[14:15], -v[12:13]
	v_add_f64 v[44:45], v[36:37], v[44:45]
	v_add_f64 v[56:57], v[56:57], v[12:13]
	s_waitcnt lgkmcnt(1)
	v_mul_f64 v[12:13], v[50:51], v[20:21]
	v_mul_f64 v[36:37], v[48:49], v[20:21]
	v_fma_f64 v[12:13], v[48:49], v[18:19], -v[12:13]
	v_fmac_f64_e32 v[36:37], v[50:51], v[18:19]
	v_add_f64 v[42:43], v[42:43], v[12:13]
	v_add_f64 v[40:41], v[36:37], v[40:41]
	ds_read_b128 v[36:39], v31 offset:2096
	s_waitcnt lgkmcnt(1)
	v_mul_f64 v[12:13], v[24:25], v[16:17]
	v_fma_f64 v[12:13], v[22:23], v[14:15], -v[12:13]
	v_mul_f64 v[16:17], v[22:23], v[16:17]
	v_fmac_f64_e32 v[16:17], v[24:25], v[14:15]
	v_add_f64 v[44:45], v[44:45], v[12:13]
	v_mul_f64 v[12:13], v[24:25], v[20:21]
	v_add_f64 v[46:47], v[16:17], v[46:47]
	v_fma_f64 v[16:17], v[22:23], v[18:19], -v[12:13]
	ds_read_b128 v[12:15], v30 offset:1536
	v_mul_f64 v[20:21], v[22:23], v[20:21]
	v_fmac_f64_e32 v[20:21], v[24:25], v[18:19]
	v_add_f64 v[22:23], v[26:27], v[16:17]
	ds_read_b128 v[16:19], v30 offset:1792
	s_waitcnt lgkmcnt(1)
	v_mul_f64 v[24:25], v[54:55], v[14:15]
	v_fma_f64 v[24:25], v[52:53], v[12:13], -v[24:25]
	v_mul_f64 v[26:27], v[52:53], v[14:15]
	v_fmac_f64_e32 v[26:27], v[54:55], v[12:13]
	v_add_f64 v[48:49], v[56:57], v[24:25]
	s_waitcnt lgkmcnt(0)
	v_mul_f64 v[24:25], v[54:55], v[18:19]
	v_add_f64 v[50:51], v[26:27], v[58:59]
	v_fma_f64 v[24:25], v[52:53], v[16:17], -v[24:25]
	v_mul_f64 v[26:27], v[52:53], v[18:19]
	v_fmac_f64_e32 v[26:27], v[54:55], v[16:17]
	v_add_f64 v[42:43], v[42:43], v[24:25]
	v_mul_f64 v[24:25], v[38:39], v[14:15]
	v_mul_f64 v[14:15], v[36:37], v[14:15]
	v_add_f64 v[40:41], v[26:27], v[40:41]
	v_fma_f64 v[24:25], v[36:37], v[12:13], -v[24:25]
	v_fmac_f64_e32 v[14:15], v[38:39], v[12:13]
	v_mul_f64 v[12:13], v[38:39], v[18:19]
	v_mul_f64 v[26:27], v[36:37], v[18:19]
	v_add_f64 v[44:45], v[44:45], v[24:25]
	v_add_f64 v[46:47], v[14:15], v[46:47]
	v_fma_f64 v[24:25], v[36:37], v[16:17], -v[12:13]
	v_fmac_f64_e32 v[26:27], v[38:39], v[16:17]
	ds_read_b128 v[12:15], v31 offset:64
	ds_read_b128 v[16:19], v30 offset:2048
	v_add_f64 v[20:21], v[20:21], v[60:61]
	v_add_f64 v[52:53], v[22:23], v[24:25]
	v_add_f64 v[54:55], v[26:27], v[20:21]
	ds_read_b128 v[20:23], v30 offset:2304
	ds_read_b128 v[24:27], v31 offset:80
	s_waitcnt lgkmcnt(2)
	v_mul_f64 v[36:37], v[14:15], v[18:19]
	v_fma_f64 v[36:37], v[12:13], v[16:17], -v[36:37]
	v_mul_f64 v[38:39], v[12:13], v[18:19]
	v_fmac_f64_e32 v[38:39], v[14:15], v[16:17]
	v_add_f64 v[48:49], v[48:49], v[36:37]
	s_waitcnt lgkmcnt(1)
	v_mul_f64 v[36:37], v[14:15], v[22:23]
	v_add_f64 v[50:51], v[38:39], v[50:51]
	v_fma_f64 v[56:57], v[12:13], v[20:21], -v[36:37]
	ds_read_b128 v[36:39], v31 offset:2112
	v_mul_f64 v[12:13], v[12:13], v[22:23]
	v_fmac_f64_e32 v[12:13], v[14:15], v[20:21]
	v_add_f64 v[42:43], v[42:43], v[56:57]
	v_add_f64 v[40:41], v[12:13], v[40:41]
	ds_read_b128 v[12:15], v31 offset:2128
	s_waitcnt lgkmcnt(1)
	v_mul_f64 v[56:57], v[38:39], v[18:19]
	v_mul_f64 v[18:19], v[36:37], v[18:19]
	v_fma_f64 v[56:57], v[36:37], v[16:17], -v[56:57]
	v_fmac_f64_e32 v[18:19], v[38:39], v[16:17]
	v_mul_f64 v[16:17], v[38:39], v[22:23]
	v_add_f64 v[44:45], v[44:45], v[56:57]
	v_add_f64 v[46:47], v[18:19], v[46:47]
	v_fma_f64 v[56:57], v[36:37], v[20:21], -v[16:17]
	v_mul_f64 v[22:23], v[36:37], v[22:23]
	ds_read_b128 v[16:19], v30 offset:2560
	v_fmac_f64_e32 v[22:23], v[38:39], v[20:21]
	v_add_f64 v[38:39], v[22:23], v[54:55]
	ds_read_b128 v[20:23], v30 offset:2816
	v_add_f64 v[36:37], v[52:53], v[56:57]
	s_waitcnt lgkmcnt(1)
	v_mul_f64 v[52:53], v[26:27], v[18:19]
	v_fma_f64 v[52:53], v[24:25], v[16:17], -v[52:53]
	v_add_f64 v[48:49], v[48:49], v[52:53]
	s_waitcnt lgkmcnt(0)
	v_mul_f64 v[52:53], v[26:27], v[22:23]
	v_mul_f64 v[54:55], v[24:25], v[18:19]
	v_fma_f64 v[52:53], v[24:25], v[20:21], -v[52:53]
	v_mul_f64 v[24:25], v[24:25], v[22:23]
	v_fmac_f64_e32 v[24:25], v[26:27], v[20:21]
	v_add_f64 v[40:41], v[24:25], v[40:41]
	v_mul_f64 v[24:25], v[14:15], v[18:19]
	v_mul_f64 v[18:19], v[12:13], v[18:19]
	v_fmac_f64_e32 v[54:55], v[26:27], v[16:17]
	v_fma_f64 v[24:25], v[12:13], v[16:17], -v[24:25]
	v_fmac_f64_e32 v[18:19], v[14:15], v[16:17]
	v_mul_f64 v[16:17], v[14:15], v[22:23]
	v_mul_f64 v[22:23], v[12:13], v[22:23]
	v_add_f64 v[44:45], v[44:45], v[24:25]
	v_add_f64 v[46:47], v[18:19], v[46:47]
	v_fma_f64 v[24:25], v[12:13], v[20:21], -v[16:17]
	v_fmac_f64_e32 v[22:23], v[14:15], v[20:21]
	ds_read_b128 v[12:15], v31 offset:96
	ds_read_b128 v[16:19], v30 offset:3072
	v_add_f64 v[50:51], v[54:55], v[50:51]
	v_add_f64 v[42:43], v[42:43], v[52:53]
	;; [unrolled: 1-line block ×4, first 2 shown]
	ds_read_b128 v[20:23], v30 offset:3328
	ds_read_b128 v[36:39], v31 offset:112
	s_waitcnt lgkmcnt(2)
	v_mul_f64 v[24:25], v[14:15], v[18:19]
	v_fma_f64 v[24:25], v[12:13], v[16:17], -v[24:25]
	v_mul_f64 v[26:27], v[12:13], v[18:19]
	v_fmac_f64_e32 v[26:27], v[14:15], v[16:17]
	v_add_f64 v[48:49], v[48:49], v[24:25]
	s_waitcnt lgkmcnt(1)
	v_mul_f64 v[24:25], v[14:15], v[22:23]
	v_add_f64 v[50:51], v[26:27], v[50:51]
	v_fma_f64 v[56:57], v[12:13], v[20:21], -v[24:25]
	ds_read_b128 v[24:27], v31 offset:2144
	v_mul_f64 v[12:13], v[12:13], v[22:23]
	v_fmac_f64_e32 v[12:13], v[14:15], v[20:21]
	v_add_f64 v[58:59], v[12:13], v[40:41]
	ds_read_b128 v[12:15], v31 offset:2160
	s_waitcnt lgkmcnt(1)
	v_mul_f64 v[40:41], v[26:27], v[18:19]
	v_mul_f64 v[18:19], v[24:25], v[18:19]
	v_fma_f64 v[40:41], v[24:25], v[16:17], -v[40:41]
	v_fmac_f64_e32 v[18:19], v[26:27], v[16:17]
	v_mul_f64 v[16:17], v[26:27], v[22:23]
	v_add_f64 v[44:45], v[44:45], v[40:41]
	v_add_f64 v[46:47], v[18:19], v[46:47]
	v_fma_f64 v[40:41], v[24:25], v[20:21], -v[16:17]
	ds_read_b128 v[16:19], v30 offset:3584
	v_add_f64 v[56:57], v[42:43], v[56:57]
	v_add_f64 v[52:53], v[52:53], v[40:41]
	ds_read_b128 v[40:43], v30 offset:3840
	v_mul_f64 v[22:23], v[24:25], v[22:23]
	v_fmac_f64_e32 v[22:23], v[26:27], v[20:21]
	s_waitcnt lgkmcnt(1)
	v_mul_f64 v[20:21], v[38:39], v[18:19]
	v_add_f64 v[54:55], v[22:23], v[54:55]
	v_fma_f64 v[20:21], v[36:37], v[16:17], -v[20:21]
	v_mul_f64 v[22:23], v[36:37], v[18:19]
	v_fmac_f64_e32 v[22:23], v[38:39], v[16:17]
	v_add_f64 v[24:25], v[48:49], v[20:21]
	s_waitcnt lgkmcnt(0)
	v_mul_f64 v[20:21], v[38:39], v[42:43]
	v_add_f64 v[26:27], v[22:23], v[50:51]
	v_fma_f64 v[20:21], v[36:37], v[40:41], -v[20:21]
	v_mul_f64 v[22:23], v[36:37], v[42:43]
	v_mul_f64 v[36:37], v[14:15], v[18:19]
	v_fma_f64 v[36:37], v[12:13], v[16:17], -v[36:37]
	v_mul_f64 v[18:19], v[12:13], v[18:19]
	v_fmac_f64_e32 v[18:19], v[14:15], v[16:17]
	v_add_f64 v[16:17], v[44:45], v[36:37]
	v_mul_f64 v[36:37], v[14:15], v[42:43]
	s_add_u32 s14, s14, 8
	v_fma_f64 v[36:37], v[12:13], v[40:41], -v[36:37]
	v_mul_f64 v[12:13], v[12:13], v[42:43]
	s_addc_u32 s15, s15, 0
	v_fmac_f64_e32 v[12:13], v[14:15], v[40:41]
	v_add_f64 v[14:15], v[52:53], v[36:37]
	v_mov_b64_e32 v[36:37], s[14:15]
	v_fmac_f64_e32 v[22:23], v[38:39], v[40:41]
	v_cmp_gt_i64_e32 vcc, s[8:9], v[36:37]
	v_add_f64 v[20:21], v[56:57], v[20:21]
	v_add_f64 v[22:23], v[22:23], v[58:59]
	;; [unrolled: 1-line block ×4, first 2 shown]
	s_barrier
	s_cbranch_vccz .LBB561_18
.LBB561_8:                              ; =>This Inner Loop Header: Depth=1
	s_mov_b64 s[22:23], s[2:3]
	s_mov_b64 s[18:19], 0
	s_and_saveexec_b64 s[20:21], s[0:1]
	s_cbranch_execnz .LBB561_16
; %bb.9:                                ;   in Loop: Header=BB561_8 Depth=1
	s_or_b64 exec, exec, s[20:21]
	s_and_saveexec_b64 s[20:21], s[22:23]
	s_xor_b64 s[20:21], exec, s[20:21]
	s_cbranch_execnz .LBB561_17
.LBB561_10:                             ;   in Loop: Header=BB561_8 Depth=1
	s_or_b64 exec, exec, s[20:21]
	s_and_saveexec_b64 s[20:21], s[18:19]
	s_cbranch_execz .LBB561_12
.LBB561_11:                             ;   in Loop: Header=BB561_8 Depth=1
	v_lshl_add_u64 v[36:37], v[10:11], 4, v[4:5]
	flat_load_dwordx4 v[36:39], v[36:37]
	s_waitcnt vmcnt(0) lgkmcnt(0)
	ds_write2_b64 v28, v[36:37], v[38:39] offset1:1
.LBB561_12:                             ;   in Loop: Header=BB561_8 Depth=1
	s_or_b64 exec, exec, s[20:21]
	v_add_u32_e32 v8, s14, v0
	v_cmp_le_u64_e32 vcc, s[8:9], v[8:9]
	s_or_b64 s[18:19], vcc, s[16:17]
	s_and_saveexec_b64 s[20:21], s[18:19]
	s_xor_b64 s[18:19], exec, s[20:21]
; %bb.13:                               ;   in Loop: Header=BB561_8 Depth=1
	ds_write_b128 v29, v[32:35]
; %bb.14:                               ;   in Loop: Header=BB561_8 Depth=1
	s_andn2_saveexec_b64 s[18:19], s[18:19]
	s_cbranch_execz .LBB561_7
; %bb.15:                               ;   in Loop: Header=BB561_8 Depth=1
	v_lshl_add_u64 v[36:37], v[8:9], 4, v[6:7]
	flat_load_dwordx4 v[36:39], v[36:37]
	s_waitcnt vmcnt(0) lgkmcnt(0)
	ds_write2_b64 v29, v[36:37], v[38:39] offset1:1
	s_branch .LBB561_7
.LBB561_16:                             ;   in Loop: Header=BB561_8 Depth=1
	v_add_u32_e32 v8, s14, v2
	v_cmp_le_u64_e32 vcc, s[8:9], v[8:9]
	s_andn2_b64 s[22:23], s[2:3], exec
	s_and_b64 s[24:25], vcc, exec
	s_mov_b64 s[18:19], exec
	s_or_b64 s[22:23], s[22:23], s[24:25]
	v_mov_b64_e32 v[10:11], v[8:9]
	s_or_b64 exec, exec, s[20:21]
	s_and_saveexec_b64 s[20:21], s[22:23]
	s_xor_b64 s[20:21], exec, s[20:21]
	s_cbranch_execz .LBB561_10
.LBB561_17:                             ;   in Loop: Header=BB561_8 Depth=1
	ds_write_b128 v28, v[32:35]
	s_andn2_b64 s[18:19], s[18:19], exec
	s_or_b64 exec, exec, s[20:21]
	s_and_saveexec_b64 s[20:21], s[18:19]
	s_cbranch_execnz .LBB561_11
	s_branch .LBB561_12
.LBB561_18:
	s_waitcnt lgkmcnt(0)
	s_lshl_b64 s[0:1], s[38:39], 4
	v_add_u32_e32 v10, s31, v3
	s_add_u32 s4, s4, s0
	v_ashrrev_i32_e32 v0, 31, v10
	s_addc_u32 s5, s5, s1
	v_add_u32_e32 v4, s30, v1
	v_cmp_neq_f64_e64 s[0:1], s[26:27], 0
	s_xor_b64 s[6:7], s[6:7], -1
	v_mul_lo_u32 v2, s36, v0
	v_mul_lo_u32 v3, s37, v10
	v_mad_u64_u32 v[0:1], s[8:9], s36, v10, 0
	v_add3_u32 v1, v1, v2, v3
	s_or_b64 s[0:1], s[0:1], s[6:7]
	v_cmp_gt_i32_e64 s[2:3], s33, v10
	v_lshl_add_u64 v[8:9], v[0:1], 4, s[4:5]
	v_cmp_le_i32_e32 vcc, v4, v10
	v_cndmask_b32_e64 v0, 0, 1, s[0:1]
	s_and_b64 s[8:9], s[2:3], vcc
	v_ashrrev_i32_e32 v5, 31, v4
	v_cmp_ne_u32_e64 s[0:1], 1, v0
	s_and_saveexec_b64 s[6:7], s[8:9]
	s_cbranch_execz .LBB561_22
; %bb.19:
	v_mul_f64 v[0:1], s[12:13], v[26:27]
	v_mul_f64 v[2:3], s[10:11], v[26:27]
	v_fma_f64 v[0:1], s[10:11], v[24:25], -v[0:1]
	v_fmac_f64_e32 v[2:3], s[12:13], v[24:25]
	s_and_b64 vcc, exec, s[0:1]
	v_lshl_add_u64 v[6:7], v[4:5], 4, v[8:9]
	s_cbranch_vccnz .LBB561_21
; %bb.20:
	flat_load_dwordx4 v[24:27], v[6:7]
	s_waitcnt vmcnt(0) lgkmcnt(0)
	v_mul_f64 v[28:29], s[28:29], v[26:27]
	v_mul_f64 v[26:27], s[26:27], v[26:27]
	v_fma_f64 v[28:29], s[26:27], v[24:25], -v[28:29]
	v_fmac_f64_e32 v[26:27], s[28:29], v[24:25]
	v_add_f64 v[0:1], v[0:1], v[28:29]
	v_add_f64 v[2:3], v[2:3], v[26:27]
.LBB561_21:
	flat_store_dwordx4 v[6:7], v[0:3]
.LBB561_22:
	s_or_b64 exec, exec, s[6:7]
	v_add_u32_e32 v6, 16, v4
	v_cmp_le_i32_e32 vcc, v6, v10
	s_and_b64 s[6:7], s[2:3], vcc
	v_ashrrev_i32_e32 v7, 31, v6
	s_and_saveexec_b64 s[2:3], s[6:7]
	s_cbranch_execz .LBB561_26
; %bb.23:
	v_mul_f64 v[0:1], s[12:13], v[22:23]
	v_mul_f64 v[2:3], s[10:11], v[22:23]
	v_fma_f64 v[0:1], s[10:11], v[20:21], -v[0:1]
	v_fmac_f64_e32 v[2:3], s[12:13], v[20:21]
	s_and_b64 vcc, exec, s[0:1]
	v_lshl_add_u64 v[8:9], v[6:7], 4, v[8:9]
	s_cbranch_vccnz .LBB561_25
; %bb.24:
	flat_load_dwordx4 v[20:23], v[8:9]
	s_waitcnt vmcnt(0) lgkmcnt(0)
	v_mul_f64 v[24:25], s[28:29], v[22:23]
	v_mul_f64 v[22:23], s[26:27], v[22:23]
	v_fma_f64 v[24:25], s[26:27], v[20:21], -v[24:25]
	v_fmac_f64_e32 v[22:23], s[28:29], v[20:21]
	v_add_f64 v[0:1], v[0:1], v[24:25]
	v_add_f64 v[2:3], v[2:3], v[22:23]
.LBB561_25:
	flat_store_dwordx4 v[8:9], v[0:3]
.LBB561_26:
	s_or_b64 exec, exec, s[2:3]
	v_add_u32_e32 v10, 16, v10
	v_ashrrev_i32_e32 v0, 31, v10
	v_mul_lo_u32 v2, s36, v0
	v_mul_lo_u32 v3, s37, v10
	v_mad_u64_u32 v[0:1], s[6:7], s36, v10, 0
	v_cmp_gt_i32_e64 s[2:3], s33, v10
	v_add3_u32 v1, v1, v2, v3
	v_cmp_le_i32_e32 vcc, v4, v10
	v_lshl_add_u64 v[8:9], v[0:1], 4, s[4:5]
	s_and_b64 s[6:7], s[2:3], vcc
	s_and_saveexec_b64 s[4:5], s[6:7]
	s_cbranch_execz .LBB561_30
; %bb.27:
	v_mul_f64 v[0:1], s[12:13], v[18:19]
	v_mul_f64 v[2:3], s[10:11], v[18:19]
	v_fma_f64 v[0:1], s[10:11], v[16:17], -v[0:1]
	v_fmac_f64_e32 v[2:3], s[12:13], v[16:17]
	s_and_b64 vcc, exec, s[0:1]
	v_lshl_add_u64 v[4:5], v[4:5], 4, v[8:9]
	s_cbranch_vccnz .LBB561_29
; %bb.28:
	flat_load_dwordx4 v[16:19], v[4:5]
	s_waitcnt vmcnt(0) lgkmcnt(0)
	v_mul_f64 v[20:21], s[28:29], v[18:19]
	v_mul_f64 v[18:19], s[26:27], v[18:19]
	v_fma_f64 v[20:21], s[26:27], v[16:17], -v[20:21]
	v_fmac_f64_e32 v[18:19], s[28:29], v[16:17]
	v_add_f64 v[0:1], v[0:1], v[20:21]
	v_add_f64 v[2:3], v[2:3], v[18:19]
.LBB561_29:
	flat_store_dwordx4 v[4:5], v[0:3]
.LBB561_30:
	s_or_b64 exec, exec, s[4:5]
	v_cmp_le_i32_e32 vcc, v6, v10
	s_and_b64 s[2:3], s[2:3], vcc
	s_and_saveexec_b64 s[4:5], s[2:3]
	s_cbranch_execz .LBB561_34
; %bb.31:
	v_mul_f64 v[0:1], s[12:13], v[12:13]
	v_mul_f64 v[2:3], s[10:11], v[12:13]
	v_fma_f64 v[0:1], s[10:11], v[14:15], -v[0:1]
	v_fmac_f64_e32 v[2:3], s[12:13], v[14:15]
	s_and_b64 vcc, exec, s[0:1]
	v_lshl_add_u64 v[4:5], v[6:7], 4, v[8:9]
	s_cbranch_vccnz .LBB561_33
; %bb.32:
	flat_load_dwordx4 v[6:9], v[4:5]
	s_waitcnt vmcnt(0) lgkmcnt(0)
	v_mul_f64 v[10:11], s[28:29], v[8:9]
	v_mul_f64 v[8:9], s[26:27], v[8:9]
	v_fma_f64 v[10:11], s[26:27], v[6:7], -v[10:11]
	v_fmac_f64_e32 v[8:9], s[28:29], v[6:7]
	v_add_f64 v[0:1], v[0:1], v[10:11]
	v_add_f64 v[2:3], v[2:3], v[8:9]
.LBB561_33:
	flat_store_dwordx4 v[4:5], v[0:3]
.LBB561_34:
	s_endpgm
	.section	.rodata,"a",@progbits
	.p2align	6, 0x0
	.amdhsa_kernel _ZL29rocblas_internal_gemmt_kernelIlLi16ELi32ELi8ELc84ELc78ELc85ELb0ELb0E19rocblas_complex_numIdES1_PKPKS1_PKPS1_EviT_T9_T10_S9_lSB_S9_lSA_T11_S9_li
		.amdhsa_group_segment_fixed_size 8192
		.amdhsa_private_segment_fixed_size 0
		.amdhsa_kernarg_size 124
		.amdhsa_user_sgpr_count 2
		.amdhsa_user_sgpr_dispatch_ptr 0
		.amdhsa_user_sgpr_queue_ptr 0
		.amdhsa_user_sgpr_kernarg_segment_ptr 1
		.amdhsa_user_sgpr_dispatch_id 0
		.amdhsa_user_sgpr_kernarg_preload_length 0
		.amdhsa_user_sgpr_kernarg_preload_offset 0
		.amdhsa_user_sgpr_private_segment_size 0
		.amdhsa_uses_dynamic_stack 0
		.amdhsa_enable_private_segment 0
		.amdhsa_system_sgpr_workgroup_id_x 1
		.amdhsa_system_sgpr_workgroup_id_y 1
		.amdhsa_system_sgpr_workgroup_id_z 1
		.amdhsa_system_sgpr_workgroup_info 0
		.amdhsa_system_vgpr_workitem_id 1
		.amdhsa_next_free_vgpr 66
		.amdhsa_next_free_sgpr 40
		.amdhsa_accum_offset 68
		.amdhsa_reserve_vcc 1
		.amdhsa_float_round_mode_32 0
		.amdhsa_float_round_mode_16_64 0
		.amdhsa_float_denorm_mode_32 3
		.amdhsa_float_denorm_mode_16_64 3
		.amdhsa_dx10_clamp 1
		.amdhsa_ieee_mode 1
		.amdhsa_fp16_overflow 0
		.amdhsa_tg_split 0
		.amdhsa_exception_fp_ieee_invalid_op 0
		.amdhsa_exception_fp_denorm_src 0
		.amdhsa_exception_fp_ieee_div_zero 0
		.amdhsa_exception_fp_ieee_overflow 0
		.amdhsa_exception_fp_ieee_underflow 0
		.amdhsa_exception_fp_ieee_inexact 0
		.amdhsa_exception_int_div_zero 0
	.end_amdhsa_kernel
	.section	.text._ZL29rocblas_internal_gemmt_kernelIlLi16ELi32ELi8ELc84ELc78ELc85ELb0ELb0E19rocblas_complex_numIdES1_PKPKS1_PKPS1_EviT_T9_T10_S9_lSB_S9_lSA_T11_S9_li,"axG",@progbits,_ZL29rocblas_internal_gemmt_kernelIlLi16ELi32ELi8ELc84ELc78ELc85ELb0ELb0E19rocblas_complex_numIdES1_PKPKS1_PKPS1_EviT_T9_T10_S9_lSB_S9_lSA_T11_S9_li,comdat
.Lfunc_end561:
	.size	_ZL29rocblas_internal_gemmt_kernelIlLi16ELi32ELi8ELc84ELc78ELc85ELb0ELb0E19rocblas_complex_numIdES1_PKPKS1_PKPS1_EviT_T9_T10_S9_lSB_S9_lSA_T11_S9_li, .Lfunc_end561-_ZL29rocblas_internal_gemmt_kernelIlLi16ELi32ELi8ELc84ELc78ELc85ELb0ELb0E19rocblas_complex_numIdES1_PKPKS1_PKPS1_EviT_T9_T10_S9_lSB_S9_lSA_T11_S9_li
                                        ; -- End function
	.set _ZL29rocblas_internal_gemmt_kernelIlLi16ELi32ELi8ELc84ELc78ELc85ELb0ELb0E19rocblas_complex_numIdES1_PKPKS1_PKPS1_EviT_T9_T10_S9_lSB_S9_lSA_T11_S9_li.num_vgpr, 66
	.set _ZL29rocblas_internal_gemmt_kernelIlLi16ELi32ELi8ELc84ELc78ELc85ELb0ELb0E19rocblas_complex_numIdES1_PKPKS1_PKPS1_EviT_T9_T10_S9_lSB_S9_lSA_T11_S9_li.num_agpr, 0
	.set _ZL29rocblas_internal_gemmt_kernelIlLi16ELi32ELi8ELc84ELc78ELc85ELb0ELb0E19rocblas_complex_numIdES1_PKPKS1_PKPS1_EviT_T9_T10_S9_lSB_S9_lSA_T11_S9_li.numbered_sgpr, 40
	.set _ZL29rocblas_internal_gemmt_kernelIlLi16ELi32ELi8ELc84ELc78ELc85ELb0ELb0E19rocblas_complex_numIdES1_PKPKS1_PKPS1_EviT_T9_T10_S9_lSB_S9_lSA_T11_S9_li.num_named_barrier, 0
	.set _ZL29rocblas_internal_gemmt_kernelIlLi16ELi32ELi8ELc84ELc78ELc85ELb0ELb0E19rocblas_complex_numIdES1_PKPKS1_PKPS1_EviT_T9_T10_S9_lSB_S9_lSA_T11_S9_li.private_seg_size, 0
	.set _ZL29rocblas_internal_gemmt_kernelIlLi16ELi32ELi8ELc84ELc78ELc85ELb0ELb0E19rocblas_complex_numIdES1_PKPKS1_PKPS1_EviT_T9_T10_S9_lSB_S9_lSA_T11_S9_li.uses_vcc, 1
	.set _ZL29rocblas_internal_gemmt_kernelIlLi16ELi32ELi8ELc84ELc78ELc85ELb0ELb0E19rocblas_complex_numIdES1_PKPKS1_PKPS1_EviT_T9_T10_S9_lSB_S9_lSA_T11_S9_li.uses_flat_scratch, 0
	.set _ZL29rocblas_internal_gemmt_kernelIlLi16ELi32ELi8ELc84ELc78ELc85ELb0ELb0E19rocblas_complex_numIdES1_PKPKS1_PKPS1_EviT_T9_T10_S9_lSB_S9_lSA_T11_S9_li.has_dyn_sized_stack, 0
	.set _ZL29rocblas_internal_gemmt_kernelIlLi16ELi32ELi8ELc84ELc78ELc85ELb0ELb0E19rocblas_complex_numIdES1_PKPKS1_PKPS1_EviT_T9_T10_S9_lSB_S9_lSA_T11_S9_li.has_recursion, 0
	.set _ZL29rocblas_internal_gemmt_kernelIlLi16ELi32ELi8ELc84ELc78ELc85ELb0ELb0E19rocblas_complex_numIdES1_PKPKS1_PKPS1_EviT_T9_T10_S9_lSB_S9_lSA_T11_S9_li.has_indirect_call, 0
	.section	.AMDGPU.csdata,"",@progbits
; Kernel info:
; codeLenInByte = 3232
; TotalNumSgprs: 46
; NumVgprs: 66
; NumAgprs: 0
; TotalNumVgprs: 66
; ScratchSize: 0
; MemoryBound: 0
; FloatMode: 240
; IeeeMode: 1
; LDSByteSize: 8192 bytes/workgroup (compile time only)
; SGPRBlocks: 5
; VGPRBlocks: 8
; NumSGPRsForWavesPerEU: 46
; NumVGPRsForWavesPerEU: 66
; AccumOffset: 68
; Occupancy: 7
; WaveLimiterHint : 1
; COMPUTE_PGM_RSRC2:SCRATCH_EN: 0
; COMPUTE_PGM_RSRC2:USER_SGPR: 2
; COMPUTE_PGM_RSRC2:TRAP_HANDLER: 0
; COMPUTE_PGM_RSRC2:TGID_X_EN: 1
; COMPUTE_PGM_RSRC2:TGID_Y_EN: 1
; COMPUTE_PGM_RSRC2:TGID_Z_EN: 1
; COMPUTE_PGM_RSRC2:TIDIG_COMP_CNT: 1
; COMPUTE_PGM_RSRC3_GFX90A:ACCUM_OFFSET: 16
; COMPUTE_PGM_RSRC3_GFX90A:TG_SPLIT: 0
	.section	.text._ZL29rocblas_internal_gemmt_kernelIlLi16ELi32ELi8ELc84ELc84ELc85ELb0ELb0E19rocblas_complex_numIdES1_PKPKS1_PKPS1_EviT_T9_T10_S9_lSB_S9_lSA_T11_S9_li,"axG",@progbits,_ZL29rocblas_internal_gemmt_kernelIlLi16ELi32ELi8ELc84ELc84ELc85ELb0ELb0E19rocblas_complex_numIdES1_PKPKS1_PKPS1_EviT_T9_T10_S9_lSB_S9_lSA_T11_S9_li,comdat
	.globl	_ZL29rocblas_internal_gemmt_kernelIlLi16ELi32ELi8ELc84ELc84ELc85ELb0ELb0E19rocblas_complex_numIdES1_PKPKS1_PKPS1_EviT_T9_T10_S9_lSB_S9_lSA_T11_S9_li ; -- Begin function _ZL29rocblas_internal_gemmt_kernelIlLi16ELi32ELi8ELc84ELc84ELc85ELb0ELb0E19rocblas_complex_numIdES1_PKPKS1_PKPS1_EviT_T9_T10_S9_lSB_S9_lSA_T11_S9_li
	.p2align	8
	.type	_ZL29rocblas_internal_gemmt_kernelIlLi16ELi32ELi8ELc84ELc84ELc85ELb0ELb0E19rocblas_complex_numIdES1_PKPKS1_PKPS1_EviT_T9_T10_S9_lSB_S9_lSA_T11_S9_li,@function
_ZL29rocblas_internal_gemmt_kernelIlLi16ELi32ELi8ELc84ELc84ELc85ELb0ELb0E19rocblas_complex_numIdES1_PKPKS1_PKPS1_EviT_T9_T10_S9_lSB_S9_lSA_T11_S9_li: ; @_ZL29rocblas_internal_gemmt_kernelIlLi16ELi32ELi8ELc84ELc84ELc85ELb0ELb0E19rocblas_complex_numIdES1_PKPKS1_PKPS1_EviT_T9_T10_S9_lSB_S9_lSA_T11_S9_li
; %bb.0:
	s_load_dwordx8 s[24:31], s[0:1], 0x48
	s_load_dwordx16 s[8:23], s[0:1], 0x8
	s_mov_b64 s[34:35], 0
	s_waitcnt lgkmcnt(0)
	v_cmp_eq_f64_e64 s[36:37], s[26:27], 1.0
	v_cmp_eq_f64_e64 s[6:7], s[28:29], 0
	s_and_b64 s[36:37], s[36:37], s[6:7]
	s_andn2_b64 vcc, exec, s[36:37]
	s_mov_b64 s[36:37], -1
	s_cbranch_vccnz .LBB562_4
; %bb.1:
	s_cmp_lg_u64 s[8:9], 0
	s_cbranch_scc0 .LBB562_3
; %bb.2:
	v_cmp_neq_f64_e64 s[34:35], s[10:11], 0
	v_cmp_neq_f64_e64 s[36:37], s[12:13], 0
	s_or_b64 s[34:35], s[34:35], s[36:37]
.LBB562_3:
	s_mov_b64 s[36:37], s[34:35]
.LBB562_4:
	s_and_b64 vcc, exec, s[36:37]
	s_cbranch_vccz .LBB562_34
; %bb.5:
	s_mov_b32 s5, 0
	s_load_dwordx4 s[36:39], s[0:1], 0x68
	s_load_dword s33, s[0:1], 0x0
	s_lshl_b64 s[0:1], s[4:5], 3
	s_add_u32 s4, s30, s0
	s_addc_u32 s5, s31, s1
	s_load_dwordx2 s[4:5], s[4:5], 0x0
	s_lshl_b32 s30, s2, 5
	s_lshl_b32 s31, s3, 5
	v_cmp_eq_f64_e64 s[2:3], s[10:11], 0
	v_cmp_eq_f64_e64 s[34:35], s[12:13], 0
	s_and_b64 s[2:3], s[2:3], s[34:35]
	v_cmp_lt_i64_e64 s[34:35], s[8:9], 1
	s_or_b64 s[2:3], s[2:3], s[34:35]
	v_and_b32_e32 v1, 0x3ff, v0
	v_bfe_u32 v3, v0, 10, 10
	v_mov_b64_e32 v[24:25], 0
	s_and_b64 vcc, exec, s[2:3]
	v_mov_b64_e32 v[26:27], 0
	v_mov_b64_e32 v[20:21], 0
	;; [unrolled: 1-line block ×7, first 2 shown]
	s_cbranch_vccnz .LBB562_18
; %bb.6:
	s_add_u32 s2, s20, s0
	s_addc_u32 s3, s21, s1
	s_load_dwordx2 s[2:3], s[2:3], 0x0
	s_lshl_b64 s[20:21], s[24:25], 4
	v_lshl_add_u32 v4, v3, 4, v1
	v_lshrrev_b32_e32 v2, 5, v4
	v_lshrrev_b32_e32 v7, 3, v4
	s_waitcnt lgkmcnt(0)
	s_add_u32 s20, s2, s20
	s_addc_u32 s21, s3, s21
	s_add_u32 s0, s14, s0
	s_addc_u32 s1, s15, s1
	s_load_dwordx2 s[0:1], s[0:1], 0x0
	s_lshl_b64 s[2:3], s[18:19], 4
	v_and_b32_e32 v4, 31, v4
	v_or_b32_e32 v5, s30, v4
	v_lshlrev_b32_e32 v4, 4, v4
	s_waitcnt lgkmcnt(0)
	s_add_u32 s14, s0, s2
	s_addc_u32 s15, s1, s3
	s_ashr_i32 s24, s30, 31
	v_and_b32_e32 v0, 7, v1
	v_cmp_gt_i32_e64 s[0:1], s33, v5
	v_cmp_le_i32_e64 s[2:3], s33, v5
	v_lshl_or_b32 v28, v2, 9, v4
	v_mul_lo_u32 v8, s17, v5
	v_mad_u64_u32 v[4:5], s[18:19], s16, v5, 0
	s_mul_i32 s16, s16, s24
	v_add3_u32 v5, v5, s16, v8
	v_lshlrev_b32_e32 v8, 4, v0
	v_add_u32_e32 v6, s31, v7
	v_lshl_or_b32 v7, v7, 7, v8
	v_cmp_gt_i32_e32 vcc, s33, v6
	v_add_u32_e32 v29, 0x1000, v7
	v_ashrrev_i32_e32 v7, 31, v6
	v_mov_b32_e32 v8, 0x1000
	v_mov_b32_e32 v9, 0
	v_lshl_add_u64 v[4:5], v[4:5], 4, s[14:15]
	v_lshl_add_u64 v[6:7], v[6:7], 4, s[20:21]
	v_lshlrev_b32_e32 v30, 4, v1
	v_lshl_add_u32 v31, v3, 7, v8
	v_mov_b64_e32 v[12:13], 0
	s_mov_b64 s[14:15], 0
	s_xor_b64 s[16:17], vcc, -1
	v_mov_b32_e32 v32, v9
	v_mov_b32_e32 v33, v9
	;; [unrolled: 1-line block ×4, first 2 shown]
	v_mov_b64_e32 v[14:15], 0
	v_mov_b64_e32 v[18:19], 0
	;; [unrolled: 1-line block ×7, first 2 shown]
                                        ; implicit-def: $vgpr10_vgpr11
	s_branch .LBB562_8
.LBB562_7:                              ;   in Loop: Header=BB562_8 Depth=1
	s_or_b64 exec, exec, s[18:19]
	s_waitcnt lgkmcnt(0)
	s_barrier
	ds_read_b128 v[36:39], v30
	ds_read_b128 v[40:43], v31
	ds_read_b128 v[44:47], v31 offset:16
	ds_read_b128 v[48:51], v31 offset:32
	;; [unrolled: 1-line block ×4, first 2 shown]
	s_waitcnt lgkmcnt(4)
	v_mul_f64 v[60:61], v[42:43], v[38:39]
	v_fma_f64 v[60:61], v[40:41], v[36:37], -v[60:61]
	v_mul_f64 v[62:63], v[40:41], v[38:39]
	v_fmac_f64_e32 v[62:63], v[42:43], v[36:37]
	v_add_f64 v[60:61], v[24:25], v[60:61]
	s_waitcnt lgkmcnt(0)
	v_mul_f64 v[24:25], v[42:43], v[58:59]
	v_add_f64 v[62:63], v[62:63], v[26:27]
	v_fma_f64 v[64:65], v[40:41], v[56:57], -v[24:25]
	ds_read_b128 v[24:27], v31 offset:2048
	v_mul_f64 v[40:41], v[40:41], v[58:59]
	v_fmac_f64_e32 v[40:41], v[42:43], v[56:57]
	v_add_f64 v[42:43], v[20:21], v[64:65]
	v_add_f64 v[40:41], v[40:41], v[22:23]
	ds_read_b128 v[20:23], v31 offset:2064
	s_waitcnt lgkmcnt(1)
	v_mul_f64 v[64:65], v[26:27], v[38:39]
	v_fma_f64 v[64:65], v[24:25], v[36:37], -v[64:65]
	v_mul_f64 v[38:39], v[24:25], v[38:39]
	v_fmac_f64_e32 v[38:39], v[26:27], v[36:37]
	v_add_f64 v[36:37], v[16:17], v[64:65]
	v_mul_f64 v[16:17], v[26:27], v[58:59]
	v_add_f64 v[38:39], v[38:39], v[18:19]
	v_fma_f64 v[64:65], v[24:25], v[56:57], -v[16:17]
	v_mul_f64 v[24:25], v[24:25], v[58:59]
	ds_read_b128 v[16:19], v30 offset:512
	v_fmac_f64_e32 v[24:25], v[26:27], v[56:57]
	v_add_f64 v[26:27], v[14:15], v[64:65]
	v_add_f64 v[24:25], v[24:25], v[12:13]
	ds_read_b128 v[12:15], v30 offset:768
	s_waitcnt lgkmcnt(1)
	v_mul_f64 v[56:57], v[46:47], v[18:19]
	v_fma_f64 v[56:57], v[44:45], v[16:17], -v[56:57]
	v_add_f64 v[56:57], v[60:61], v[56:57]
	v_mul_f64 v[58:59], v[44:45], v[18:19]
	s_waitcnt lgkmcnt(0)
	v_mul_f64 v[60:61], v[46:47], v[14:15]
	v_fma_f64 v[60:61], v[44:45], v[12:13], -v[60:61]
	v_mul_f64 v[44:45], v[44:45], v[14:15]
	v_fmac_f64_e32 v[44:45], v[46:47], v[12:13]
	v_add_f64 v[40:41], v[44:45], v[40:41]
	v_mul_f64 v[44:45], v[22:23], v[18:19]
	v_mul_f64 v[18:19], v[20:21], v[18:19]
	v_fmac_f64_e32 v[58:59], v[46:47], v[16:17]
	v_fma_f64 v[44:45], v[20:21], v[16:17], -v[44:45]
	v_fmac_f64_e32 v[18:19], v[22:23], v[16:17]
	v_mul_f64 v[16:17], v[22:23], v[14:15]
	v_add_f64 v[46:47], v[18:19], v[38:39]
	v_fma_f64 v[18:19], v[20:21], v[12:13], -v[16:17]
	v_mul_f64 v[20:21], v[20:21], v[14:15]
	ds_read_b128 v[14:17], v30 offset:1024
	v_fmac_f64_e32 v[20:21], v[22:23], v[12:13]
	v_add_f64 v[42:43], v[42:43], v[60:61]
	v_add_f64 v[26:27], v[26:27], v[18:19]
	;; [unrolled: 1-line block ×3, first 2 shown]
	ds_read_b128 v[18:21], v30 offset:1280
	s_waitcnt lgkmcnt(1)
	v_mul_f64 v[22:23], v[48:49], v[16:17]
	v_add_f64 v[58:59], v[58:59], v[62:63]
	v_fmac_f64_e32 v[22:23], v[50:51], v[14:15]
	v_add_f64 v[58:59], v[22:23], v[58:59]
	ds_read_b128 v[22:25], v31 offset:2080
	v_mul_f64 v[12:13], v[50:51], v[16:17]
	v_fma_f64 v[12:13], v[48:49], v[14:15], -v[12:13]
	v_add_f64 v[44:45], v[36:37], v[44:45]
	v_add_f64 v[56:57], v[56:57], v[12:13]
	s_waitcnt lgkmcnt(1)
	v_mul_f64 v[12:13], v[50:51], v[20:21]
	v_mul_f64 v[36:37], v[48:49], v[20:21]
	v_fma_f64 v[12:13], v[48:49], v[18:19], -v[12:13]
	v_fmac_f64_e32 v[36:37], v[50:51], v[18:19]
	v_add_f64 v[42:43], v[42:43], v[12:13]
	v_add_f64 v[40:41], v[36:37], v[40:41]
	ds_read_b128 v[36:39], v31 offset:2096
	s_waitcnt lgkmcnt(1)
	v_mul_f64 v[12:13], v[24:25], v[16:17]
	v_fma_f64 v[12:13], v[22:23], v[14:15], -v[12:13]
	v_mul_f64 v[16:17], v[22:23], v[16:17]
	v_fmac_f64_e32 v[16:17], v[24:25], v[14:15]
	v_add_f64 v[44:45], v[44:45], v[12:13]
	v_mul_f64 v[12:13], v[24:25], v[20:21]
	v_add_f64 v[46:47], v[16:17], v[46:47]
	v_fma_f64 v[16:17], v[22:23], v[18:19], -v[12:13]
	ds_read_b128 v[12:15], v30 offset:1536
	v_mul_f64 v[20:21], v[22:23], v[20:21]
	v_fmac_f64_e32 v[20:21], v[24:25], v[18:19]
	v_add_f64 v[22:23], v[26:27], v[16:17]
	ds_read_b128 v[16:19], v30 offset:1792
	s_waitcnt lgkmcnt(1)
	v_mul_f64 v[24:25], v[54:55], v[14:15]
	v_fma_f64 v[24:25], v[52:53], v[12:13], -v[24:25]
	v_mul_f64 v[26:27], v[52:53], v[14:15]
	v_fmac_f64_e32 v[26:27], v[54:55], v[12:13]
	v_add_f64 v[48:49], v[56:57], v[24:25]
	s_waitcnt lgkmcnt(0)
	v_mul_f64 v[24:25], v[54:55], v[18:19]
	v_add_f64 v[50:51], v[26:27], v[58:59]
	v_fma_f64 v[24:25], v[52:53], v[16:17], -v[24:25]
	v_mul_f64 v[26:27], v[52:53], v[18:19]
	v_fmac_f64_e32 v[26:27], v[54:55], v[16:17]
	v_add_f64 v[42:43], v[42:43], v[24:25]
	v_mul_f64 v[24:25], v[38:39], v[14:15]
	v_mul_f64 v[14:15], v[36:37], v[14:15]
	v_add_f64 v[40:41], v[26:27], v[40:41]
	v_fma_f64 v[24:25], v[36:37], v[12:13], -v[24:25]
	v_fmac_f64_e32 v[14:15], v[38:39], v[12:13]
	v_mul_f64 v[12:13], v[38:39], v[18:19]
	v_mul_f64 v[26:27], v[36:37], v[18:19]
	v_add_f64 v[44:45], v[44:45], v[24:25]
	v_add_f64 v[46:47], v[14:15], v[46:47]
	v_fma_f64 v[24:25], v[36:37], v[16:17], -v[12:13]
	v_fmac_f64_e32 v[26:27], v[38:39], v[16:17]
	ds_read_b128 v[12:15], v31 offset:64
	ds_read_b128 v[16:19], v30 offset:2048
	v_add_f64 v[20:21], v[20:21], v[60:61]
	v_add_f64 v[52:53], v[22:23], v[24:25]
	;; [unrolled: 1-line block ×3, first 2 shown]
	ds_read_b128 v[20:23], v30 offset:2304
	ds_read_b128 v[24:27], v31 offset:80
	s_waitcnt lgkmcnt(2)
	v_mul_f64 v[36:37], v[14:15], v[18:19]
	v_fma_f64 v[36:37], v[12:13], v[16:17], -v[36:37]
	v_mul_f64 v[38:39], v[12:13], v[18:19]
	v_fmac_f64_e32 v[38:39], v[14:15], v[16:17]
	v_add_f64 v[48:49], v[48:49], v[36:37]
	s_waitcnt lgkmcnt(1)
	v_mul_f64 v[36:37], v[14:15], v[22:23]
	v_add_f64 v[50:51], v[38:39], v[50:51]
	v_fma_f64 v[56:57], v[12:13], v[20:21], -v[36:37]
	ds_read_b128 v[36:39], v31 offset:2112
	v_mul_f64 v[12:13], v[12:13], v[22:23]
	v_fmac_f64_e32 v[12:13], v[14:15], v[20:21]
	v_add_f64 v[42:43], v[42:43], v[56:57]
	v_add_f64 v[40:41], v[12:13], v[40:41]
	ds_read_b128 v[12:15], v31 offset:2128
	s_waitcnt lgkmcnt(1)
	v_mul_f64 v[56:57], v[38:39], v[18:19]
	v_mul_f64 v[18:19], v[36:37], v[18:19]
	v_fma_f64 v[56:57], v[36:37], v[16:17], -v[56:57]
	v_fmac_f64_e32 v[18:19], v[38:39], v[16:17]
	v_mul_f64 v[16:17], v[38:39], v[22:23]
	v_add_f64 v[44:45], v[44:45], v[56:57]
	v_add_f64 v[46:47], v[18:19], v[46:47]
	v_fma_f64 v[56:57], v[36:37], v[20:21], -v[16:17]
	v_mul_f64 v[22:23], v[36:37], v[22:23]
	ds_read_b128 v[16:19], v30 offset:2560
	v_fmac_f64_e32 v[22:23], v[38:39], v[20:21]
	v_add_f64 v[38:39], v[22:23], v[54:55]
	ds_read_b128 v[20:23], v30 offset:2816
	v_add_f64 v[36:37], v[52:53], v[56:57]
	s_waitcnt lgkmcnt(1)
	v_mul_f64 v[52:53], v[26:27], v[18:19]
	v_fma_f64 v[52:53], v[24:25], v[16:17], -v[52:53]
	v_add_f64 v[48:49], v[48:49], v[52:53]
	s_waitcnt lgkmcnt(0)
	v_mul_f64 v[52:53], v[26:27], v[22:23]
	v_mul_f64 v[54:55], v[24:25], v[18:19]
	v_fma_f64 v[52:53], v[24:25], v[20:21], -v[52:53]
	v_mul_f64 v[24:25], v[24:25], v[22:23]
	v_fmac_f64_e32 v[24:25], v[26:27], v[20:21]
	v_add_f64 v[40:41], v[24:25], v[40:41]
	v_mul_f64 v[24:25], v[14:15], v[18:19]
	v_mul_f64 v[18:19], v[12:13], v[18:19]
	v_fmac_f64_e32 v[54:55], v[26:27], v[16:17]
	v_fma_f64 v[24:25], v[12:13], v[16:17], -v[24:25]
	v_fmac_f64_e32 v[18:19], v[14:15], v[16:17]
	v_mul_f64 v[16:17], v[14:15], v[22:23]
	v_mul_f64 v[22:23], v[12:13], v[22:23]
	v_add_f64 v[44:45], v[44:45], v[24:25]
	v_add_f64 v[46:47], v[18:19], v[46:47]
	v_fma_f64 v[24:25], v[12:13], v[20:21], -v[16:17]
	v_fmac_f64_e32 v[22:23], v[14:15], v[20:21]
	ds_read_b128 v[12:15], v31 offset:96
	ds_read_b128 v[16:19], v30 offset:3072
	v_add_f64 v[50:51], v[54:55], v[50:51]
	v_add_f64 v[42:43], v[42:43], v[52:53]
	;; [unrolled: 1-line block ×4, first 2 shown]
	ds_read_b128 v[20:23], v30 offset:3328
	ds_read_b128 v[36:39], v31 offset:112
	s_waitcnt lgkmcnt(2)
	v_mul_f64 v[24:25], v[14:15], v[18:19]
	v_fma_f64 v[24:25], v[12:13], v[16:17], -v[24:25]
	v_mul_f64 v[26:27], v[12:13], v[18:19]
	v_fmac_f64_e32 v[26:27], v[14:15], v[16:17]
	v_add_f64 v[48:49], v[48:49], v[24:25]
	s_waitcnt lgkmcnt(1)
	v_mul_f64 v[24:25], v[14:15], v[22:23]
	v_add_f64 v[50:51], v[26:27], v[50:51]
	v_fma_f64 v[56:57], v[12:13], v[20:21], -v[24:25]
	ds_read_b128 v[24:27], v31 offset:2144
	v_mul_f64 v[12:13], v[12:13], v[22:23]
	v_fmac_f64_e32 v[12:13], v[14:15], v[20:21]
	v_add_f64 v[58:59], v[12:13], v[40:41]
	ds_read_b128 v[12:15], v31 offset:2160
	s_waitcnt lgkmcnt(1)
	v_mul_f64 v[40:41], v[26:27], v[18:19]
	v_mul_f64 v[18:19], v[24:25], v[18:19]
	v_fma_f64 v[40:41], v[24:25], v[16:17], -v[40:41]
	v_fmac_f64_e32 v[18:19], v[26:27], v[16:17]
	v_mul_f64 v[16:17], v[26:27], v[22:23]
	v_add_f64 v[44:45], v[44:45], v[40:41]
	v_add_f64 v[46:47], v[18:19], v[46:47]
	v_fma_f64 v[40:41], v[24:25], v[20:21], -v[16:17]
	ds_read_b128 v[16:19], v30 offset:3584
	v_add_f64 v[56:57], v[42:43], v[56:57]
	v_add_f64 v[52:53], v[52:53], v[40:41]
	ds_read_b128 v[40:43], v30 offset:3840
	v_mul_f64 v[22:23], v[24:25], v[22:23]
	v_fmac_f64_e32 v[22:23], v[26:27], v[20:21]
	s_waitcnt lgkmcnt(1)
	v_mul_f64 v[20:21], v[38:39], v[18:19]
	v_add_f64 v[54:55], v[22:23], v[54:55]
	v_fma_f64 v[20:21], v[36:37], v[16:17], -v[20:21]
	v_mul_f64 v[22:23], v[36:37], v[18:19]
	v_fmac_f64_e32 v[22:23], v[38:39], v[16:17]
	v_add_f64 v[24:25], v[48:49], v[20:21]
	s_waitcnt lgkmcnt(0)
	v_mul_f64 v[20:21], v[38:39], v[42:43]
	v_add_f64 v[26:27], v[22:23], v[50:51]
	v_fma_f64 v[20:21], v[36:37], v[40:41], -v[20:21]
	v_mul_f64 v[22:23], v[36:37], v[42:43]
	v_mul_f64 v[36:37], v[14:15], v[18:19]
	v_fma_f64 v[36:37], v[12:13], v[16:17], -v[36:37]
	v_mul_f64 v[18:19], v[12:13], v[18:19]
	v_fmac_f64_e32 v[18:19], v[14:15], v[16:17]
	v_add_f64 v[16:17], v[44:45], v[36:37]
	v_mul_f64 v[36:37], v[14:15], v[42:43]
	s_add_u32 s14, s14, 8
	v_fma_f64 v[36:37], v[12:13], v[40:41], -v[36:37]
	v_mul_f64 v[12:13], v[12:13], v[42:43]
	s_addc_u32 s15, s15, 0
	v_fmac_f64_e32 v[12:13], v[14:15], v[40:41]
	v_add_f64 v[14:15], v[52:53], v[36:37]
	v_mov_b64_e32 v[36:37], s[14:15]
	v_fmac_f64_e32 v[22:23], v[38:39], v[40:41]
	v_cmp_gt_i64_e32 vcc, s[8:9], v[36:37]
	v_add_f64 v[20:21], v[56:57], v[20:21]
	v_add_f64 v[22:23], v[22:23], v[58:59]
	;; [unrolled: 1-line block ×4, first 2 shown]
	s_barrier
	s_cbranch_vccz .LBB562_18
.LBB562_8:                              ; =>This Inner Loop Header: Depth=1
	s_mov_b64 s[24:25], s[2:3]
	s_mov_b64 s[18:19], 0
	s_and_saveexec_b64 s[20:21], s[0:1]
	s_cbranch_execnz .LBB562_16
; %bb.9:                                ;   in Loop: Header=BB562_8 Depth=1
	s_or_b64 exec, exec, s[20:21]
	s_and_saveexec_b64 s[20:21], s[24:25]
	s_xor_b64 s[20:21], exec, s[20:21]
	s_cbranch_execnz .LBB562_17
.LBB562_10:                             ;   in Loop: Header=BB562_8 Depth=1
	s_or_b64 exec, exec, s[20:21]
	s_and_saveexec_b64 s[20:21], s[18:19]
	s_cbranch_execz .LBB562_12
.LBB562_11:                             ;   in Loop: Header=BB562_8 Depth=1
	v_lshl_add_u64 v[36:37], v[10:11], 4, v[4:5]
	flat_load_dwordx4 v[36:39], v[36:37]
	s_waitcnt vmcnt(0) lgkmcnt(0)
	ds_write2_b64 v28, v[36:37], v[38:39] offset1:1
.LBB562_12:                             ;   in Loop: Header=BB562_8 Depth=1
	s_or_b64 exec, exec, s[20:21]
	v_add_u32_e32 v8, s14, v0
	v_cmp_le_u64_e32 vcc, s[8:9], v[8:9]
	s_or_b64 s[18:19], vcc, s[16:17]
	s_and_saveexec_b64 s[20:21], s[18:19]
	s_xor_b64 s[18:19], exec, s[20:21]
; %bb.13:                               ;   in Loop: Header=BB562_8 Depth=1
	ds_write_b128 v29, v[32:35]
; %bb.14:                               ;   in Loop: Header=BB562_8 Depth=1
	s_andn2_saveexec_b64 s[18:19], s[18:19]
	s_cbranch_execz .LBB562_7
; %bb.15:                               ;   in Loop: Header=BB562_8 Depth=1
	v_mad_u64_u32 v[36:37], s[20:21], s22, v8, 0
	v_mov_b32_e32 v38, v37
	v_mad_u64_u32 v[38:39], s[20:21], s23, v8, v[38:39]
	v_mov_b32_e32 v37, v38
	v_lshl_add_u64 v[36:37], v[36:37], 4, v[6:7]
	flat_load_dwordx4 v[36:39], v[36:37]
	s_waitcnt vmcnt(0) lgkmcnt(0)
	ds_write2_b64 v29, v[36:37], v[38:39] offset1:1
	s_branch .LBB562_7
.LBB562_16:                             ;   in Loop: Header=BB562_8 Depth=1
	v_add_u32_e32 v8, s14, v2
	v_cmp_le_u64_e32 vcc, s[8:9], v[8:9]
	s_andn2_b64 s[24:25], s[2:3], exec
	s_and_b64 s[34:35], vcc, exec
	s_mov_b64 s[18:19], exec
	s_or_b64 s[24:25], s[24:25], s[34:35]
	v_mov_b64_e32 v[10:11], v[8:9]
	s_or_b64 exec, exec, s[20:21]
	s_and_saveexec_b64 s[20:21], s[24:25]
	s_xor_b64 s[20:21], exec, s[20:21]
	s_cbranch_execz .LBB562_10
.LBB562_17:                             ;   in Loop: Header=BB562_8 Depth=1
	ds_write_b128 v28, v[32:35]
	s_andn2_b64 s[18:19], s[18:19], exec
	s_or_b64 exec, exec, s[20:21]
	s_and_saveexec_b64 s[20:21], s[18:19]
	s_cbranch_execnz .LBB562_11
	s_branch .LBB562_12
.LBB562_18:
	s_waitcnt lgkmcnt(0)
	s_lshl_b64 s[0:1], s[38:39], 4
	v_add_u32_e32 v10, s31, v3
	s_add_u32 s4, s4, s0
	v_ashrrev_i32_e32 v0, 31, v10
	s_addc_u32 s5, s5, s1
	v_add_u32_e32 v4, s30, v1
	v_cmp_neq_f64_e64 s[0:1], s[26:27], 0
	s_xor_b64 s[6:7], s[6:7], -1
	v_mul_lo_u32 v2, s36, v0
	v_mul_lo_u32 v3, s37, v10
	v_mad_u64_u32 v[0:1], s[8:9], s36, v10, 0
	v_add3_u32 v1, v1, v2, v3
	s_or_b64 s[0:1], s[0:1], s[6:7]
	v_cmp_gt_i32_e64 s[2:3], s33, v10
	v_lshl_add_u64 v[8:9], v[0:1], 4, s[4:5]
	v_cmp_le_i32_e32 vcc, v4, v10
	v_cndmask_b32_e64 v0, 0, 1, s[0:1]
	s_and_b64 s[8:9], s[2:3], vcc
	v_ashrrev_i32_e32 v5, 31, v4
	v_cmp_ne_u32_e64 s[0:1], 1, v0
	s_and_saveexec_b64 s[6:7], s[8:9]
	s_cbranch_execz .LBB562_22
; %bb.19:
	v_mul_f64 v[0:1], s[12:13], v[26:27]
	v_mul_f64 v[2:3], s[10:11], v[26:27]
	v_fma_f64 v[0:1], s[10:11], v[24:25], -v[0:1]
	v_fmac_f64_e32 v[2:3], s[12:13], v[24:25]
	s_and_b64 vcc, exec, s[0:1]
	v_lshl_add_u64 v[6:7], v[4:5], 4, v[8:9]
	s_cbranch_vccnz .LBB562_21
; %bb.20:
	flat_load_dwordx4 v[24:27], v[6:7]
	s_waitcnt vmcnt(0) lgkmcnt(0)
	v_mul_f64 v[28:29], s[28:29], v[26:27]
	v_mul_f64 v[26:27], s[26:27], v[26:27]
	v_fma_f64 v[28:29], s[26:27], v[24:25], -v[28:29]
	v_fmac_f64_e32 v[26:27], s[28:29], v[24:25]
	v_add_f64 v[0:1], v[0:1], v[28:29]
	v_add_f64 v[2:3], v[2:3], v[26:27]
.LBB562_21:
	flat_store_dwordx4 v[6:7], v[0:3]
.LBB562_22:
	s_or_b64 exec, exec, s[6:7]
	v_add_u32_e32 v6, 16, v4
	v_cmp_le_i32_e32 vcc, v6, v10
	s_and_b64 s[6:7], s[2:3], vcc
	v_ashrrev_i32_e32 v7, 31, v6
	s_and_saveexec_b64 s[2:3], s[6:7]
	s_cbranch_execz .LBB562_26
; %bb.23:
	v_mul_f64 v[0:1], s[12:13], v[22:23]
	v_mul_f64 v[2:3], s[10:11], v[22:23]
	v_fma_f64 v[0:1], s[10:11], v[20:21], -v[0:1]
	v_fmac_f64_e32 v[2:3], s[12:13], v[20:21]
	s_and_b64 vcc, exec, s[0:1]
	v_lshl_add_u64 v[8:9], v[6:7], 4, v[8:9]
	s_cbranch_vccnz .LBB562_25
; %bb.24:
	flat_load_dwordx4 v[20:23], v[8:9]
	s_waitcnt vmcnt(0) lgkmcnt(0)
	v_mul_f64 v[24:25], s[28:29], v[22:23]
	v_mul_f64 v[22:23], s[26:27], v[22:23]
	v_fma_f64 v[24:25], s[26:27], v[20:21], -v[24:25]
	v_fmac_f64_e32 v[22:23], s[28:29], v[20:21]
	v_add_f64 v[0:1], v[0:1], v[24:25]
	v_add_f64 v[2:3], v[2:3], v[22:23]
.LBB562_25:
	flat_store_dwordx4 v[8:9], v[0:3]
.LBB562_26:
	s_or_b64 exec, exec, s[2:3]
	v_add_u32_e32 v10, 16, v10
	v_ashrrev_i32_e32 v0, 31, v10
	v_mul_lo_u32 v2, s36, v0
	v_mul_lo_u32 v3, s37, v10
	v_mad_u64_u32 v[0:1], s[6:7], s36, v10, 0
	v_cmp_gt_i32_e64 s[2:3], s33, v10
	v_add3_u32 v1, v1, v2, v3
	v_cmp_le_i32_e32 vcc, v4, v10
	v_lshl_add_u64 v[8:9], v[0:1], 4, s[4:5]
	s_and_b64 s[6:7], s[2:3], vcc
	s_and_saveexec_b64 s[4:5], s[6:7]
	s_cbranch_execz .LBB562_30
; %bb.27:
	v_mul_f64 v[0:1], s[12:13], v[18:19]
	v_mul_f64 v[2:3], s[10:11], v[18:19]
	v_fma_f64 v[0:1], s[10:11], v[16:17], -v[0:1]
	v_fmac_f64_e32 v[2:3], s[12:13], v[16:17]
	s_and_b64 vcc, exec, s[0:1]
	v_lshl_add_u64 v[4:5], v[4:5], 4, v[8:9]
	s_cbranch_vccnz .LBB562_29
; %bb.28:
	flat_load_dwordx4 v[16:19], v[4:5]
	s_waitcnt vmcnt(0) lgkmcnt(0)
	v_mul_f64 v[20:21], s[28:29], v[18:19]
	v_mul_f64 v[18:19], s[26:27], v[18:19]
	v_fma_f64 v[20:21], s[26:27], v[16:17], -v[20:21]
	v_fmac_f64_e32 v[18:19], s[28:29], v[16:17]
	v_add_f64 v[0:1], v[0:1], v[20:21]
	v_add_f64 v[2:3], v[2:3], v[18:19]
.LBB562_29:
	flat_store_dwordx4 v[4:5], v[0:3]
.LBB562_30:
	s_or_b64 exec, exec, s[4:5]
	v_cmp_le_i32_e32 vcc, v6, v10
	s_and_b64 s[2:3], s[2:3], vcc
	s_and_saveexec_b64 s[4:5], s[2:3]
	s_cbranch_execz .LBB562_34
; %bb.31:
	v_mul_f64 v[0:1], s[12:13], v[12:13]
	v_mul_f64 v[2:3], s[10:11], v[12:13]
	v_fma_f64 v[0:1], s[10:11], v[14:15], -v[0:1]
	v_fmac_f64_e32 v[2:3], s[12:13], v[14:15]
	s_and_b64 vcc, exec, s[0:1]
	v_lshl_add_u64 v[4:5], v[6:7], 4, v[8:9]
	s_cbranch_vccnz .LBB562_33
; %bb.32:
	flat_load_dwordx4 v[6:9], v[4:5]
	s_waitcnt vmcnt(0) lgkmcnt(0)
	v_mul_f64 v[10:11], s[28:29], v[8:9]
	v_mul_f64 v[8:9], s[26:27], v[8:9]
	v_fma_f64 v[10:11], s[26:27], v[6:7], -v[10:11]
	v_fmac_f64_e32 v[8:9], s[28:29], v[6:7]
	v_add_f64 v[0:1], v[0:1], v[10:11]
	v_add_f64 v[2:3], v[2:3], v[8:9]
.LBB562_33:
	flat_store_dwordx4 v[4:5], v[0:3]
.LBB562_34:
	s_endpgm
	.section	.rodata,"a",@progbits
	.p2align	6, 0x0
	.amdhsa_kernel _ZL29rocblas_internal_gemmt_kernelIlLi16ELi32ELi8ELc84ELc84ELc85ELb0ELb0E19rocblas_complex_numIdES1_PKPKS1_PKPS1_EviT_T9_T10_S9_lSB_S9_lSA_T11_S9_li
		.amdhsa_group_segment_fixed_size 8192
		.amdhsa_private_segment_fixed_size 0
		.amdhsa_kernarg_size 124
		.amdhsa_user_sgpr_count 2
		.amdhsa_user_sgpr_dispatch_ptr 0
		.amdhsa_user_sgpr_queue_ptr 0
		.amdhsa_user_sgpr_kernarg_segment_ptr 1
		.amdhsa_user_sgpr_dispatch_id 0
		.amdhsa_user_sgpr_kernarg_preload_length 0
		.amdhsa_user_sgpr_kernarg_preload_offset 0
		.amdhsa_user_sgpr_private_segment_size 0
		.amdhsa_uses_dynamic_stack 0
		.amdhsa_enable_private_segment 0
		.amdhsa_system_sgpr_workgroup_id_x 1
		.amdhsa_system_sgpr_workgroup_id_y 1
		.amdhsa_system_sgpr_workgroup_id_z 1
		.amdhsa_system_sgpr_workgroup_info 0
		.amdhsa_system_vgpr_workitem_id 1
		.amdhsa_next_free_vgpr 66
		.amdhsa_next_free_sgpr 40
		.amdhsa_accum_offset 68
		.amdhsa_reserve_vcc 1
		.amdhsa_float_round_mode_32 0
		.amdhsa_float_round_mode_16_64 0
		.amdhsa_float_denorm_mode_32 3
		.amdhsa_float_denorm_mode_16_64 3
		.amdhsa_dx10_clamp 1
		.amdhsa_ieee_mode 1
		.amdhsa_fp16_overflow 0
		.amdhsa_tg_split 0
		.amdhsa_exception_fp_ieee_invalid_op 0
		.amdhsa_exception_fp_denorm_src 0
		.amdhsa_exception_fp_ieee_div_zero 0
		.amdhsa_exception_fp_ieee_overflow 0
		.amdhsa_exception_fp_ieee_underflow 0
		.amdhsa_exception_fp_ieee_inexact 0
		.amdhsa_exception_int_div_zero 0
	.end_amdhsa_kernel
	.section	.text._ZL29rocblas_internal_gemmt_kernelIlLi16ELi32ELi8ELc84ELc84ELc85ELb0ELb0E19rocblas_complex_numIdES1_PKPKS1_PKPS1_EviT_T9_T10_S9_lSB_S9_lSA_T11_S9_li,"axG",@progbits,_ZL29rocblas_internal_gemmt_kernelIlLi16ELi32ELi8ELc84ELc84ELc85ELb0ELb0E19rocblas_complex_numIdES1_PKPKS1_PKPS1_EviT_T9_T10_S9_lSB_S9_lSA_T11_S9_li,comdat
.Lfunc_end562:
	.size	_ZL29rocblas_internal_gemmt_kernelIlLi16ELi32ELi8ELc84ELc84ELc85ELb0ELb0E19rocblas_complex_numIdES1_PKPKS1_PKPS1_EviT_T9_T10_S9_lSB_S9_lSA_T11_S9_li, .Lfunc_end562-_ZL29rocblas_internal_gemmt_kernelIlLi16ELi32ELi8ELc84ELc84ELc85ELb0ELb0E19rocblas_complex_numIdES1_PKPKS1_PKPS1_EviT_T9_T10_S9_lSB_S9_lSA_T11_S9_li
                                        ; -- End function
	.set _ZL29rocblas_internal_gemmt_kernelIlLi16ELi32ELi8ELc84ELc84ELc85ELb0ELb0E19rocblas_complex_numIdES1_PKPKS1_PKPS1_EviT_T9_T10_S9_lSB_S9_lSA_T11_S9_li.num_vgpr, 66
	.set _ZL29rocblas_internal_gemmt_kernelIlLi16ELi32ELi8ELc84ELc84ELc85ELb0ELb0E19rocblas_complex_numIdES1_PKPKS1_PKPS1_EviT_T9_T10_S9_lSB_S9_lSA_T11_S9_li.num_agpr, 0
	.set _ZL29rocblas_internal_gemmt_kernelIlLi16ELi32ELi8ELc84ELc84ELc85ELb0ELb0E19rocblas_complex_numIdES1_PKPKS1_PKPS1_EviT_T9_T10_S9_lSB_S9_lSA_T11_S9_li.numbered_sgpr, 40
	.set _ZL29rocblas_internal_gemmt_kernelIlLi16ELi32ELi8ELc84ELc84ELc85ELb0ELb0E19rocblas_complex_numIdES1_PKPKS1_PKPS1_EviT_T9_T10_S9_lSB_S9_lSA_T11_S9_li.num_named_barrier, 0
	.set _ZL29rocblas_internal_gemmt_kernelIlLi16ELi32ELi8ELc84ELc84ELc85ELb0ELb0E19rocblas_complex_numIdES1_PKPKS1_PKPS1_EviT_T9_T10_S9_lSB_S9_lSA_T11_S9_li.private_seg_size, 0
	.set _ZL29rocblas_internal_gemmt_kernelIlLi16ELi32ELi8ELc84ELc84ELc85ELb0ELb0E19rocblas_complex_numIdES1_PKPKS1_PKPS1_EviT_T9_T10_S9_lSB_S9_lSA_T11_S9_li.uses_vcc, 1
	.set _ZL29rocblas_internal_gemmt_kernelIlLi16ELi32ELi8ELc84ELc84ELc85ELb0ELb0E19rocblas_complex_numIdES1_PKPKS1_PKPS1_EviT_T9_T10_S9_lSB_S9_lSA_T11_S9_li.uses_flat_scratch, 0
	.set _ZL29rocblas_internal_gemmt_kernelIlLi16ELi32ELi8ELc84ELc84ELc85ELb0ELb0E19rocblas_complex_numIdES1_PKPKS1_PKPS1_EviT_T9_T10_S9_lSB_S9_lSA_T11_S9_li.has_dyn_sized_stack, 0
	.set _ZL29rocblas_internal_gemmt_kernelIlLi16ELi32ELi8ELc84ELc84ELc85ELb0ELb0E19rocblas_complex_numIdES1_PKPKS1_PKPS1_EviT_T9_T10_S9_lSB_S9_lSA_T11_S9_li.has_recursion, 0
	.set _ZL29rocblas_internal_gemmt_kernelIlLi16ELi32ELi8ELc84ELc84ELc85ELb0ELb0E19rocblas_complex_numIdES1_PKPKS1_PKPS1_EviT_T9_T10_S9_lSB_S9_lSA_T11_S9_li.has_indirect_call, 0
	.section	.AMDGPU.csdata,"",@progbits
; Kernel info:
; codeLenInByte = 3224
; TotalNumSgprs: 46
; NumVgprs: 66
; NumAgprs: 0
; TotalNumVgprs: 66
; ScratchSize: 0
; MemoryBound: 0
; FloatMode: 240
; IeeeMode: 1
; LDSByteSize: 8192 bytes/workgroup (compile time only)
; SGPRBlocks: 5
; VGPRBlocks: 8
; NumSGPRsForWavesPerEU: 46
; NumVGPRsForWavesPerEU: 66
; AccumOffset: 68
; Occupancy: 7
; WaveLimiterHint : 1
; COMPUTE_PGM_RSRC2:SCRATCH_EN: 0
; COMPUTE_PGM_RSRC2:USER_SGPR: 2
; COMPUTE_PGM_RSRC2:TRAP_HANDLER: 0
; COMPUTE_PGM_RSRC2:TGID_X_EN: 1
; COMPUTE_PGM_RSRC2:TGID_Y_EN: 1
; COMPUTE_PGM_RSRC2:TGID_Z_EN: 1
; COMPUTE_PGM_RSRC2:TIDIG_COMP_CNT: 1
; COMPUTE_PGM_RSRC3_GFX90A:ACCUM_OFFSET: 16
; COMPUTE_PGM_RSRC3_GFX90A:TG_SPLIT: 0
	.section	.text._ZL29rocblas_internal_gemmt_kernelIlLi16ELi32ELi8ELc84ELc67ELc85ELb0ELb1E19rocblas_complex_numIdES1_PKPKS1_PKPS1_EviT_T9_T10_S9_lSB_S9_lSA_T11_S9_li,"axG",@progbits,_ZL29rocblas_internal_gemmt_kernelIlLi16ELi32ELi8ELc84ELc67ELc85ELb0ELb1E19rocblas_complex_numIdES1_PKPKS1_PKPS1_EviT_T9_T10_S9_lSB_S9_lSA_T11_S9_li,comdat
	.globl	_ZL29rocblas_internal_gemmt_kernelIlLi16ELi32ELi8ELc84ELc67ELc85ELb0ELb1E19rocblas_complex_numIdES1_PKPKS1_PKPS1_EviT_T9_T10_S9_lSB_S9_lSA_T11_S9_li ; -- Begin function _ZL29rocblas_internal_gemmt_kernelIlLi16ELi32ELi8ELc84ELc67ELc85ELb0ELb1E19rocblas_complex_numIdES1_PKPKS1_PKPS1_EviT_T9_T10_S9_lSB_S9_lSA_T11_S9_li
	.p2align	8
	.type	_ZL29rocblas_internal_gemmt_kernelIlLi16ELi32ELi8ELc84ELc67ELc85ELb0ELb1E19rocblas_complex_numIdES1_PKPKS1_PKPS1_EviT_T9_T10_S9_lSB_S9_lSA_T11_S9_li,@function
_ZL29rocblas_internal_gemmt_kernelIlLi16ELi32ELi8ELc84ELc67ELc85ELb0ELb1E19rocblas_complex_numIdES1_PKPKS1_PKPS1_EviT_T9_T10_S9_lSB_S9_lSA_T11_S9_li: ; @_ZL29rocblas_internal_gemmt_kernelIlLi16ELi32ELi8ELc84ELc67ELc85ELb0ELb1E19rocblas_complex_numIdES1_PKPKS1_PKPS1_EviT_T9_T10_S9_lSB_S9_lSA_T11_S9_li
; %bb.0:
	s_load_dwordx8 s[24:31], s[0:1], 0x48
	s_load_dwordx16 s[8:23], s[0:1], 0x8
	s_mov_b64 s[34:35], 0
	s_waitcnt lgkmcnt(0)
	v_cmp_eq_f64_e64 s[36:37], s[26:27], 1.0
	v_cmp_eq_f64_e64 s[6:7], s[28:29], 0
	s_and_b64 s[36:37], s[36:37], s[6:7]
	s_andn2_b64 vcc, exec, s[36:37]
	s_mov_b64 s[36:37], -1
	s_cbranch_vccnz .LBB563_4
; %bb.1:
	s_cmp_lg_u64 s[8:9], 0
	s_cbranch_scc0 .LBB563_3
; %bb.2:
	v_cmp_neq_f64_e64 s[34:35], s[10:11], 0
	v_cmp_neq_f64_e64 s[36:37], s[12:13], 0
	s_or_b64 s[34:35], s[34:35], s[36:37]
.LBB563_3:
	s_mov_b64 s[36:37], s[34:35]
.LBB563_4:
	s_and_b64 vcc, exec, s[36:37]
	s_cbranch_vccz .LBB563_32
; %bb.5:
	s_mov_b32 s5, 0
	s_load_dwordx4 s[36:39], s[0:1], 0x68
	s_load_dword s33, s[0:1], 0x0
	s_lshl_b64 s[0:1], s[4:5], 3
	s_add_u32 s4, s30, s0
	s_addc_u32 s5, s31, s1
	s_load_dwordx2 s[4:5], s[4:5], 0x0
	s_lshl_b32 s30, s2, 5
	s_lshl_b32 s31, s3, 5
	v_cmp_eq_f64_e64 s[2:3], s[10:11], 0
	v_cmp_eq_f64_e64 s[34:35], s[12:13], 0
	s_and_b64 s[2:3], s[2:3], s[34:35]
	v_cmp_lt_i64_e64 s[34:35], s[8:9], 1
	s_or_b64 s[2:3], s[2:3], s[34:35]
	v_and_b32_e32 v5, 0x3ff, v0
	v_bfe_u32 v7, v0, 10, 10
	v_mov_b64_e32 v[28:29], 0
	s_and_b64 vcc, exec, s[2:3]
	v_mov_b64_e32 v[30:31], 0
	v_mov_b64_e32 v[24:25], 0
	;; [unrolled: 1-line block ×7, first 2 shown]
	s_cbranch_vccnz .LBB563_16
; %bb.6:
	s_add_u32 s2, s20, s0
	s_addc_u32 s3, s21, s1
	s_load_dwordx2 s[2:3], s[2:3], 0x0
	s_lshl_b64 s[20:21], s[24:25], 4
	v_lshl_add_u32 v1, v7, 4, v5
	v_lshrrev_b32_e32 v6, 5, v1
	v_lshrrev_b32_e32 v10, 3, v1
	s_waitcnt lgkmcnt(0)
	s_add_u32 s20, s2, s20
	s_addc_u32 s21, s3, s21
	s_add_u32 s0, s14, s0
	s_addc_u32 s1, s15, s1
	s_load_dwordx2 s[0:1], s[0:1], 0x0
	s_lshl_b64 s[2:3], s[18:19], 4
	v_and_b32_e32 v1, 31, v1
	v_or_b32_e32 v2, s30, v1
	v_lshlrev_b32_e32 v1, 4, v1
	s_waitcnt lgkmcnt(0)
	s_add_u32 s2, s0, s2
	s_addc_u32 s3, s1, s3
	s_ashr_i32 s24, s30, 31
	v_and_b32_e32 v4, 7, v5
	v_cmp_gt_i32_e64 s[0:1], s33, v2
	v_cmp_le_i32_e64 s[14:15], s33, v2
	v_lshl_or_b32 v32, v6, 9, v1
	v_mul_lo_u32 v1, s17, v2
	v_mad_u64_u32 v[2:3], s[18:19], s16, v2, 0
	s_mul_i32 s16, s16, s24
	v_add3_u32 v3, v3, s16, v1
	v_lshlrev_b32_e32 v1, 4, v4
	v_add_u32_e32 v0, s31, v10
	v_lshl_or_b32 v1, v10, 7, v1
	v_add_u32_e32 v33, 0x1000, v1
	v_ashrrev_i32_e32 v1, 31, v0
	v_lshl_add_u64 v[8:9], v[2:3], 4, s[2:3]
	v_cmp_gt_i32_e64 s[2:3], s33, v0
	v_lshl_add_u64 v[10:11], v[0:1], 4, s[20:21]
	v_mov_b32_e32 v0, 0x1000
	v_mov_b32_e32 v13, 0
	v_lshlrev_b32_e32 v34, 4, v5
	v_lshl_add_u32 v35, v7, 7, v0
	v_mov_b64_e32 v[16:17], 0
	s_mov_b64 s[16:17], 0
	v_mov_b32_e32 v36, v13
	v_mov_b32_e32 v37, v13
	;; [unrolled: 1-line block ×4, first 2 shown]
	v_mov_b64_e32 v[18:19], 0
	v_mov_b64_e32 v[22:23], 0
	;; [unrolled: 1-line block ×7, first 2 shown]
                                        ; implicit-def: $vgpr14_vgpr15
	s_branch .LBB563_8
.LBB563_7:                              ;   in Loop: Header=BB563_8 Depth=1
	s_or_b64 exec, exec, s[18:19]
	ds_write_b128 v33, v[0:3]
	s_waitcnt lgkmcnt(0)
	s_barrier
	ds_read_b128 v[0:3], v34
	ds_read_b128 v[40:43], v35
	ds_read_b128 v[44:47], v35 offset:16
	ds_read_b128 v[48:51], v35 offset:32
	;; [unrolled: 1-line block ×4, first 2 shown]
	s_waitcnt lgkmcnt(4)
	v_mul_f64 v[60:61], v[42:43], v[2:3]
	v_fma_f64 v[60:61], v[40:41], v[0:1], -v[60:61]
	v_mul_f64 v[62:63], v[40:41], v[2:3]
	v_fmac_f64_e32 v[62:63], v[42:43], v[0:1]
	v_add_f64 v[60:61], v[28:29], v[60:61]
	s_waitcnt lgkmcnt(0)
	v_mul_f64 v[28:29], v[42:43], v[58:59]
	v_add_f64 v[62:63], v[62:63], v[30:31]
	v_fma_f64 v[64:65], v[40:41], v[56:57], -v[28:29]
	ds_read_b128 v[28:31], v35 offset:2048
	v_mul_f64 v[40:41], v[40:41], v[58:59]
	v_fmac_f64_e32 v[40:41], v[42:43], v[56:57]
	v_add_f64 v[42:43], v[24:25], v[64:65]
	v_add_f64 v[40:41], v[40:41], v[26:27]
	ds_read_b128 v[24:27], v35 offset:2064
	s_waitcnt lgkmcnt(1)
	v_mul_f64 v[64:65], v[30:31], v[2:3]
	v_mul_f64 v[2:3], v[28:29], v[2:3]
	v_fma_f64 v[64:65], v[28:29], v[0:1], -v[64:65]
	v_fmac_f64_e32 v[2:3], v[30:31], v[0:1]
	v_mul_f64 v[0:1], v[30:31], v[58:59]
	v_add_f64 v[20:21], v[20:21], v[64:65]
	v_add_f64 v[22:23], v[2:3], v[22:23]
	v_fma_f64 v[64:65], v[28:29], v[56:57], -v[0:1]
	v_mul_f64 v[28:29], v[28:29], v[58:59]
	ds_read_b128 v[0:3], v34 offset:512
	v_fmac_f64_e32 v[28:29], v[30:31], v[56:57]
	v_add_f64 v[30:31], v[18:19], v[64:65]
	v_add_f64 v[28:29], v[28:29], v[16:17]
	ds_read_b128 v[16:19], v34 offset:768
	s_waitcnt lgkmcnt(1)
	v_mul_f64 v[56:57], v[46:47], v[2:3]
	v_fma_f64 v[56:57], v[44:45], v[0:1], -v[56:57]
	v_add_f64 v[56:57], v[60:61], v[56:57]
	v_mul_f64 v[58:59], v[44:45], v[2:3]
	s_waitcnt lgkmcnt(0)
	v_mul_f64 v[60:61], v[46:47], v[18:19]
	v_fma_f64 v[60:61], v[44:45], v[16:17], -v[60:61]
	v_mul_f64 v[44:45], v[44:45], v[18:19]
	v_fmac_f64_e32 v[44:45], v[46:47], v[16:17]
	v_add_f64 v[40:41], v[44:45], v[40:41]
	v_mul_f64 v[44:45], v[26:27], v[2:3]
	v_mul_f64 v[2:3], v[24:25], v[2:3]
	v_fmac_f64_e32 v[58:59], v[46:47], v[0:1]
	v_fma_f64 v[44:45], v[24:25], v[0:1], -v[44:45]
	v_fmac_f64_e32 v[2:3], v[26:27], v[0:1]
	v_mul_f64 v[0:1], v[26:27], v[18:19]
	v_add_f64 v[44:45], v[20:21], v[44:45]
	v_add_f64 v[46:47], v[2:3], v[22:23]
	v_fma_f64 v[20:21], v[24:25], v[16:17], -v[0:1]
	v_mul_f64 v[18:19], v[24:25], v[18:19]
	ds_read_b128 v[0:3], v34 offset:1024
	v_fmac_f64_e32 v[18:19], v[26:27], v[16:17]
	v_add_f64 v[28:29], v[18:19], v[28:29]
	ds_read_b128 v[16:19], v34 offset:1280
	v_add_f64 v[30:31], v[30:31], v[20:21]
	s_waitcnt lgkmcnt(1)
	v_mul_f64 v[20:21], v[50:51], v[2:3]
	v_fma_f64 v[20:21], v[48:49], v[0:1], -v[20:21]
	v_mul_f64 v[22:23], v[48:49], v[2:3]
	v_add_f64 v[58:59], v[58:59], v[62:63]
	v_fmac_f64_e32 v[22:23], v[50:51], v[0:1]
	v_add_f64 v[56:57], v[56:57], v[20:21]
	s_waitcnt lgkmcnt(0)
	v_mul_f64 v[20:21], v[50:51], v[18:19]
	v_add_f64 v[58:59], v[22:23], v[58:59]
	v_fma_f64 v[24:25], v[48:49], v[16:17], -v[20:21]
	ds_read_b128 v[20:23], v35 offset:2080
	v_mul_f64 v[26:27], v[48:49], v[18:19]
	v_add_f64 v[42:43], v[42:43], v[60:61]
	v_fmac_f64_e32 v[26:27], v[50:51], v[16:17]
	v_add_f64 v[42:43], v[42:43], v[24:25]
	v_add_f64 v[40:41], v[26:27], v[40:41]
	ds_read_b128 v[24:27], v35 offset:2096
	s_waitcnt lgkmcnt(1)
	v_mul_f64 v[48:49], v[22:23], v[2:3]
	v_mul_f64 v[2:3], v[20:21], v[2:3]
	v_fma_f64 v[48:49], v[20:21], v[0:1], -v[48:49]
	v_fmac_f64_e32 v[2:3], v[22:23], v[0:1]
	v_mul_f64 v[0:1], v[22:23], v[18:19]
	v_mul_f64 v[18:19], v[20:21], v[18:19]
	v_fmac_f64_e32 v[18:19], v[22:23], v[16:17]
	v_add_f64 v[44:45], v[44:45], v[48:49]
	v_add_f64 v[46:47], v[2:3], v[46:47]
	v_fma_f64 v[48:49], v[20:21], v[16:17], -v[0:1]
	ds_read_b128 v[0:3], v34 offset:1536
	v_add_f64 v[22:23], v[18:19], v[28:29]
	ds_read_b128 v[16:19], v34 offset:1792
	v_add_f64 v[20:21], v[30:31], v[48:49]
	s_add_u32 s16, s16, 8
	s_waitcnt lgkmcnt(1)
	v_mul_f64 v[28:29], v[54:55], v[2:3]
	v_mul_f64 v[30:31], v[52:53], v[2:3]
	s_waitcnt lgkmcnt(0)
	v_mul_f64 v[48:49], v[54:55], v[18:19]
	v_fma_f64 v[48:49], v[52:53], v[16:17], -v[48:49]
	v_add_f64 v[42:43], v[42:43], v[48:49]
	v_mul_f64 v[48:49], v[26:27], v[2:3]
	v_mul_f64 v[2:3], v[24:25], v[2:3]
	v_fma_f64 v[28:29], v[52:53], v[0:1], -v[28:29]
	v_fmac_f64_e32 v[30:31], v[54:55], v[0:1]
	v_fma_f64 v[48:49], v[24:25], v[0:1], -v[48:49]
	v_fmac_f64_e32 v[2:3], v[26:27], v[0:1]
	v_mul_f64 v[0:1], v[26:27], v[18:19]
	v_mul_f64 v[50:51], v[52:53], v[18:19]
	v_add_f64 v[44:45], v[44:45], v[48:49]
	v_fma_f64 v[48:49], v[24:25], v[16:17], -v[0:1]
	v_mul_f64 v[24:25], v[24:25], v[18:19]
	v_fmac_f64_e32 v[50:51], v[54:55], v[16:17]
	v_add_f64 v[46:47], v[2:3], v[46:47]
	v_fmac_f64_e32 v[24:25], v[26:27], v[16:17]
	ds_read_b128 v[0:3], v35 offset:64
	ds_read_b128 v[16:19], v34 offset:2048
	v_add_f64 v[40:41], v[50:51], v[40:41]
	v_add_f64 v[48:49], v[20:21], v[48:49]
	;; [unrolled: 1-line block ×3, first 2 shown]
	ds_read_b128 v[20:23], v34 offset:2304
	ds_read_b128 v[24:27], v35 offset:80
	s_waitcnt lgkmcnt(2)
	v_mul_f64 v[52:53], v[2:3], v[18:19]
	v_add_f64 v[28:29], v[56:57], v[28:29]
	v_fma_f64 v[52:53], v[0:1], v[16:17], -v[52:53]
	v_mul_f64 v[54:55], v[0:1], v[18:19]
	v_add_f64 v[30:31], v[30:31], v[58:59]
	v_fmac_f64_e32 v[54:55], v[2:3], v[16:17]
	v_add_f64 v[52:53], v[28:29], v[52:53]
	s_waitcnt lgkmcnt(1)
	v_mul_f64 v[28:29], v[2:3], v[22:23]
	v_add_f64 v[54:55], v[54:55], v[30:31]
	v_fma_f64 v[56:57], v[0:1], v[20:21], -v[28:29]
	ds_read_b128 v[28:31], v35 offset:2112
	v_mul_f64 v[0:1], v[0:1], v[22:23]
	v_fmac_f64_e32 v[0:1], v[2:3], v[20:21]
	v_add_f64 v[42:43], v[42:43], v[56:57]
	v_add_f64 v[40:41], v[0:1], v[40:41]
	ds_read_b128 v[0:3], v35 offset:2128
	s_waitcnt lgkmcnt(1)
	v_mul_f64 v[56:57], v[30:31], v[18:19]
	v_mul_f64 v[18:19], v[28:29], v[18:19]
	v_fma_f64 v[56:57], v[28:29], v[16:17], -v[56:57]
	v_fmac_f64_e32 v[18:19], v[30:31], v[16:17]
	v_mul_f64 v[16:17], v[30:31], v[22:23]
	v_add_f64 v[44:45], v[44:45], v[56:57]
	v_add_f64 v[46:47], v[18:19], v[46:47]
	v_fma_f64 v[56:57], v[28:29], v[20:21], -v[16:17]
	v_mul_f64 v[22:23], v[28:29], v[22:23]
	ds_read_b128 v[16:19], v34 offset:2560
	v_fmac_f64_e32 v[22:23], v[30:31], v[20:21]
	v_add_f64 v[30:31], v[22:23], v[50:51]
	ds_read_b128 v[20:23], v34 offset:2816
	v_add_f64 v[28:29], v[48:49], v[56:57]
	s_waitcnt lgkmcnt(1)
	v_mul_f64 v[48:49], v[26:27], v[18:19]
	v_fma_f64 v[48:49], v[24:25], v[16:17], -v[48:49]
	v_add_f64 v[48:49], v[52:53], v[48:49]
	s_waitcnt lgkmcnt(0)
	v_mul_f64 v[52:53], v[26:27], v[22:23]
	v_mul_f64 v[50:51], v[24:25], v[18:19]
	v_fma_f64 v[52:53], v[24:25], v[20:21], -v[52:53]
	v_mul_f64 v[24:25], v[24:25], v[22:23]
	v_fmac_f64_e32 v[24:25], v[26:27], v[20:21]
	v_add_f64 v[40:41], v[24:25], v[40:41]
	v_mul_f64 v[24:25], v[2:3], v[18:19]
	v_mul_f64 v[18:19], v[0:1], v[18:19]
	v_fmac_f64_e32 v[50:51], v[26:27], v[16:17]
	v_fma_f64 v[24:25], v[0:1], v[16:17], -v[24:25]
	v_fmac_f64_e32 v[18:19], v[2:3], v[16:17]
	v_mul_f64 v[16:17], v[2:3], v[22:23]
	v_mul_f64 v[22:23], v[0:1], v[22:23]
	v_add_f64 v[44:45], v[44:45], v[24:25]
	v_add_f64 v[46:47], v[18:19], v[46:47]
	v_fma_f64 v[24:25], v[0:1], v[20:21], -v[16:17]
	v_fmac_f64_e32 v[22:23], v[2:3], v[20:21]
	ds_read_b128 v[0:3], v35 offset:96
	ds_read_b128 v[16:19], v34 offset:3072
	v_add_f64 v[50:51], v[50:51], v[54:55]
	v_add_f64 v[42:43], v[42:43], v[52:53]
	;; [unrolled: 1-line block ×4, first 2 shown]
	ds_read_b128 v[20:23], v34 offset:3328
	ds_read_b128 v[24:27], v35 offset:112
	s_waitcnt lgkmcnt(2)
	v_mul_f64 v[28:29], v[2:3], v[18:19]
	v_fma_f64 v[28:29], v[0:1], v[16:17], -v[28:29]
	v_mul_f64 v[30:31], v[0:1], v[18:19]
	v_fmac_f64_e32 v[30:31], v[2:3], v[16:17]
	v_add_f64 v[48:49], v[48:49], v[28:29]
	s_waitcnt lgkmcnt(1)
	v_mul_f64 v[28:29], v[2:3], v[22:23]
	v_add_f64 v[50:51], v[30:31], v[50:51]
	v_fma_f64 v[56:57], v[0:1], v[20:21], -v[28:29]
	ds_read_b128 v[28:31], v35 offset:2144
	v_mul_f64 v[0:1], v[0:1], v[22:23]
	v_fmac_f64_e32 v[0:1], v[2:3], v[20:21]
	v_add_f64 v[58:59], v[0:1], v[40:41]
	ds_read_b128 v[0:3], v35 offset:2160
	s_waitcnt lgkmcnt(1)
	v_mul_f64 v[40:41], v[30:31], v[18:19]
	v_mul_f64 v[18:19], v[28:29], v[18:19]
	v_fma_f64 v[40:41], v[28:29], v[16:17], -v[40:41]
	v_fmac_f64_e32 v[18:19], v[30:31], v[16:17]
	v_mul_f64 v[16:17], v[30:31], v[22:23]
	v_add_f64 v[44:45], v[44:45], v[40:41]
	v_add_f64 v[46:47], v[18:19], v[46:47]
	v_fma_f64 v[40:41], v[28:29], v[20:21], -v[16:17]
	ds_read_b128 v[16:19], v34 offset:3584
	v_add_f64 v[56:57], v[42:43], v[56:57]
	v_add_f64 v[52:53], v[52:53], v[40:41]
	ds_read_b128 v[40:43], v34 offset:3840
	v_mul_f64 v[22:23], v[28:29], v[22:23]
	v_fmac_f64_e32 v[22:23], v[30:31], v[20:21]
	s_waitcnt lgkmcnt(1)
	v_mul_f64 v[20:21], v[26:27], v[18:19]
	v_fma_f64 v[20:21], v[24:25], v[16:17], -v[20:21]
	v_add_f64 v[54:55], v[22:23], v[54:55]
	v_mul_f64 v[22:23], v[24:25], v[18:19]
	v_add_f64 v[28:29], v[48:49], v[20:21]
	s_waitcnt lgkmcnt(0)
	v_mul_f64 v[20:21], v[26:27], v[42:43]
	v_fmac_f64_e32 v[22:23], v[26:27], v[16:17]
	v_fma_f64 v[20:21], v[24:25], v[40:41], -v[20:21]
	v_add_f64 v[30:31], v[22:23], v[50:51]
	v_mul_f64 v[22:23], v[24:25], v[42:43]
	v_add_f64 v[24:25], v[56:57], v[20:21]
	v_mul_f64 v[20:21], v[2:3], v[18:19]
	v_mul_f64 v[18:19], v[0:1], v[18:19]
	v_fma_f64 v[20:21], v[0:1], v[16:17], -v[20:21]
	v_fmac_f64_e32 v[18:19], v[2:3], v[16:17]
	v_mul_f64 v[16:17], v[2:3], v[42:43]
	v_fma_f64 v[16:17], v[0:1], v[40:41], -v[16:17]
	v_mul_f64 v[0:1], v[0:1], v[42:43]
	v_fmac_f64_e32 v[22:23], v[26:27], v[40:41]
	v_fmac_f64_e32 v[0:1], v[2:3], v[40:41]
	s_addc_u32 s17, s17, 0
	v_add_f64 v[26:27], v[22:23], v[58:59]
	v_add_f64 v[22:23], v[18:19], v[46:47]
	;; [unrolled: 1-line block ×4, first 2 shown]
	v_mov_b64_e32 v[0:1], s[16:17]
	v_cmp_gt_i64_e32 vcc, s[8:9], v[0:1]
	v_add_f64 v[20:21], v[44:45], v[20:21]
	s_barrier
	s_cbranch_vccz .LBB563_16
.LBB563_8:                              ; =>This Inner Loop Header: Depth=1
	s_mov_b64 s[24:25], s[14:15]
	s_mov_b64 s[18:19], 0
	s_and_saveexec_b64 s[20:21], s[0:1]
	s_cbranch_execnz .LBB563_14
; %bb.9:                                ;   in Loop: Header=BB563_8 Depth=1
	s_or_b64 exec, exec, s[20:21]
	s_and_saveexec_b64 s[20:21], s[24:25]
	s_xor_b64 s[20:21], exec, s[20:21]
	s_cbranch_execnz .LBB563_15
.LBB563_10:                             ;   in Loop: Header=BB563_8 Depth=1
	s_or_b64 exec, exec, s[20:21]
	s_and_saveexec_b64 s[20:21], s[18:19]
	s_cbranch_execz .LBB563_12
.LBB563_11:                             ;   in Loop: Header=BB563_8 Depth=1
	v_lshl_add_u64 v[0:1], v[14:15], 4, v[8:9]
	flat_load_dwordx4 v[0:3], v[0:1]
	s_waitcnt vmcnt(0) lgkmcnt(0)
	ds_write2_b64 v32, v[0:1], v[2:3] offset1:1
.LBB563_12:                             ;   in Loop: Header=BB563_8 Depth=1
	s_or_b64 exec, exec, s[20:21]
	v_add_u32_e32 v12, s16, v4
	v_cmp_gt_u64_e32 vcc, s[8:9], v[12:13]
	s_and_b64 s[20:21], vcc, s[2:3]
	v_mov_b64_e32 v[0:1], 0
	v_mov_b64_e32 v[2:3], 0
	s_and_saveexec_b64 s[18:19], s[20:21]
	s_cbranch_execz .LBB563_7
; %bb.13:                               ;   in Loop: Header=BB563_8 Depth=1
	v_mad_u64_u32 v[0:1], s[20:21], s22, v12, 0
	v_mov_b32_e32 v2, v1
	v_mad_u64_u32 v[2:3], s[20:21], s23, v12, v[2:3]
	v_mov_b32_e32 v1, v2
	v_lshl_add_u64 v[0:1], v[0:1], 4, v[10:11]
	flat_load_dwordx4 v[0:3], v[0:1]
	s_waitcnt vmcnt(0) lgkmcnt(0)
	v_xor_b32_e32 v3, 0x80000000, v3
	s_branch .LBB563_7
.LBB563_14:                             ;   in Loop: Header=BB563_8 Depth=1
	v_add_u32_e32 v12, s16, v6
	v_cmp_le_u64_e32 vcc, s[8:9], v[12:13]
	s_andn2_b64 s[24:25], s[14:15], exec
	s_and_b64 s[34:35], vcc, exec
	s_mov_b64 s[18:19], exec
	s_or_b64 s[24:25], s[24:25], s[34:35]
	v_mov_b64_e32 v[14:15], v[12:13]
	s_or_b64 exec, exec, s[20:21]
	s_and_saveexec_b64 s[20:21], s[24:25]
	s_xor_b64 s[20:21], exec, s[20:21]
	s_cbranch_execz .LBB563_10
.LBB563_15:                             ;   in Loop: Header=BB563_8 Depth=1
	ds_write_b128 v32, v[36:39]
	s_andn2_b64 s[18:19], s[18:19], exec
	s_or_b64 exec, exec, s[20:21]
	s_and_saveexec_b64 s[20:21], s[18:19]
	s_cbranch_execnz .LBB563_11
	s_branch .LBB563_12
.LBB563_16:
	s_waitcnt lgkmcnt(0)
	s_lshl_b64 s[0:1], s[38:39], 4
	v_add_u32_e32 v10, s31, v7
	s_add_u32 s4, s4, s0
	v_ashrrev_i32_e32 v0, 31, v10
	s_addc_u32 s5, s5, s1
	v_cmp_neq_f64_e64 s[0:1], s[26:27], 0
	s_xor_b64 s[6:7], s[6:7], -1
	v_mul_lo_u32 v2, s36, v0
	v_mul_lo_u32 v3, s37, v10
	v_mad_u64_u32 v[0:1], s[8:9], s36, v10, 0
	v_add_u32_e32 v4, s30, v5
	v_add3_u32 v1, v1, v2, v3
	s_or_b64 s[0:1], s[0:1], s[6:7]
	v_cmp_gt_i32_e64 s[2:3], s33, v10
	v_lshl_add_u64 v[8:9], v[0:1], 4, s[4:5]
	v_cmp_le_i32_e32 vcc, v4, v10
	v_cndmask_b32_e64 v0, 0, 1, s[0:1]
	s_and_b64 s[8:9], s[2:3], vcc
	v_ashrrev_i32_e32 v5, 31, v4
	v_cmp_ne_u32_e64 s[0:1], 1, v0
	s_and_saveexec_b64 s[6:7], s[8:9]
	s_cbranch_execz .LBB563_20
; %bb.17:
	v_mul_f64 v[0:1], s[12:13], v[30:31]
	v_mul_f64 v[2:3], s[10:11], v[30:31]
	v_fma_f64 v[0:1], s[10:11], v[28:29], -v[0:1]
	v_fmac_f64_e32 v[2:3], s[12:13], v[28:29]
	s_and_b64 vcc, exec, s[0:1]
	v_lshl_add_u64 v[6:7], v[4:5], 4, v[8:9]
	s_cbranch_vccnz .LBB563_19
; %bb.18:
	flat_load_dwordx4 v[12:15], v[6:7]
	s_waitcnt vmcnt(0) lgkmcnt(0)
	v_mul_f64 v[28:29], s[28:29], v[14:15]
	v_mul_f64 v[14:15], s[26:27], v[14:15]
	v_fma_f64 v[28:29], s[26:27], v[12:13], -v[28:29]
	v_fmac_f64_e32 v[14:15], s[28:29], v[12:13]
	v_add_f64 v[0:1], v[0:1], v[28:29]
	v_add_f64 v[2:3], v[2:3], v[14:15]
.LBB563_19:
	flat_store_dwordx4 v[6:7], v[0:3]
.LBB563_20:
	s_or_b64 exec, exec, s[6:7]
	v_add_u32_e32 v6, 16, v4
	v_cmp_le_i32_e32 vcc, v6, v10
	s_and_b64 s[6:7], s[2:3], vcc
	v_ashrrev_i32_e32 v7, 31, v6
	s_and_saveexec_b64 s[2:3], s[6:7]
	s_cbranch_execz .LBB563_24
; %bb.21:
	v_mul_f64 v[0:1], s[12:13], v[26:27]
	v_mul_f64 v[2:3], s[10:11], v[26:27]
	v_fma_f64 v[0:1], s[10:11], v[24:25], -v[0:1]
	v_fmac_f64_e32 v[2:3], s[12:13], v[24:25]
	s_and_b64 vcc, exec, s[0:1]
	v_lshl_add_u64 v[8:9], v[6:7], 4, v[8:9]
	s_cbranch_vccnz .LBB563_23
; %bb.22:
	flat_load_dwordx4 v[12:15], v[8:9]
	s_waitcnt vmcnt(0) lgkmcnt(0)
	v_mul_f64 v[24:25], s[28:29], v[14:15]
	v_mul_f64 v[14:15], s[26:27], v[14:15]
	v_fma_f64 v[24:25], s[26:27], v[12:13], -v[24:25]
	v_fmac_f64_e32 v[14:15], s[28:29], v[12:13]
	v_add_f64 v[0:1], v[0:1], v[24:25]
	v_add_f64 v[2:3], v[2:3], v[14:15]
.LBB563_23:
	flat_store_dwordx4 v[8:9], v[0:3]
.LBB563_24:
	s_or_b64 exec, exec, s[2:3]
	v_add_u32_e32 v10, 16, v10
	v_ashrrev_i32_e32 v0, 31, v10
	v_mul_lo_u32 v2, s36, v0
	v_mul_lo_u32 v3, s37, v10
	v_mad_u64_u32 v[0:1], s[6:7], s36, v10, 0
	v_cmp_gt_i32_e64 s[2:3], s33, v10
	v_add3_u32 v1, v1, v2, v3
	v_cmp_le_i32_e32 vcc, v4, v10
	v_lshl_add_u64 v[8:9], v[0:1], 4, s[4:5]
	s_and_b64 s[6:7], s[2:3], vcc
	s_and_saveexec_b64 s[4:5], s[6:7]
	s_cbranch_execz .LBB563_28
; %bb.25:
	v_mul_f64 v[0:1], s[12:13], v[22:23]
	v_mul_f64 v[2:3], s[10:11], v[22:23]
	v_fma_f64 v[0:1], s[10:11], v[20:21], -v[0:1]
	v_fmac_f64_e32 v[2:3], s[12:13], v[20:21]
	s_and_b64 vcc, exec, s[0:1]
	v_lshl_add_u64 v[4:5], v[4:5], 4, v[8:9]
	s_cbranch_vccnz .LBB563_27
; %bb.26:
	flat_load_dwordx4 v[12:15], v[4:5]
	s_waitcnt vmcnt(0) lgkmcnt(0)
	v_mul_f64 v[20:21], s[28:29], v[14:15]
	v_mul_f64 v[14:15], s[26:27], v[14:15]
	v_fma_f64 v[20:21], s[26:27], v[12:13], -v[20:21]
	v_fmac_f64_e32 v[14:15], s[28:29], v[12:13]
	v_add_f64 v[0:1], v[0:1], v[20:21]
	v_add_f64 v[2:3], v[2:3], v[14:15]
.LBB563_27:
	flat_store_dwordx4 v[4:5], v[0:3]
.LBB563_28:
	s_or_b64 exec, exec, s[4:5]
	v_cmp_le_i32_e32 vcc, v6, v10
	s_and_b64 s[2:3], s[2:3], vcc
	s_and_saveexec_b64 s[4:5], s[2:3]
	s_cbranch_execz .LBB563_32
; %bb.29:
	v_mul_f64 v[0:1], s[12:13], v[16:17]
	v_mul_f64 v[2:3], s[10:11], v[16:17]
	v_fma_f64 v[0:1], s[10:11], v[18:19], -v[0:1]
	v_fmac_f64_e32 v[2:3], s[12:13], v[18:19]
	s_and_b64 vcc, exec, s[0:1]
	v_lshl_add_u64 v[4:5], v[6:7], 4, v[8:9]
	s_cbranch_vccnz .LBB563_31
; %bb.30:
	flat_load_dwordx4 v[6:9], v[4:5]
	s_waitcnt vmcnt(0) lgkmcnt(0)
	v_mul_f64 v[10:11], s[28:29], v[8:9]
	v_mul_f64 v[8:9], s[26:27], v[8:9]
	v_fma_f64 v[10:11], s[26:27], v[6:7], -v[10:11]
	v_fmac_f64_e32 v[8:9], s[28:29], v[6:7]
	v_add_f64 v[0:1], v[0:1], v[10:11]
	v_add_f64 v[2:3], v[2:3], v[8:9]
.LBB563_31:
	flat_store_dwordx4 v[4:5], v[0:3]
.LBB563_32:
	s_endpgm
	.section	.rodata,"a",@progbits
	.p2align	6, 0x0
	.amdhsa_kernel _ZL29rocblas_internal_gemmt_kernelIlLi16ELi32ELi8ELc84ELc67ELc85ELb0ELb1E19rocblas_complex_numIdES1_PKPKS1_PKPS1_EviT_T9_T10_S9_lSB_S9_lSA_T11_S9_li
		.amdhsa_group_segment_fixed_size 8192
		.amdhsa_private_segment_fixed_size 0
		.amdhsa_kernarg_size 124
		.amdhsa_user_sgpr_count 2
		.amdhsa_user_sgpr_dispatch_ptr 0
		.amdhsa_user_sgpr_queue_ptr 0
		.amdhsa_user_sgpr_kernarg_segment_ptr 1
		.amdhsa_user_sgpr_dispatch_id 0
		.amdhsa_user_sgpr_kernarg_preload_length 0
		.amdhsa_user_sgpr_kernarg_preload_offset 0
		.amdhsa_user_sgpr_private_segment_size 0
		.amdhsa_uses_dynamic_stack 0
		.amdhsa_enable_private_segment 0
		.amdhsa_system_sgpr_workgroup_id_x 1
		.amdhsa_system_sgpr_workgroup_id_y 1
		.amdhsa_system_sgpr_workgroup_id_z 1
		.amdhsa_system_sgpr_workgroup_info 0
		.amdhsa_system_vgpr_workitem_id 1
		.amdhsa_next_free_vgpr 66
		.amdhsa_next_free_sgpr 40
		.amdhsa_accum_offset 68
		.amdhsa_reserve_vcc 1
		.amdhsa_float_round_mode_32 0
		.amdhsa_float_round_mode_16_64 0
		.amdhsa_float_denorm_mode_32 3
		.amdhsa_float_denorm_mode_16_64 3
		.amdhsa_dx10_clamp 1
		.amdhsa_ieee_mode 1
		.amdhsa_fp16_overflow 0
		.amdhsa_tg_split 0
		.amdhsa_exception_fp_ieee_invalid_op 0
		.amdhsa_exception_fp_denorm_src 0
		.amdhsa_exception_fp_ieee_div_zero 0
		.amdhsa_exception_fp_ieee_overflow 0
		.amdhsa_exception_fp_ieee_underflow 0
		.amdhsa_exception_fp_ieee_inexact 0
		.amdhsa_exception_int_div_zero 0
	.end_amdhsa_kernel
	.section	.text._ZL29rocblas_internal_gemmt_kernelIlLi16ELi32ELi8ELc84ELc67ELc85ELb0ELb1E19rocblas_complex_numIdES1_PKPKS1_PKPS1_EviT_T9_T10_S9_lSB_S9_lSA_T11_S9_li,"axG",@progbits,_ZL29rocblas_internal_gemmt_kernelIlLi16ELi32ELi8ELc84ELc67ELc85ELb0ELb1E19rocblas_complex_numIdES1_PKPKS1_PKPS1_EviT_T9_T10_S9_lSB_S9_lSA_T11_S9_li,comdat
.Lfunc_end563:
	.size	_ZL29rocblas_internal_gemmt_kernelIlLi16ELi32ELi8ELc84ELc67ELc85ELb0ELb1E19rocblas_complex_numIdES1_PKPKS1_PKPS1_EviT_T9_T10_S9_lSB_S9_lSA_T11_S9_li, .Lfunc_end563-_ZL29rocblas_internal_gemmt_kernelIlLi16ELi32ELi8ELc84ELc67ELc85ELb0ELb1E19rocblas_complex_numIdES1_PKPKS1_PKPS1_EviT_T9_T10_S9_lSB_S9_lSA_T11_S9_li
                                        ; -- End function
	.set _ZL29rocblas_internal_gemmt_kernelIlLi16ELi32ELi8ELc84ELc67ELc85ELb0ELb1E19rocblas_complex_numIdES1_PKPKS1_PKPS1_EviT_T9_T10_S9_lSB_S9_lSA_T11_S9_li.num_vgpr, 66
	.set _ZL29rocblas_internal_gemmt_kernelIlLi16ELi32ELi8ELc84ELc67ELc85ELb0ELb1E19rocblas_complex_numIdES1_PKPKS1_PKPS1_EviT_T9_T10_S9_lSB_S9_lSA_T11_S9_li.num_agpr, 0
	.set _ZL29rocblas_internal_gemmt_kernelIlLi16ELi32ELi8ELc84ELc67ELc85ELb0ELb1E19rocblas_complex_numIdES1_PKPKS1_PKPS1_EviT_T9_T10_S9_lSB_S9_lSA_T11_S9_li.numbered_sgpr, 40
	.set _ZL29rocblas_internal_gemmt_kernelIlLi16ELi32ELi8ELc84ELc67ELc85ELb0ELb1E19rocblas_complex_numIdES1_PKPKS1_PKPS1_EviT_T9_T10_S9_lSB_S9_lSA_T11_S9_li.num_named_barrier, 0
	.set _ZL29rocblas_internal_gemmt_kernelIlLi16ELi32ELi8ELc84ELc67ELc85ELb0ELb1E19rocblas_complex_numIdES1_PKPKS1_PKPS1_EviT_T9_T10_S9_lSB_S9_lSA_T11_S9_li.private_seg_size, 0
	.set _ZL29rocblas_internal_gemmt_kernelIlLi16ELi32ELi8ELc84ELc67ELc85ELb0ELb1E19rocblas_complex_numIdES1_PKPKS1_PKPS1_EviT_T9_T10_S9_lSB_S9_lSA_T11_S9_li.uses_vcc, 1
	.set _ZL29rocblas_internal_gemmt_kernelIlLi16ELi32ELi8ELc84ELc67ELc85ELb0ELb1E19rocblas_complex_numIdES1_PKPKS1_PKPS1_EviT_T9_T10_S9_lSB_S9_lSA_T11_S9_li.uses_flat_scratch, 0
	.set _ZL29rocblas_internal_gemmt_kernelIlLi16ELi32ELi8ELc84ELc67ELc85ELb0ELb1E19rocblas_complex_numIdES1_PKPKS1_PKPS1_EviT_T9_T10_S9_lSB_S9_lSA_T11_S9_li.has_dyn_sized_stack, 0
	.set _ZL29rocblas_internal_gemmt_kernelIlLi16ELi32ELi8ELc84ELc67ELc85ELb0ELb1E19rocblas_complex_numIdES1_PKPKS1_PKPS1_EviT_T9_T10_S9_lSB_S9_lSA_T11_S9_li.has_recursion, 0
	.set _ZL29rocblas_internal_gemmt_kernelIlLi16ELi32ELi8ELc84ELc67ELc85ELb0ELb1E19rocblas_complex_numIdES1_PKPKS1_PKPS1_EviT_T9_T10_S9_lSB_S9_lSA_T11_S9_li.has_indirect_call, 0
	.section	.AMDGPU.csdata,"",@progbits
; Kernel info:
; codeLenInByte = 3224
; TotalNumSgprs: 46
; NumVgprs: 66
; NumAgprs: 0
; TotalNumVgprs: 66
; ScratchSize: 0
; MemoryBound: 1
; FloatMode: 240
; IeeeMode: 1
; LDSByteSize: 8192 bytes/workgroup (compile time only)
; SGPRBlocks: 5
; VGPRBlocks: 8
; NumSGPRsForWavesPerEU: 46
; NumVGPRsForWavesPerEU: 66
; AccumOffset: 68
; Occupancy: 7
; WaveLimiterHint : 1
; COMPUTE_PGM_RSRC2:SCRATCH_EN: 0
; COMPUTE_PGM_RSRC2:USER_SGPR: 2
; COMPUTE_PGM_RSRC2:TRAP_HANDLER: 0
; COMPUTE_PGM_RSRC2:TGID_X_EN: 1
; COMPUTE_PGM_RSRC2:TGID_Y_EN: 1
; COMPUTE_PGM_RSRC2:TGID_Z_EN: 1
; COMPUTE_PGM_RSRC2:TIDIG_COMP_CNT: 1
; COMPUTE_PGM_RSRC3_GFX90A:ACCUM_OFFSET: 16
; COMPUTE_PGM_RSRC3_GFX90A:TG_SPLIT: 0
	.section	.text._ZL29rocblas_internal_gemmt_kernelIlLi16ELi32ELi8ELc67ELc78ELc85ELb1ELb0E19rocblas_complex_numIdES1_PKPKS1_PKPS1_EviT_T9_T10_S9_lSB_S9_lSA_T11_S9_li,"axG",@progbits,_ZL29rocblas_internal_gemmt_kernelIlLi16ELi32ELi8ELc67ELc78ELc85ELb1ELb0E19rocblas_complex_numIdES1_PKPKS1_PKPS1_EviT_T9_T10_S9_lSB_S9_lSA_T11_S9_li,comdat
	.globl	_ZL29rocblas_internal_gemmt_kernelIlLi16ELi32ELi8ELc67ELc78ELc85ELb1ELb0E19rocblas_complex_numIdES1_PKPKS1_PKPS1_EviT_T9_T10_S9_lSB_S9_lSA_T11_S9_li ; -- Begin function _ZL29rocblas_internal_gemmt_kernelIlLi16ELi32ELi8ELc67ELc78ELc85ELb1ELb0E19rocblas_complex_numIdES1_PKPKS1_PKPS1_EviT_T9_T10_S9_lSB_S9_lSA_T11_S9_li
	.p2align	8
	.type	_ZL29rocblas_internal_gemmt_kernelIlLi16ELi32ELi8ELc67ELc78ELc85ELb1ELb0E19rocblas_complex_numIdES1_PKPKS1_PKPS1_EviT_T9_T10_S9_lSB_S9_lSA_T11_S9_li,@function
_ZL29rocblas_internal_gemmt_kernelIlLi16ELi32ELi8ELc67ELc78ELc85ELb1ELb0E19rocblas_complex_numIdES1_PKPKS1_PKPS1_EviT_T9_T10_S9_lSB_S9_lSA_T11_S9_li: ; @_ZL29rocblas_internal_gemmt_kernelIlLi16ELi32ELi8ELc67ELc78ELc85ELb1ELb0E19rocblas_complex_numIdES1_PKPKS1_PKPS1_EviT_T9_T10_S9_lSB_S9_lSA_T11_S9_li
; %bb.0:
	s_load_dwordx8 s[24:31], s[0:1], 0x48
	s_load_dwordx16 s[8:23], s[0:1], 0x8
	s_mov_b64 s[34:35], 0
	s_waitcnt lgkmcnt(0)
	v_cmp_eq_f64_e64 s[36:37], s[26:27], 1.0
	v_cmp_eq_f64_e64 s[6:7], s[28:29], 0
	s_and_b64 s[36:37], s[36:37], s[6:7]
	s_andn2_b64 vcc, exec, s[36:37]
	s_mov_b64 s[36:37], -1
	s_cbranch_vccnz .LBB564_4
; %bb.1:
	s_cmp_lg_u64 s[8:9], 0
	s_cbranch_scc0 .LBB564_3
; %bb.2:
	v_cmp_neq_f64_e64 s[34:35], s[10:11], 0
	v_cmp_neq_f64_e64 s[36:37], s[12:13], 0
	s_or_b64 s[34:35], s[34:35], s[36:37]
.LBB564_3:
	s_mov_b64 s[36:37], s[34:35]
.LBB564_4:
	s_and_b64 vcc, exec, s[36:37]
	s_cbranch_vccz .LBB564_32
; %bb.5:
	s_mov_b32 s5, 0
	s_load_dwordx4 s[36:39], s[0:1], 0x68
	s_load_dword s33, s[0:1], 0x0
	s_lshl_b64 s[0:1], s[4:5], 3
	s_add_u32 s4, s30, s0
	s_addc_u32 s5, s31, s1
	s_load_dwordx2 s[4:5], s[4:5], 0x0
	s_lshl_b32 s30, s2, 5
	s_lshl_b32 s31, s3, 5
	v_cmp_eq_f64_e64 s[2:3], s[10:11], 0
	v_cmp_eq_f64_e64 s[34:35], s[12:13], 0
	s_and_b64 s[2:3], s[2:3], s[34:35]
	v_cmp_lt_i64_e64 s[34:35], s[8:9], 1
	s_or_b64 s[2:3], s[2:3], s[34:35]
	v_and_b32_e32 v5, 0x3ff, v0
	v_bfe_u32 v7, v0, 10, 10
	v_mov_b64_e32 v[26:27], 0
	s_and_b64 vcc, exec, s[2:3]
	v_mov_b64_e32 v[28:29], 0
	v_mov_b64_e32 v[22:23], 0
	v_mov_b64_e32 v[24:25], 0
	v_mov_b64_e32 v[18:19], 0
	v_mov_b64_e32 v[20:21], 0
	v_mov_b64_e32 v[16:17], 0
	v_mov_b64_e32 v[14:15], 0
	s_cbranch_vccnz .LBB564_16
; %bb.6:
	s_add_u32 s2, s20, s0
	s_addc_u32 s3, s21, s1
	s_load_dwordx2 s[2:3], s[2:3], 0x0
	s_lshl_b64 s[20:21], s[24:25], 4
	v_lshl_add_u32 v0, v7, 4, v5
	v_lshrrev_b32_e32 v6, 5, v0
	v_lshrrev_b32_e32 v2, 3, v0
	s_waitcnt lgkmcnt(0)
	s_add_u32 s2, s2, s20
	s_addc_u32 s3, s3, s21
	s_add_u32 s0, s14, s0
	s_addc_u32 s1, s15, s1
	s_load_dwordx2 s[0:1], s[0:1], 0x0
	s_lshl_b64 s[14:15], s[18:19], 4
	v_and_b32_e32 v0, 31, v0
	v_or_b32_e32 v1, s30, v0
	v_lshlrev_b32_e32 v0, 4, v0
	s_waitcnt lgkmcnt(0)
	s_add_u32 s14, s0, s14
	s_addc_u32 s15, s1, s15
	s_ashr_i32 s20, s30, 31
	v_cmp_gt_i32_e64 s[0:1], s33, v1
	v_lshl_or_b32 v30, v6, 9, v0
	v_mul_lo_u32 v8, s17, v1
	v_mad_u64_u32 v[0:1], s[18:19], s16, v1, 0
	s_mul_i32 s16, s16, s20
	v_and_b32_e32 v4, 7, v5
	v_add3_u32 v1, v1, s16, v8
	v_lshl_add_u64 v[8:9], v[0:1], 4, s[14:15]
	v_lshlrev_b32_e32 v0, 4, v4
	v_add_u32_e32 v3, s31, v2
	v_lshl_or_b32 v0, v2, 7, v0
	v_add_u32_e32 v31, 0x1000, v0
	v_ashrrev_i32_e32 v0, 31, v3
	v_mul_lo_u32 v2, s22, v0
	v_mul_lo_u32 v10, s23, v3
	v_mad_u64_u32 v[0:1], s[14:15], s22, v3, 0
	v_add3_u32 v1, v1, v2, v10
	v_cmp_gt_i32_e32 vcc, s33, v3
	v_lshl_add_u64 v[10:11], v[0:1], 4, s[2:3]
	v_mov_b32_e32 v0, 0x1000
	v_mov_b32_e32 v13, 0
	v_lshlrev_b32_e32 v32, 4, v5
	v_lshl_add_u32 v33, v7, 7, v0
	v_mov_b64_e32 v[14:15], 0
	s_mov_b64 s[2:3], 0
	s_xor_b64 s[14:15], vcc, -1
	v_mov_b32_e32 v34, v13
	v_mov_b32_e32 v35, v13
	v_mov_b32_e32 v36, v13
	v_mov_b32_e32 v37, v13
	v_mov_b64_e32 v[16:17], 0
	v_mov_b64_e32 v[20:21], 0
	;; [unrolled: 1-line block ×7, first 2 shown]
	s_branch .LBB564_8
.LBB564_7:                              ;   in Loop: Header=BB564_8 Depth=1
	s_or_b64 exec, exec, s[16:17]
	s_waitcnt lgkmcnt(0)
	s_barrier
	ds_read_b128 v[0:3], v32
	ds_read_b128 v[38:41], v33
	ds_read_b128 v[42:45], v33 offset:16
	ds_read_b128 v[46:49], v33 offset:32
	;; [unrolled: 1-line block ×4, first 2 shown]
	s_waitcnt lgkmcnt(4)
	v_mul_f64 v[58:59], v[40:41], v[2:3]
	v_fma_f64 v[58:59], v[38:39], v[0:1], -v[58:59]
	v_mul_f64 v[60:61], v[38:39], v[2:3]
	v_fmac_f64_e32 v[60:61], v[40:41], v[0:1]
	v_add_f64 v[58:59], v[26:27], v[58:59]
	s_waitcnt lgkmcnt(0)
	v_mul_f64 v[26:27], v[40:41], v[56:57]
	v_add_f64 v[60:61], v[60:61], v[28:29]
	v_fma_f64 v[62:63], v[38:39], v[54:55], -v[26:27]
	ds_read_b128 v[26:29], v33 offset:2048
	v_mul_f64 v[38:39], v[38:39], v[56:57]
	v_fmac_f64_e32 v[38:39], v[40:41], v[54:55]
	v_add_f64 v[40:41], v[22:23], v[62:63]
	v_add_f64 v[38:39], v[38:39], v[24:25]
	ds_read_b128 v[22:25], v33 offset:2064
	s_waitcnt lgkmcnt(1)
	v_mul_f64 v[62:63], v[28:29], v[2:3]
	v_mul_f64 v[2:3], v[26:27], v[2:3]
	v_fma_f64 v[62:63], v[26:27], v[0:1], -v[62:63]
	v_fmac_f64_e32 v[2:3], v[28:29], v[0:1]
	v_mul_f64 v[0:1], v[28:29], v[56:57]
	v_add_f64 v[18:19], v[18:19], v[62:63]
	v_add_f64 v[20:21], v[2:3], v[20:21]
	v_fma_f64 v[62:63], v[26:27], v[54:55], -v[0:1]
	v_mul_f64 v[26:27], v[26:27], v[56:57]
	ds_read_b128 v[0:3], v32 offset:512
	v_fmac_f64_e32 v[26:27], v[28:29], v[54:55]
	v_add_f64 v[28:29], v[16:17], v[62:63]
	v_add_f64 v[26:27], v[26:27], v[14:15]
	ds_read_b128 v[14:17], v32 offset:768
	s_waitcnt lgkmcnt(1)
	v_mul_f64 v[54:55], v[44:45], v[2:3]
	v_fma_f64 v[54:55], v[42:43], v[0:1], -v[54:55]
	v_add_f64 v[54:55], v[58:59], v[54:55]
	v_mul_f64 v[56:57], v[42:43], v[2:3]
	s_waitcnt lgkmcnt(0)
	v_mul_f64 v[58:59], v[44:45], v[16:17]
	v_fma_f64 v[58:59], v[42:43], v[14:15], -v[58:59]
	v_mul_f64 v[42:43], v[42:43], v[16:17]
	v_fmac_f64_e32 v[42:43], v[44:45], v[14:15]
	v_add_f64 v[38:39], v[42:43], v[38:39]
	v_mul_f64 v[42:43], v[24:25], v[2:3]
	v_mul_f64 v[2:3], v[22:23], v[2:3]
	v_fmac_f64_e32 v[56:57], v[44:45], v[0:1]
	v_fma_f64 v[42:43], v[22:23], v[0:1], -v[42:43]
	v_fmac_f64_e32 v[2:3], v[24:25], v[0:1]
	v_mul_f64 v[0:1], v[24:25], v[16:17]
	v_add_f64 v[42:43], v[18:19], v[42:43]
	v_add_f64 v[44:45], v[2:3], v[20:21]
	v_fma_f64 v[18:19], v[22:23], v[14:15], -v[0:1]
	v_mul_f64 v[16:17], v[22:23], v[16:17]
	ds_read_b128 v[0:3], v32 offset:1024
	v_fmac_f64_e32 v[16:17], v[24:25], v[14:15]
	v_add_f64 v[26:27], v[16:17], v[26:27]
	ds_read_b128 v[14:17], v32 offset:1280
	v_add_f64 v[28:29], v[28:29], v[18:19]
	s_waitcnt lgkmcnt(1)
	v_mul_f64 v[18:19], v[48:49], v[2:3]
	v_fma_f64 v[18:19], v[46:47], v[0:1], -v[18:19]
	v_mul_f64 v[20:21], v[46:47], v[2:3]
	v_add_f64 v[56:57], v[56:57], v[60:61]
	v_fmac_f64_e32 v[20:21], v[48:49], v[0:1]
	v_add_f64 v[54:55], v[54:55], v[18:19]
	s_waitcnt lgkmcnt(0)
	v_mul_f64 v[18:19], v[48:49], v[16:17]
	v_add_f64 v[56:57], v[20:21], v[56:57]
	v_fma_f64 v[22:23], v[46:47], v[14:15], -v[18:19]
	ds_read_b128 v[18:21], v33 offset:2080
	v_mul_f64 v[24:25], v[46:47], v[16:17]
	v_add_f64 v[40:41], v[40:41], v[58:59]
	v_fmac_f64_e32 v[24:25], v[48:49], v[14:15]
	v_add_f64 v[40:41], v[40:41], v[22:23]
	v_add_f64 v[38:39], v[24:25], v[38:39]
	ds_read_b128 v[22:25], v33 offset:2096
	s_waitcnt lgkmcnt(1)
	v_mul_f64 v[46:47], v[20:21], v[2:3]
	v_mul_f64 v[2:3], v[18:19], v[2:3]
	v_fma_f64 v[46:47], v[18:19], v[0:1], -v[46:47]
	v_fmac_f64_e32 v[2:3], v[20:21], v[0:1]
	v_mul_f64 v[0:1], v[20:21], v[16:17]
	v_mul_f64 v[16:17], v[18:19], v[16:17]
	v_fmac_f64_e32 v[16:17], v[20:21], v[14:15]
	v_add_f64 v[42:43], v[42:43], v[46:47]
	v_add_f64 v[44:45], v[2:3], v[44:45]
	v_fma_f64 v[46:47], v[18:19], v[14:15], -v[0:1]
	ds_read_b128 v[0:3], v32 offset:1536
	v_add_f64 v[20:21], v[16:17], v[26:27]
	ds_read_b128 v[14:17], v32 offset:1792
	v_add_f64 v[18:19], v[28:29], v[46:47]
	s_add_u32 s2, s2, 8
	s_waitcnt lgkmcnt(1)
	v_mul_f64 v[26:27], v[52:53], v[2:3]
	v_mul_f64 v[28:29], v[50:51], v[2:3]
	s_waitcnt lgkmcnt(0)
	v_mul_f64 v[46:47], v[52:53], v[16:17]
	v_fma_f64 v[46:47], v[50:51], v[14:15], -v[46:47]
	v_add_f64 v[40:41], v[40:41], v[46:47]
	v_mul_f64 v[46:47], v[24:25], v[2:3]
	v_mul_f64 v[2:3], v[22:23], v[2:3]
	v_fma_f64 v[26:27], v[50:51], v[0:1], -v[26:27]
	v_fmac_f64_e32 v[28:29], v[52:53], v[0:1]
	v_fma_f64 v[46:47], v[22:23], v[0:1], -v[46:47]
	v_fmac_f64_e32 v[2:3], v[24:25], v[0:1]
	v_mul_f64 v[0:1], v[24:25], v[16:17]
	v_mul_f64 v[48:49], v[50:51], v[16:17]
	v_add_f64 v[42:43], v[42:43], v[46:47]
	v_fma_f64 v[46:47], v[22:23], v[14:15], -v[0:1]
	v_mul_f64 v[22:23], v[22:23], v[16:17]
	v_fmac_f64_e32 v[48:49], v[52:53], v[14:15]
	v_add_f64 v[44:45], v[2:3], v[44:45]
	v_fmac_f64_e32 v[22:23], v[24:25], v[14:15]
	ds_read_b128 v[0:3], v33 offset:64
	ds_read_b128 v[14:17], v32 offset:2048
	v_add_f64 v[38:39], v[48:49], v[38:39]
	v_add_f64 v[46:47], v[18:19], v[46:47]
	;; [unrolled: 1-line block ×3, first 2 shown]
	ds_read_b128 v[18:21], v32 offset:2304
	ds_read_b128 v[22:25], v33 offset:80
	s_waitcnt lgkmcnt(2)
	v_mul_f64 v[50:51], v[2:3], v[16:17]
	v_add_f64 v[26:27], v[54:55], v[26:27]
	v_fma_f64 v[50:51], v[0:1], v[14:15], -v[50:51]
	v_mul_f64 v[52:53], v[0:1], v[16:17]
	v_add_f64 v[28:29], v[28:29], v[56:57]
	v_fmac_f64_e32 v[52:53], v[2:3], v[14:15]
	v_add_f64 v[50:51], v[26:27], v[50:51]
	s_waitcnt lgkmcnt(1)
	v_mul_f64 v[26:27], v[2:3], v[20:21]
	v_add_f64 v[52:53], v[52:53], v[28:29]
	v_fma_f64 v[54:55], v[0:1], v[18:19], -v[26:27]
	ds_read_b128 v[26:29], v33 offset:2112
	v_mul_f64 v[0:1], v[0:1], v[20:21]
	v_fmac_f64_e32 v[0:1], v[2:3], v[18:19]
	v_add_f64 v[40:41], v[40:41], v[54:55]
	v_add_f64 v[38:39], v[0:1], v[38:39]
	ds_read_b128 v[0:3], v33 offset:2128
	s_waitcnt lgkmcnt(1)
	v_mul_f64 v[54:55], v[28:29], v[16:17]
	v_mul_f64 v[16:17], v[26:27], v[16:17]
	v_fma_f64 v[54:55], v[26:27], v[14:15], -v[54:55]
	v_fmac_f64_e32 v[16:17], v[28:29], v[14:15]
	v_mul_f64 v[14:15], v[28:29], v[20:21]
	v_add_f64 v[42:43], v[42:43], v[54:55]
	v_add_f64 v[44:45], v[16:17], v[44:45]
	v_fma_f64 v[54:55], v[26:27], v[18:19], -v[14:15]
	v_mul_f64 v[20:21], v[26:27], v[20:21]
	ds_read_b128 v[14:17], v32 offset:2560
	v_fmac_f64_e32 v[20:21], v[28:29], v[18:19]
	v_add_f64 v[28:29], v[20:21], v[48:49]
	ds_read_b128 v[18:21], v32 offset:2816
	v_add_f64 v[26:27], v[46:47], v[54:55]
	s_waitcnt lgkmcnt(1)
	v_mul_f64 v[46:47], v[24:25], v[16:17]
	v_fma_f64 v[46:47], v[22:23], v[14:15], -v[46:47]
	v_add_f64 v[46:47], v[50:51], v[46:47]
	s_waitcnt lgkmcnt(0)
	v_mul_f64 v[50:51], v[24:25], v[20:21]
	v_mul_f64 v[48:49], v[22:23], v[16:17]
	v_fma_f64 v[50:51], v[22:23], v[18:19], -v[50:51]
	v_mul_f64 v[22:23], v[22:23], v[20:21]
	v_fmac_f64_e32 v[22:23], v[24:25], v[18:19]
	v_add_f64 v[38:39], v[22:23], v[38:39]
	v_mul_f64 v[22:23], v[2:3], v[16:17]
	v_mul_f64 v[16:17], v[0:1], v[16:17]
	v_fmac_f64_e32 v[48:49], v[24:25], v[14:15]
	v_fma_f64 v[22:23], v[0:1], v[14:15], -v[22:23]
	v_fmac_f64_e32 v[16:17], v[2:3], v[14:15]
	v_mul_f64 v[14:15], v[2:3], v[20:21]
	v_mul_f64 v[20:21], v[0:1], v[20:21]
	v_add_f64 v[42:43], v[42:43], v[22:23]
	v_add_f64 v[44:45], v[16:17], v[44:45]
	v_fma_f64 v[22:23], v[0:1], v[18:19], -v[14:15]
	v_fmac_f64_e32 v[20:21], v[2:3], v[18:19]
	ds_read_b128 v[0:3], v33 offset:96
	ds_read_b128 v[14:17], v32 offset:3072
	v_add_f64 v[48:49], v[48:49], v[52:53]
	v_add_f64 v[40:41], v[40:41], v[50:51]
	;; [unrolled: 1-line block ×4, first 2 shown]
	ds_read_b128 v[18:21], v32 offset:3328
	ds_read_b128 v[22:25], v33 offset:112
	s_waitcnt lgkmcnt(2)
	v_mul_f64 v[26:27], v[2:3], v[16:17]
	v_fma_f64 v[26:27], v[0:1], v[14:15], -v[26:27]
	v_mul_f64 v[28:29], v[0:1], v[16:17]
	v_fmac_f64_e32 v[28:29], v[2:3], v[14:15]
	v_add_f64 v[46:47], v[46:47], v[26:27]
	s_waitcnt lgkmcnt(1)
	v_mul_f64 v[26:27], v[2:3], v[20:21]
	v_add_f64 v[48:49], v[28:29], v[48:49]
	v_fma_f64 v[54:55], v[0:1], v[18:19], -v[26:27]
	ds_read_b128 v[26:29], v33 offset:2144
	v_mul_f64 v[0:1], v[0:1], v[20:21]
	v_fmac_f64_e32 v[0:1], v[2:3], v[18:19]
	v_add_f64 v[56:57], v[0:1], v[38:39]
	ds_read_b128 v[0:3], v33 offset:2160
	s_waitcnt lgkmcnt(1)
	v_mul_f64 v[38:39], v[28:29], v[16:17]
	v_mul_f64 v[16:17], v[26:27], v[16:17]
	v_fma_f64 v[38:39], v[26:27], v[14:15], -v[38:39]
	v_fmac_f64_e32 v[16:17], v[28:29], v[14:15]
	v_mul_f64 v[14:15], v[28:29], v[20:21]
	v_add_f64 v[42:43], v[42:43], v[38:39]
	v_add_f64 v[44:45], v[16:17], v[44:45]
	v_fma_f64 v[38:39], v[26:27], v[18:19], -v[14:15]
	ds_read_b128 v[14:17], v32 offset:3584
	v_add_f64 v[54:55], v[40:41], v[54:55]
	v_add_f64 v[50:51], v[50:51], v[38:39]
	ds_read_b128 v[38:41], v32 offset:3840
	v_mul_f64 v[20:21], v[26:27], v[20:21]
	v_fmac_f64_e32 v[20:21], v[28:29], v[18:19]
	s_waitcnt lgkmcnt(1)
	v_mul_f64 v[18:19], v[24:25], v[16:17]
	v_fma_f64 v[18:19], v[22:23], v[14:15], -v[18:19]
	v_add_f64 v[52:53], v[20:21], v[52:53]
	v_mul_f64 v[20:21], v[22:23], v[16:17]
	v_add_f64 v[26:27], v[46:47], v[18:19]
	s_waitcnt lgkmcnt(0)
	v_mul_f64 v[18:19], v[24:25], v[40:41]
	v_fmac_f64_e32 v[20:21], v[24:25], v[14:15]
	v_fma_f64 v[18:19], v[22:23], v[38:39], -v[18:19]
	v_add_f64 v[28:29], v[20:21], v[48:49]
	v_mul_f64 v[20:21], v[22:23], v[40:41]
	v_add_f64 v[22:23], v[54:55], v[18:19]
	v_mul_f64 v[18:19], v[2:3], v[16:17]
	v_mul_f64 v[16:17], v[0:1], v[16:17]
	v_fma_f64 v[18:19], v[0:1], v[14:15], -v[18:19]
	v_fmac_f64_e32 v[16:17], v[2:3], v[14:15]
	v_mul_f64 v[14:15], v[2:3], v[40:41]
	v_fma_f64 v[14:15], v[0:1], v[38:39], -v[14:15]
	v_mul_f64 v[0:1], v[0:1], v[40:41]
	v_fmac_f64_e32 v[20:21], v[24:25], v[38:39]
	v_fmac_f64_e32 v[0:1], v[2:3], v[38:39]
	s_addc_u32 s3, s3, 0
	v_add_f64 v[24:25], v[20:21], v[56:57]
	v_add_f64 v[20:21], v[16:17], v[44:45]
	v_add_f64 v[16:17], v[50:51], v[14:15]
	v_add_f64 v[14:15], v[0:1], v[52:53]
	v_mov_b64_e32 v[0:1], s[2:3]
	v_cmp_gt_i64_e32 vcc, s[8:9], v[0:1]
	v_add_f64 v[18:19], v[42:43], v[18:19]
	s_barrier
	s_cbranch_vccz .LBB564_16
.LBB564_8:                              ; =>This Inner Loop Header: Depth=1
	v_mov_b64_e32 v[0:1], 0
	v_mov_b64_e32 v[2:3], 0
	s_and_saveexec_b64 s[16:17], s[0:1]
	s_cbranch_execz .LBB564_12
; %bb.9:                                ;   in Loop: Header=BB564_8 Depth=1
	v_add_u32_e32 v12, s2, v6
	v_cmp_gt_u64_e32 vcc, s[8:9], v[12:13]
	v_mov_b64_e32 v[2:3], 0
	v_mov_b64_e32 v[0:1], 0
	s_and_saveexec_b64 s[18:19], vcc
	s_cbranch_execz .LBB564_11
; %bb.10:                               ;   in Loop: Header=BB564_8 Depth=1
	v_lshl_add_u64 v[0:1], v[12:13], 4, v[8:9]
	flat_load_dwordx4 v[0:3], v[0:1]
	s_waitcnt vmcnt(0) lgkmcnt(0)
	v_xor_b32_e32 v3, 0x80000000, v3
.LBB564_11:                             ;   in Loop: Header=BB564_8 Depth=1
	s_or_b64 exec, exec, s[18:19]
.LBB564_12:                             ;   in Loop: Header=BB564_8 Depth=1
	s_or_b64 exec, exec, s[16:17]
	v_add_u32_e32 v12, s2, v4
	v_cmp_le_u64_e32 vcc, s[8:9], v[12:13]
	s_or_b64 s[16:17], vcc, s[14:15]
	ds_write_b128 v30, v[0:3]
	s_and_saveexec_b64 s[18:19], s[16:17]
	s_xor_b64 s[16:17], exec, s[18:19]
; %bb.13:                               ;   in Loop: Header=BB564_8 Depth=1
	ds_write_b128 v31, v[34:37]
; %bb.14:                               ;   in Loop: Header=BB564_8 Depth=1
	s_andn2_saveexec_b64 s[16:17], s[16:17]
	s_cbranch_execz .LBB564_7
; %bb.15:                               ;   in Loop: Header=BB564_8 Depth=1
	v_lshl_add_u64 v[0:1], v[12:13], 4, v[10:11]
	flat_load_dwordx4 v[0:3], v[0:1]
	s_waitcnt vmcnt(0) lgkmcnt(0)
	ds_write2_b64 v31, v[0:1], v[2:3] offset1:1
	s_branch .LBB564_7
.LBB564_16:
	s_waitcnt lgkmcnt(0)
	s_lshl_b64 s[0:1], s[38:39], 4
	v_add_u32_e32 v10, s31, v7
	s_add_u32 s4, s4, s0
	v_ashrrev_i32_e32 v0, 31, v10
	s_addc_u32 s5, s5, s1
	v_cmp_neq_f64_e64 s[0:1], s[26:27], 0
	s_xor_b64 s[6:7], s[6:7], -1
	v_mul_lo_u32 v2, s36, v0
	v_mul_lo_u32 v3, s37, v10
	v_mad_u64_u32 v[0:1], s[8:9], s36, v10, 0
	v_add_u32_e32 v4, s30, v5
	v_add3_u32 v1, v1, v2, v3
	s_or_b64 s[0:1], s[0:1], s[6:7]
	v_cmp_gt_i32_e64 s[2:3], s33, v10
	v_lshl_add_u64 v[8:9], v[0:1], 4, s[4:5]
	v_cmp_le_i32_e32 vcc, v4, v10
	v_cndmask_b32_e64 v0, 0, 1, s[0:1]
	s_and_b64 s[8:9], s[2:3], vcc
	v_ashrrev_i32_e32 v5, 31, v4
	v_cmp_ne_u32_e64 s[0:1], 1, v0
	s_and_saveexec_b64 s[6:7], s[8:9]
	s_cbranch_execz .LBB564_20
; %bb.17:
	v_mul_f64 v[0:1], s[12:13], v[28:29]
	v_mul_f64 v[2:3], s[10:11], v[28:29]
	v_fma_f64 v[0:1], s[10:11], v[26:27], -v[0:1]
	v_fmac_f64_e32 v[2:3], s[12:13], v[26:27]
	s_and_b64 vcc, exec, s[0:1]
	v_lshl_add_u64 v[6:7], v[4:5], 4, v[8:9]
	s_cbranch_vccnz .LBB564_19
; %bb.18:
	flat_load_dwordx4 v[26:29], v[6:7]
	s_waitcnt vmcnt(0) lgkmcnt(0)
	v_mul_f64 v[12:13], s[28:29], v[28:29]
	v_mul_f64 v[28:29], s[26:27], v[28:29]
	v_fma_f64 v[12:13], s[26:27], v[26:27], -v[12:13]
	v_fmac_f64_e32 v[28:29], s[28:29], v[26:27]
	v_add_f64 v[0:1], v[0:1], v[12:13]
	v_add_f64 v[2:3], v[2:3], v[28:29]
.LBB564_19:
	flat_store_dwordx4 v[6:7], v[0:3]
.LBB564_20:
	s_or_b64 exec, exec, s[6:7]
	v_add_u32_e32 v6, 16, v4
	v_cmp_le_i32_e32 vcc, v6, v10
	s_and_b64 s[6:7], s[2:3], vcc
	v_ashrrev_i32_e32 v7, 31, v6
	s_and_saveexec_b64 s[2:3], s[6:7]
	s_cbranch_execz .LBB564_24
; %bb.21:
	v_mul_f64 v[0:1], s[12:13], v[24:25]
	v_mul_f64 v[2:3], s[10:11], v[24:25]
	v_fma_f64 v[0:1], s[10:11], v[22:23], -v[0:1]
	v_fmac_f64_e32 v[2:3], s[12:13], v[22:23]
	s_and_b64 vcc, exec, s[0:1]
	v_lshl_add_u64 v[8:9], v[6:7], 4, v[8:9]
	s_cbranch_vccnz .LBB564_23
; %bb.22:
	flat_load_dwordx4 v[22:25], v[8:9]
	s_waitcnt vmcnt(0) lgkmcnt(0)
	v_mul_f64 v[12:13], s[28:29], v[24:25]
	v_mul_f64 v[24:25], s[26:27], v[24:25]
	v_fma_f64 v[12:13], s[26:27], v[22:23], -v[12:13]
	v_fmac_f64_e32 v[24:25], s[28:29], v[22:23]
	v_add_f64 v[0:1], v[0:1], v[12:13]
	v_add_f64 v[2:3], v[2:3], v[24:25]
.LBB564_23:
	flat_store_dwordx4 v[8:9], v[0:3]
.LBB564_24:
	s_or_b64 exec, exec, s[2:3]
	v_add_u32_e32 v10, 16, v10
	v_ashrrev_i32_e32 v0, 31, v10
	v_mul_lo_u32 v2, s36, v0
	v_mul_lo_u32 v3, s37, v10
	v_mad_u64_u32 v[0:1], s[6:7], s36, v10, 0
	v_cmp_gt_i32_e64 s[2:3], s33, v10
	v_add3_u32 v1, v1, v2, v3
	v_cmp_le_i32_e32 vcc, v4, v10
	v_lshl_add_u64 v[8:9], v[0:1], 4, s[4:5]
	s_and_b64 s[6:7], s[2:3], vcc
	s_and_saveexec_b64 s[4:5], s[6:7]
	s_cbranch_execz .LBB564_28
; %bb.25:
	v_mul_f64 v[0:1], s[12:13], v[20:21]
	v_mul_f64 v[2:3], s[10:11], v[20:21]
	v_fma_f64 v[0:1], s[10:11], v[18:19], -v[0:1]
	v_fmac_f64_e32 v[2:3], s[12:13], v[18:19]
	s_and_b64 vcc, exec, s[0:1]
	v_lshl_add_u64 v[4:5], v[4:5], 4, v[8:9]
	s_cbranch_vccnz .LBB564_27
; %bb.26:
	flat_load_dwordx4 v[18:21], v[4:5]
	s_waitcnt vmcnt(0) lgkmcnt(0)
	v_mul_f64 v[12:13], s[28:29], v[20:21]
	v_mul_f64 v[20:21], s[26:27], v[20:21]
	v_fma_f64 v[12:13], s[26:27], v[18:19], -v[12:13]
	v_fmac_f64_e32 v[20:21], s[28:29], v[18:19]
	v_add_f64 v[0:1], v[0:1], v[12:13]
	v_add_f64 v[2:3], v[2:3], v[20:21]
.LBB564_27:
	flat_store_dwordx4 v[4:5], v[0:3]
.LBB564_28:
	s_or_b64 exec, exec, s[4:5]
	v_cmp_le_i32_e32 vcc, v6, v10
	s_and_b64 s[2:3], s[2:3], vcc
	s_and_saveexec_b64 s[4:5], s[2:3]
	s_cbranch_execz .LBB564_32
; %bb.29:
	v_mul_f64 v[0:1], s[12:13], v[14:15]
	v_mul_f64 v[2:3], s[10:11], v[14:15]
	v_fma_f64 v[0:1], s[10:11], v[16:17], -v[0:1]
	v_fmac_f64_e32 v[2:3], s[12:13], v[16:17]
	s_and_b64 vcc, exec, s[0:1]
	v_lshl_add_u64 v[4:5], v[6:7], 4, v[8:9]
	s_cbranch_vccnz .LBB564_31
; %bb.30:
	flat_load_dwordx4 v[6:9], v[4:5]
	s_waitcnt vmcnt(0) lgkmcnt(0)
	v_mul_f64 v[10:11], s[28:29], v[8:9]
	v_mul_f64 v[8:9], s[26:27], v[8:9]
	v_fma_f64 v[10:11], s[26:27], v[6:7], -v[10:11]
	v_fmac_f64_e32 v[8:9], s[28:29], v[6:7]
	v_add_f64 v[0:1], v[0:1], v[10:11]
	v_add_f64 v[2:3], v[2:3], v[8:9]
.LBB564_31:
	flat_store_dwordx4 v[4:5], v[0:3]
.LBB564_32:
	s_endpgm
	.section	.rodata,"a",@progbits
	.p2align	6, 0x0
	.amdhsa_kernel _ZL29rocblas_internal_gemmt_kernelIlLi16ELi32ELi8ELc67ELc78ELc85ELb1ELb0E19rocblas_complex_numIdES1_PKPKS1_PKPS1_EviT_T9_T10_S9_lSB_S9_lSA_T11_S9_li
		.amdhsa_group_segment_fixed_size 8192
		.amdhsa_private_segment_fixed_size 0
		.amdhsa_kernarg_size 124
		.amdhsa_user_sgpr_count 2
		.amdhsa_user_sgpr_dispatch_ptr 0
		.amdhsa_user_sgpr_queue_ptr 0
		.amdhsa_user_sgpr_kernarg_segment_ptr 1
		.amdhsa_user_sgpr_dispatch_id 0
		.amdhsa_user_sgpr_kernarg_preload_length 0
		.amdhsa_user_sgpr_kernarg_preload_offset 0
		.amdhsa_user_sgpr_private_segment_size 0
		.amdhsa_uses_dynamic_stack 0
		.amdhsa_enable_private_segment 0
		.amdhsa_system_sgpr_workgroup_id_x 1
		.amdhsa_system_sgpr_workgroup_id_y 1
		.amdhsa_system_sgpr_workgroup_id_z 1
		.amdhsa_system_sgpr_workgroup_info 0
		.amdhsa_system_vgpr_workitem_id 1
		.amdhsa_next_free_vgpr 64
		.amdhsa_next_free_sgpr 40
		.amdhsa_accum_offset 64
		.amdhsa_reserve_vcc 1
		.amdhsa_float_round_mode_32 0
		.amdhsa_float_round_mode_16_64 0
		.amdhsa_float_denorm_mode_32 3
		.amdhsa_float_denorm_mode_16_64 3
		.amdhsa_dx10_clamp 1
		.amdhsa_ieee_mode 1
		.amdhsa_fp16_overflow 0
		.amdhsa_tg_split 0
		.amdhsa_exception_fp_ieee_invalid_op 0
		.amdhsa_exception_fp_denorm_src 0
		.amdhsa_exception_fp_ieee_div_zero 0
		.amdhsa_exception_fp_ieee_overflow 0
		.amdhsa_exception_fp_ieee_underflow 0
		.amdhsa_exception_fp_ieee_inexact 0
		.amdhsa_exception_int_div_zero 0
	.end_amdhsa_kernel
	.section	.text._ZL29rocblas_internal_gemmt_kernelIlLi16ELi32ELi8ELc67ELc78ELc85ELb1ELb0E19rocblas_complex_numIdES1_PKPKS1_PKPS1_EviT_T9_T10_S9_lSB_S9_lSA_T11_S9_li,"axG",@progbits,_ZL29rocblas_internal_gemmt_kernelIlLi16ELi32ELi8ELc67ELc78ELc85ELb1ELb0E19rocblas_complex_numIdES1_PKPKS1_PKPS1_EviT_T9_T10_S9_lSB_S9_lSA_T11_S9_li,comdat
.Lfunc_end564:
	.size	_ZL29rocblas_internal_gemmt_kernelIlLi16ELi32ELi8ELc67ELc78ELc85ELb1ELb0E19rocblas_complex_numIdES1_PKPKS1_PKPS1_EviT_T9_T10_S9_lSB_S9_lSA_T11_S9_li, .Lfunc_end564-_ZL29rocblas_internal_gemmt_kernelIlLi16ELi32ELi8ELc67ELc78ELc85ELb1ELb0E19rocblas_complex_numIdES1_PKPKS1_PKPS1_EviT_T9_T10_S9_lSB_S9_lSA_T11_S9_li
                                        ; -- End function
	.set _ZL29rocblas_internal_gemmt_kernelIlLi16ELi32ELi8ELc67ELc78ELc85ELb1ELb0E19rocblas_complex_numIdES1_PKPKS1_PKPS1_EviT_T9_T10_S9_lSB_S9_lSA_T11_S9_li.num_vgpr, 64
	.set _ZL29rocblas_internal_gemmt_kernelIlLi16ELi32ELi8ELc67ELc78ELc85ELb1ELb0E19rocblas_complex_numIdES1_PKPKS1_PKPS1_EviT_T9_T10_S9_lSB_S9_lSA_T11_S9_li.num_agpr, 0
	.set _ZL29rocblas_internal_gemmt_kernelIlLi16ELi32ELi8ELc67ELc78ELc85ELb1ELb0E19rocblas_complex_numIdES1_PKPKS1_PKPS1_EviT_T9_T10_S9_lSB_S9_lSA_T11_S9_li.numbered_sgpr, 40
	.set _ZL29rocblas_internal_gemmt_kernelIlLi16ELi32ELi8ELc67ELc78ELc85ELb1ELb0E19rocblas_complex_numIdES1_PKPKS1_PKPS1_EviT_T9_T10_S9_lSB_S9_lSA_T11_S9_li.num_named_barrier, 0
	.set _ZL29rocblas_internal_gemmt_kernelIlLi16ELi32ELi8ELc67ELc78ELc85ELb1ELb0E19rocblas_complex_numIdES1_PKPKS1_PKPS1_EviT_T9_T10_S9_lSB_S9_lSA_T11_S9_li.private_seg_size, 0
	.set _ZL29rocblas_internal_gemmt_kernelIlLi16ELi32ELi8ELc67ELc78ELc85ELb1ELb0E19rocblas_complex_numIdES1_PKPKS1_PKPS1_EviT_T9_T10_S9_lSB_S9_lSA_T11_S9_li.uses_vcc, 1
	.set _ZL29rocblas_internal_gemmt_kernelIlLi16ELi32ELi8ELc67ELc78ELc85ELb1ELb0E19rocblas_complex_numIdES1_PKPKS1_PKPS1_EviT_T9_T10_S9_lSB_S9_lSA_T11_S9_li.uses_flat_scratch, 0
	.set _ZL29rocblas_internal_gemmt_kernelIlLi16ELi32ELi8ELc67ELc78ELc85ELb1ELb0E19rocblas_complex_numIdES1_PKPKS1_PKPS1_EviT_T9_T10_S9_lSB_S9_lSA_T11_S9_li.has_dyn_sized_stack, 0
	.set _ZL29rocblas_internal_gemmt_kernelIlLi16ELi32ELi8ELc67ELc78ELc85ELb1ELb0E19rocblas_complex_numIdES1_PKPKS1_PKPS1_EviT_T9_T10_S9_lSB_S9_lSA_T11_S9_li.has_recursion, 0
	.set _ZL29rocblas_internal_gemmt_kernelIlLi16ELi32ELi8ELc67ELc78ELc85ELb1ELb0E19rocblas_complex_numIdES1_PKPKS1_PKPS1_EviT_T9_T10_S9_lSB_S9_lSA_T11_S9_li.has_indirect_call, 0
	.section	.AMDGPU.csdata,"",@progbits
; Kernel info:
; codeLenInByte = 3160
; TotalNumSgprs: 46
; NumVgprs: 64
; NumAgprs: 0
; TotalNumVgprs: 64
; ScratchSize: 0
; MemoryBound: 1
; FloatMode: 240
; IeeeMode: 1
; LDSByteSize: 8192 bytes/workgroup (compile time only)
; SGPRBlocks: 5
; VGPRBlocks: 7
; NumSGPRsForWavesPerEU: 46
; NumVGPRsForWavesPerEU: 64
; AccumOffset: 64
; Occupancy: 8
; WaveLimiterHint : 1
; COMPUTE_PGM_RSRC2:SCRATCH_EN: 0
; COMPUTE_PGM_RSRC2:USER_SGPR: 2
; COMPUTE_PGM_RSRC2:TRAP_HANDLER: 0
; COMPUTE_PGM_RSRC2:TGID_X_EN: 1
; COMPUTE_PGM_RSRC2:TGID_Y_EN: 1
; COMPUTE_PGM_RSRC2:TGID_Z_EN: 1
; COMPUTE_PGM_RSRC2:TIDIG_COMP_CNT: 1
; COMPUTE_PGM_RSRC3_GFX90A:ACCUM_OFFSET: 15
; COMPUTE_PGM_RSRC3_GFX90A:TG_SPLIT: 0
	.section	.text._ZL29rocblas_internal_gemmt_kernelIlLi16ELi32ELi8ELc67ELc84ELc85ELb1ELb0E19rocblas_complex_numIdES1_PKPKS1_PKPS1_EviT_T9_T10_S9_lSB_S9_lSA_T11_S9_li,"axG",@progbits,_ZL29rocblas_internal_gemmt_kernelIlLi16ELi32ELi8ELc67ELc84ELc85ELb1ELb0E19rocblas_complex_numIdES1_PKPKS1_PKPS1_EviT_T9_T10_S9_lSB_S9_lSA_T11_S9_li,comdat
	.globl	_ZL29rocblas_internal_gemmt_kernelIlLi16ELi32ELi8ELc67ELc84ELc85ELb1ELb0E19rocblas_complex_numIdES1_PKPKS1_PKPS1_EviT_T9_T10_S9_lSB_S9_lSA_T11_S9_li ; -- Begin function _ZL29rocblas_internal_gemmt_kernelIlLi16ELi32ELi8ELc67ELc84ELc85ELb1ELb0E19rocblas_complex_numIdES1_PKPKS1_PKPS1_EviT_T9_T10_S9_lSB_S9_lSA_T11_S9_li
	.p2align	8
	.type	_ZL29rocblas_internal_gemmt_kernelIlLi16ELi32ELi8ELc67ELc84ELc85ELb1ELb0E19rocblas_complex_numIdES1_PKPKS1_PKPS1_EviT_T9_T10_S9_lSB_S9_lSA_T11_S9_li,@function
_ZL29rocblas_internal_gemmt_kernelIlLi16ELi32ELi8ELc67ELc84ELc85ELb1ELb0E19rocblas_complex_numIdES1_PKPKS1_PKPS1_EviT_T9_T10_S9_lSB_S9_lSA_T11_S9_li: ; @_ZL29rocblas_internal_gemmt_kernelIlLi16ELi32ELi8ELc67ELc84ELc85ELb1ELb0E19rocblas_complex_numIdES1_PKPKS1_PKPS1_EviT_T9_T10_S9_lSB_S9_lSA_T11_S9_li
; %bb.0:
	s_load_dwordx8 s[24:31], s[0:1], 0x48
	s_load_dwordx16 s[8:23], s[0:1], 0x8
	s_mov_b64 s[34:35], 0
	s_waitcnt lgkmcnt(0)
	v_cmp_eq_f64_e64 s[36:37], s[26:27], 1.0
	v_cmp_eq_f64_e64 s[6:7], s[28:29], 0
	s_and_b64 s[36:37], s[36:37], s[6:7]
	s_andn2_b64 vcc, exec, s[36:37]
	s_mov_b64 s[36:37], -1
	s_cbranch_vccnz .LBB565_4
; %bb.1:
	s_cmp_lg_u64 s[8:9], 0
	s_cbranch_scc0 .LBB565_3
; %bb.2:
	v_cmp_neq_f64_e64 s[34:35], s[10:11], 0
	v_cmp_neq_f64_e64 s[36:37], s[12:13], 0
	s_or_b64 s[34:35], s[34:35], s[36:37]
.LBB565_3:
	s_mov_b64 s[36:37], s[34:35]
.LBB565_4:
	s_and_b64 vcc, exec, s[36:37]
	s_cbranch_vccz .LBB565_32
; %bb.5:
	s_mov_b32 s5, 0
	s_load_dwordx4 s[36:39], s[0:1], 0x68
	s_load_dword s33, s[0:1], 0x0
	s_lshl_b64 s[0:1], s[4:5], 3
	s_add_u32 s4, s30, s0
	s_addc_u32 s5, s31, s1
	s_load_dwordx2 s[4:5], s[4:5], 0x0
	s_lshl_b32 s30, s2, 5
	s_lshl_b32 s31, s3, 5
	v_cmp_eq_f64_e64 s[2:3], s[10:11], 0
	v_cmp_eq_f64_e64 s[34:35], s[12:13], 0
	s_and_b64 s[2:3], s[2:3], s[34:35]
	v_cmp_lt_i64_e64 s[34:35], s[8:9], 1
	s_or_b64 s[2:3], s[2:3], s[34:35]
	v_and_b32_e32 v5, 0x3ff, v0
	v_bfe_u32 v7, v0, 10, 10
	v_mov_b64_e32 v[26:27], 0
	s_and_b64 vcc, exec, s[2:3]
	v_mov_b64_e32 v[28:29], 0
	v_mov_b64_e32 v[22:23], 0
	;; [unrolled: 1-line block ×7, first 2 shown]
	s_cbranch_vccnz .LBB565_16
; %bb.6:
	s_add_u32 s2, s20, s0
	s_addc_u32 s3, s21, s1
	s_load_dwordx2 s[2:3], s[2:3], 0x0
	s_lshl_b64 s[20:21], s[24:25], 4
	v_lshl_add_u32 v1, v7, 4, v5
	v_lshrrev_b32_e32 v6, 5, v1
	v_lshrrev_b32_e32 v10, 3, v1
	s_waitcnt lgkmcnt(0)
	s_add_u32 s2, s2, s20
	s_addc_u32 s3, s3, s21
	s_add_u32 s0, s14, s0
	s_addc_u32 s1, s15, s1
	s_load_dwordx2 s[0:1], s[0:1], 0x0
	s_lshl_b64 s[14:15], s[18:19], 4
	v_and_b32_e32 v1, 31, v1
	v_or_b32_e32 v2, s30, v1
	v_lshlrev_b32_e32 v1, 4, v1
	s_waitcnt lgkmcnt(0)
	s_add_u32 s14, s0, s14
	s_addc_u32 s15, s1, s15
	s_ashr_i32 s20, s30, 31
	v_and_b32_e32 v4, 7, v5
	v_cmp_gt_i32_e64 s[0:1], s33, v2
	v_lshl_or_b32 v30, v6, 9, v1
	v_mul_lo_u32 v1, s17, v2
	v_mad_u64_u32 v[2:3], s[18:19], s16, v2, 0
	s_mul_i32 s16, s16, s20
	v_add3_u32 v3, v3, s16, v1
	v_lshlrev_b32_e32 v1, 4, v4
	v_add_u32_e32 v0, s31, v10
	v_lshl_or_b32 v1, v10, 7, v1
	v_add_u32_e32 v31, 0x1000, v1
	v_ashrrev_i32_e32 v1, 31, v0
	v_cmp_gt_i32_e32 vcc, s33, v0
	v_lshl_add_u64 v[10:11], v[0:1], 4, s[2:3]
	v_mov_b32_e32 v0, 0x1000
	v_mov_b32_e32 v13, 0
	v_lshl_add_u64 v[8:9], v[2:3], 4, s[14:15]
	v_lshlrev_b32_e32 v32, 4, v5
	v_lshl_add_u32 v33, v7, 7, v0
	v_mov_b64_e32 v[14:15], 0
	s_mov_b64 s[2:3], 0
	s_xor_b64 s[14:15], vcc, -1
	v_mov_b32_e32 v34, v13
	v_mov_b32_e32 v35, v13
	;; [unrolled: 1-line block ×4, first 2 shown]
	v_mov_b64_e32 v[16:17], 0
	v_mov_b64_e32 v[20:21], 0
	;; [unrolled: 1-line block ×7, first 2 shown]
	s_branch .LBB565_8
.LBB565_7:                              ;   in Loop: Header=BB565_8 Depth=1
	s_or_b64 exec, exec, s[16:17]
	s_waitcnt lgkmcnt(0)
	s_barrier
	ds_read_b128 v[0:3], v32
	ds_read_b128 v[38:41], v33
	ds_read_b128 v[42:45], v33 offset:16
	ds_read_b128 v[46:49], v33 offset:32
	;; [unrolled: 1-line block ×4, first 2 shown]
	s_waitcnt lgkmcnt(4)
	v_mul_f64 v[58:59], v[40:41], v[2:3]
	v_fma_f64 v[58:59], v[38:39], v[0:1], -v[58:59]
	v_mul_f64 v[60:61], v[38:39], v[2:3]
	v_fmac_f64_e32 v[60:61], v[40:41], v[0:1]
	v_add_f64 v[58:59], v[26:27], v[58:59]
	s_waitcnt lgkmcnt(0)
	v_mul_f64 v[26:27], v[40:41], v[56:57]
	v_add_f64 v[60:61], v[60:61], v[28:29]
	v_fma_f64 v[62:63], v[38:39], v[54:55], -v[26:27]
	ds_read_b128 v[26:29], v33 offset:2048
	v_mul_f64 v[38:39], v[38:39], v[56:57]
	v_fmac_f64_e32 v[38:39], v[40:41], v[54:55]
	v_add_f64 v[40:41], v[22:23], v[62:63]
	v_add_f64 v[38:39], v[38:39], v[24:25]
	ds_read_b128 v[22:25], v33 offset:2064
	s_waitcnt lgkmcnt(1)
	v_mul_f64 v[62:63], v[28:29], v[2:3]
	v_mul_f64 v[2:3], v[26:27], v[2:3]
	v_fma_f64 v[62:63], v[26:27], v[0:1], -v[62:63]
	v_fmac_f64_e32 v[2:3], v[28:29], v[0:1]
	v_mul_f64 v[0:1], v[28:29], v[56:57]
	v_add_f64 v[18:19], v[18:19], v[62:63]
	v_add_f64 v[20:21], v[2:3], v[20:21]
	v_fma_f64 v[62:63], v[26:27], v[54:55], -v[0:1]
	v_mul_f64 v[26:27], v[26:27], v[56:57]
	ds_read_b128 v[0:3], v32 offset:512
	v_fmac_f64_e32 v[26:27], v[28:29], v[54:55]
	v_add_f64 v[28:29], v[16:17], v[62:63]
	v_add_f64 v[26:27], v[26:27], v[14:15]
	ds_read_b128 v[14:17], v32 offset:768
	s_waitcnt lgkmcnt(1)
	v_mul_f64 v[54:55], v[44:45], v[2:3]
	v_fma_f64 v[54:55], v[42:43], v[0:1], -v[54:55]
	v_add_f64 v[54:55], v[58:59], v[54:55]
	v_mul_f64 v[56:57], v[42:43], v[2:3]
	s_waitcnt lgkmcnt(0)
	v_mul_f64 v[58:59], v[44:45], v[16:17]
	v_fma_f64 v[58:59], v[42:43], v[14:15], -v[58:59]
	v_mul_f64 v[42:43], v[42:43], v[16:17]
	v_fmac_f64_e32 v[42:43], v[44:45], v[14:15]
	v_add_f64 v[38:39], v[42:43], v[38:39]
	v_mul_f64 v[42:43], v[24:25], v[2:3]
	v_mul_f64 v[2:3], v[22:23], v[2:3]
	v_fmac_f64_e32 v[56:57], v[44:45], v[0:1]
	v_fma_f64 v[42:43], v[22:23], v[0:1], -v[42:43]
	v_fmac_f64_e32 v[2:3], v[24:25], v[0:1]
	v_mul_f64 v[0:1], v[24:25], v[16:17]
	v_add_f64 v[42:43], v[18:19], v[42:43]
	v_add_f64 v[44:45], v[2:3], v[20:21]
	v_fma_f64 v[18:19], v[22:23], v[14:15], -v[0:1]
	v_mul_f64 v[16:17], v[22:23], v[16:17]
	ds_read_b128 v[0:3], v32 offset:1024
	v_fmac_f64_e32 v[16:17], v[24:25], v[14:15]
	v_add_f64 v[26:27], v[16:17], v[26:27]
	ds_read_b128 v[14:17], v32 offset:1280
	v_add_f64 v[28:29], v[28:29], v[18:19]
	s_waitcnt lgkmcnt(1)
	v_mul_f64 v[18:19], v[48:49], v[2:3]
	v_fma_f64 v[18:19], v[46:47], v[0:1], -v[18:19]
	v_mul_f64 v[20:21], v[46:47], v[2:3]
	v_add_f64 v[56:57], v[56:57], v[60:61]
	v_fmac_f64_e32 v[20:21], v[48:49], v[0:1]
	v_add_f64 v[54:55], v[54:55], v[18:19]
	s_waitcnt lgkmcnt(0)
	v_mul_f64 v[18:19], v[48:49], v[16:17]
	v_add_f64 v[56:57], v[20:21], v[56:57]
	v_fma_f64 v[22:23], v[46:47], v[14:15], -v[18:19]
	ds_read_b128 v[18:21], v33 offset:2080
	v_mul_f64 v[24:25], v[46:47], v[16:17]
	v_add_f64 v[40:41], v[40:41], v[58:59]
	v_fmac_f64_e32 v[24:25], v[48:49], v[14:15]
	v_add_f64 v[40:41], v[40:41], v[22:23]
	v_add_f64 v[38:39], v[24:25], v[38:39]
	ds_read_b128 v[22:25], v33 offset:2096
	s_waitcnt lgkmcnt(1)
	v_mul_f64 v[46:47], v[20:21], v[2:3]
	v_mul_f64 v[2:3], v[18:19], v[2:3]
	v_fma_f64 v[46:47], v[18:19], v[0:1], -v[46:47]
	v_fmac_f64_e32 v[2:3], v[20:21], v[0:1]
	v_mul_f64 v[0:1], v[20:21], v[16:17]
	v_mul_f64 v[16:17], v[18:19], v[16:17]
	v_fmac_f64_e32 v[16:17], v[20:21], v[14:15]
	v_add_f64 v[42:43], v[42:43], v[46:47]
	v_add_f64 v[44:45], v[2:3], v[44:45]
	v_fma_f64 v[46:47], v[18:19], v[14:15], -v[0:1]
	ds_read_b128 v[0:3], v32 offset:1536
	v_add_f64 v[20:21], v[16:17], v[26:27]
	ds_read_b128 v[14:17], v32 offset:1792
	v_add_f64 v[18:19], v[28:29], v[46:47]
	s_add_u32 s2, s2, 8
	s_waitcnt lgkmcnt(1)
	v_mul_f64 v[26:27], v[52:53], v[2:3]
	v_mul_f64 v[28:29], v[50:51], v[2:3]
	s_waitcnt lgkmcnt(0)
	v_mul_f64 v[46:47], v[52:53], v[16:17]
	v_fma_f64 v[46:47], v[50:51], v[14:15], -v[46:47]
	v_add_f64 v[40:41], v[40:41], v[46:47]
	v_mul_f64 v[46:47], v[24:25], v[2:3]
	v_mul_f64 v[2:3], v[22:23], v[2:3]
	v_fma_f64 v[26:27], v[50:51], v[0:1], -v[26:27]
	v_fmac_f64_e32 v[28:29], v[52:53], v[0:1]
	v_fma_f64 v[46:47], v[22:23], v[0:1], -v[46:47]
	v_fmac_f64_e32 v[2:3], v[24:25], v[0:1]
	v_mul_f64 v[0:1], v[24:25], v[16:17]
	v_mul_f64 v[48:49], v[50:51], v[16:17]
	v_add_f64 v[42:43], v[42:43], v[46:47]
	v_fma_f64 v[46:47], v[22:23], v[14:15], -v[0:1]
	v_mul_f64 v[22:23], v[22:23], v[16:17]
	v_fmac_f64_e32 v[48:49], v[52:53], v[14:15]
	v_add_f64 v[44:45], v[2:3], v[44:45]
	v_fmac_f64_e32 v[22:23], v[24:25], v[14:15]
	ds_read_b128 v[0:3], v33 offset:64
	ds_read_b128 v[14:17], v32 offset:2048
	v_add_f64 v[38:39], v[48:49], v[38:39]
	v_add_f64 v[46:47], v[18:19], v[46:47]
	v_add_f64 v[48:49], v[22:23], v[20:21]
	ds_read_b128 v[18:21], v32 offset:2304
	ds_read_b128 v[22:25], v33 offset:80
	s_waitcnt lgkmcnt(2)
	v_mul_f64 v[50:51], v[2:3], v[16:17]
	v_add_f64 v[26:27], v[54:55], v[26:27]
	v_fma_f64 v[50:51], v[0:1], v[14:15], -v[50:51]
	v_mul_f64 v[52:53], v[0:1], v[16:17]
	v_add_f64 v[28:29], v[28:29], v[56:57]
	v_fmac_f64_e32 v[52:53], v[2:3], v[14:15]
	v_add_f64 v[50:51], v[26:27], v[50:51]
	s_waitcnt lgkmcnt(1)
	v_mul_f64 v[26:27], v[2:3], v[20:21]
	v_add_f64 v[52:53], v[52:53], v[28:29]
	v_fma_f64 v[54:55], v[0:1], v[18:19], -v[26:27]
	ds_read_b128 v[26:29], v33 offset:2112
	v_mul_f64 v[0:1], v[0:1], v[20:21]
	v_fmac_f64_e32 v[0:1], v[2:3], v[18:19]
	v_add_f64 v[40:41], v[40:41], v[54:55]
	v_add_f64 v[38:39], v[0:1], v[38:39]
	ds_read_b128 v[0:3], v33 offset:2128
	s_waitcnt lgkmcnt(1)
	v_mul_f64 v[54:55], v[28:29], v[16:17]
	v_mul_f64 v[16:17], v[26:27], v[16:17]
	v_fma_f64 v[54:55], v[26:27], v[14:15], -v[54:55]
	v_fmac_f64_e32 v[16:17], v[28:29], v[14:15]
	v_mul_f64 v[14:15], v[28:29], v[20:21]
	v_add_f64 v[42:43], v[42:43], v[54:55]
	v_add_f64 v[44:45], v[16:17], v[44:45]
	v_fma_f64 v[54:55], v[26:27], v[18:19], -v[14:15]
	v_mul_f64 v[20:21], v[26:27], v[20:21]
	ds_read_b128 v[14:17], v32 offset:2560
	v_fmac_f64_e32 v[20:21], v[28:29], v[18:19]
	v_add_f64 v[28:29], v[20:21], v[48:49]
	ds_read_b128 v[18:21], v32 offset:2816
	v_add_f64 v[26:27], v[46:47], v[54:55]
	s_waitcnt lgkmcnt(1)
	v_mul_f64 v[46:47], v[24:25], v[16:17]
	v_fma_f64 v[46:47], v[22:23], v[14:15], -v[46:47]
	v_add_f64 v[46:47], v[50:51], v[46:47]
	s_waitcnt lgkmcnt(0)
	v_mul_f64 v[50:51], v[24:25], v[20:21]
	v_mul_f64 v[48:49], v[22:23], v[16:17]
	v_fma_f64 v[50:51], v[22:23], v[18:19], -v[50:51]
	v_mul_f64 v[22:23], v[22:23], v[20:21]
	v_fmac_f64_e32 v[22:23], v[24:25], v[18:19]
	v_add_f64 v[38:39], v[22:23], v[38:39]
	v_mul_f64 v[22:23], v[2:3], v[16:17]
	v_mul_f64 v[16:17], v[0:1], v[16:17]
	v_fmac_f64_e32 v[48:49], v[24:25], v[14:15]
	v_fma_f64 v[22:23], v[0:1], v[14:15], -v[22:23]
	v_fmac_f64_e32 v[16:17], v[2:3], v[14:15]
	v_mul_f64 v[14:15], v[2:3], v[20:21]
	v_mul_f64 v[20:21], v[0:1], v[20:21]
	v_add_f64 v[42:43], v[42:43], v[22:23]
	v_add_f64 v[44:45], v[16:17], v[44:45]
	v_fma_f64 v[22:23], v[0:1], v[18:19], -v[14:15]
	v_fmac_f64_e32 v[20:21], v[2:3], v[18:19]
	ds_read_b128 v[0:3], v33 offset:96
	ds_read_b128 v[14:17], v32 offset:3072
	v_add_f64 v[48:49], v[48:49], v[52:53]
	v_add_f64 v[40:41], v[40:41], v[50:51]
	;; [unrolled: 1-line block ×4, first 2 shown]
	ds_read_b128 v[18:21], v32 offset:3328
	ds_read_b128 v[22:25], v33 offset:112
	s_waitcnt lgkmcnt(2)
	v_mul_f64 v[26:27], v[2:3], v[16:17]
	v_fma_f64 v[26:27], v[0:1], v[14:15], -v[26:27]
	v_mul_f64 v[28:29], v[0:1], v[16:17]
	v_fmac_f64_e32 v[28:29], v[2:3], v[14:15]
	v_add_f64 v[46:47], v[46:47], v[26:27]
	s_waitcnt lgkmcnt(1)
	v_mul_f64 v[26:27], v[2:3], v[20:21]
	v_add_f64 v[48:49], v[28:29], v[48:49]
	v_fma_f64 v[54:55], v[0:1], v[18:19], -v[26:27]
	ds_read_b128 v[26:29], v33 offset:2144
	v_mul_f64 v[0:1], v[0:1], v[20:21]
	v_fmac_f64_e32 v[0:1], v[2:3], v[18:19]
	v_add_f64 v[56:57], v[0:1], v[38:39]
	ds_read_b128 v[0:3], v33 offset:2160
	s_waitcnt lgkmcnt(1)
	v_mul_f64 v[38:39], v[28:29], v[16:17]
	v_mul_f64 v[16:17], v[26:27], v[16:17]
	v_fma_f64 v[38:39], v[26:27], v[14:15], -v[38:39]
	v_fmac_f64_e32 v[16:17], v[28:29], v[14:15]
	v_mul_f64 v[14:15], v[28:29], v[20:21]
	v_add_f64 v[42:43], v[42:43], v[38:39]
	v_add_f64 v[44:45], v[16:17], v[44:45]
	v_fma_f64 v[38:39], v[26:27], v[18:19], -v[14:15]
	ds_read_b128 v[14:17], v32 offset:3584
	v_add_f64 v[54:55], v[40:41], v[54:55]
	v_add_f64 v[50:51], v[50:51], v[38:39]
	ds_read_b128 v[38:41], v32 offset:3840
	v_mul_f64 v[20:21], v[26:27], v[20:21]
	v_fmac_f64_e32 v[20:21], v[28:29], v[18:19]
	s_waitcnt lgkmcnt(1)
	v_mul_f64 v[18:19], v[24:25], v[16:17]
	v_fma_f64 v[18:19], v[22:23], v[14:15], -v[18:19]
	v_add_f64 v[52:53], v[20:21], v[52:53]
	v_mul_f64 v[20:21], v[22:23], v[16:17]
	v_add_f64 v[26:27], v[46:47], v[18:19]
	s_waitcnt lgkmcnt(0)
	v_mul_f64 v[18:19], v[24:25], v[40:41]
	v_fmac_f64_e32 v[20:21], v[24:25], v[14:15]
	v_fma_f64 v[18:19], v[22:23], v[38:39], -v[18:19]
	v_add_f64 v[28:29], v[20:21], v[48:49]
	v_mul_f64 v[20:21], v[22:23], v[40:41]
	v_add_f64 v[22:23], v[54:55], v[18:19]
	v_mul_f64 v[18:19], v[2:3], v[16:17]
	v_mul_f64 v[16:17], v[0:1], v[16:17]
	v_fma_f64 v[18:19], v[0:1], v[14:15], -v[18:19]
	v_fmac_f64_e32 v[16:17], v[2:3], v[14:15]
	v_mul_f64 v[14:15], v[2:3], v[40:41]
	v_fma_f64 v[14:15], v[0:1], v[38:39], -v[14:15]
	v_mul_f64 v[0:1], v[0:1], v[40:41]
	v_fmac_f64_e32 v[20:21], v[24:25], v[38:39]
	v_fmac_f64_e32 v[0:1], v[2:3], v[38:39]
	s_addc_u32 s3, s3, 0
	v_add_f64 v[24:25], v[20:21], v[56:57]
	v_add_f64 v[20:21], v[16:17], v[44:45]
	;; [unrolled: 1-line block ×4, first 2 shown]
	v_mov_b64_e32 v[0:1], s[2:3]
	v_cmp_gt_i64_e32 vcc, s[8:9], v[0:1]
	v_add_f64 v[18:19], v[42:43], v[18:19]
	s_barrier
	s_cbranch_vccz .LBB565_16
.LBB565_8:                              ; =>This Inner Loop Header: Depth=1
	v_mov_b64_e32 v[0:1], 0
	v_mov_b64_e32 v[2:3], 0
	s_and_saveexec_b64 s[16:17], s[0:1]
	s_cbranch_execz .LBB565_12
; %bb.9:                                ;   in Loop: Header=BB565_8 Depth=1
	v_add_u32_e32 v12, s2, v6
	v_cmp_gt_u64_e32 vcc, s[8:9], v[12:13]
	v_mov_b64_e32 v[2:3], 0
	v_mov_b64_e32 v[0:1], 0
	s_and_saveexec_b64 s[18:19], vcc
	s_cbranch_execz .LBB565_11
; %bb.10:                               ;   in Loop: Header=BB565_8 Depth=1
	v_lshl_add_u64 v[0:1], v[12:13], 4, v[8:9]
	flat_load_dwordx4 v[0:3], v[0:1]
	s_waitcnt vmcnt(0) lgkmcnt(0)
	v_xor_b32_e32 v3, 0x80000000, v3
.LBB565_11:                             ;   in Loop: Header=BB565_8 Depth=1
	s_or_b64 exec, exec, s[18:19]
.LBB565_12:                             ;   in Loop: Header=BB565_8 Depth=1
	s_or_b64 exec, exec, s[16:17]
	v_add_u32_e32 v12, s2, v4
	v_cmp_le_u64_e32 vcc, s[8:9], v[12:13]
	s_or_b64 s[16:17], vcc, s[14:15]
	ds_write_b128 v30, v[0:3]
	s_and_saveexec_b64 s[18:19], s[16:17]
	s_xor_b64 s[16:17], exec, s[18:19]
; %bb.13:                               ;   in Loop: Header=BB565_8 Depth=1
	ds_write_b128 v31, v[34:37]
; %bb.14:                               ;   in Loop: Header=BB565_8 Depth=1
	s_andn2_saveexec_b64 s[16:17], s[16:17]
	s_cbranch_execz .LBB565_7
; %bb.15:                               ;   in Loop: Header=BB565_8 Depth=1
	v_mad_u64_u32 v[0:1], s[18:19], s22, v12, 0
	v_mov_b32_e32 v2, v1
	v_mad_u64_u32 v[2:3], s[18:19], s23, v12, v[2:3]
	v_mov_b32_e32 v1, v2
	v_lshl_add_u64 v[0:1], v[0:1], 4, v[10:11]
	flat_load_dwordx4 v[0:3], v[0:1]
	s_waitcnt vmcnt(0) lgkmcnt(0)
	ds_write2_b64 v31, v[0:1], v[2:3] offset1:1
	s_branch .LBB565_7
.LBB565_16:
	s_waitcnt lgkmcnt(0)
	s_lshl_b64 s[0:1], s[38:39], 4
	v_add_u32_e32 v10, s31, v7
	s_add_u32 s4, s4, s0
	v_ashrrev_i32_e32 v0, 31, v10
	s_addc_u32 s5, s5, s1
	v_cmp_neq_f64_e64 s[0:1], s[26:27], 0
	s_xor_b64 s[6:7], s[6:7], -1
	v_mul_lo_u32 v2, s36, v0
	v_mul_lo_u32 v3, s37, v10
	v_mad_u64_u32 v[0:1], s[8:9], s36, v10, 0
	v_add_u32_e32 v4, s30, v5
	v_add3_u32 v1, v1, v2, v3
	s_or_b64 s[0:1], s[0:1], s[6:7]
	v_cmp_gt_i32_e64 s[2:3], s33, v10
	v_lshl_add_u64 v[8:9], v[0:1], 4, s[4:5]
	v_cmp_le_i32_e32 vcc, v4, v10
	v_cndmask_b32_e64 v0, 0, 1, s[0:1]
	s_and_b64 s[8:9], s[2:3], vcc
	v_ashrrev_i32_e32 v5, 31, v4
	v_cmp_ne_u32_e64 s[0:1], 1, v0
	s_and_saveexec_b64 s[6:7], s[8:9]
	s_cbranch_execz .LBB565_20
; %bb.17:
	v_mul_f64 v[0:1], s[12:13], v[28:29]
	v_mul_f64 v[2:3], s[10:11], v[28:29]
	v_fma_f64 v[0:1], s[10:11], v[26:27], -v[0:1]
	v_fmac_f64_e32 v[2:3], s[12:13], v[26:27]
	s_and_b64 vcc, exec, s[0:1]
	v_lshl_add_u64 v[6:7], v[4:5], 4, v[8:9]
	s_cbranch_vccnz .LBB565_19
; %bb.18:
	flat_load_dwordx4 v[26:29], v[6:7]
	s_waitcnt vmcnt(0) lgkmcnt(0)
	v_mul_f64 v[12:13], s[28:29], v[28:29]
	v_mul_f64 v[28:29], s[26:27], v[28:29]
	v_fma_f64 v[12:13], s[26:27], v[26:27], -v[12:13]
	v_fmac_f64_e32 v[28:29], s[28:29], v[26:27]
	v_add_f64 v[0:1], v[0:1], v[12:13]
	v_add_f64 v[2:3], v[2:3], v[28:29]
.LBB565_19:
	flat_store_dwordx4 v[6:7], v[0:3]
.LBB565_20:
	s_or_b64 exec, exec, s[6:7]
	v_add_u32_e32 v6, 16, v4
	v_cmp_le_i32_e32 vcc, v6, v10
	s_and_b64 s[6:7], s[2:3], vcc
	v_ashrrev_i32_e32 v7, 31, v6
	s_and_saveexec_b64 s[2:3], s[6:7]
	s_cbranch_execz .LBB565_24
; %bb.21:
	v_mul_f64 v[0:1], s[12:13], v[24:25]
	v_mul_f64 v[2:3], s[10:11], v[24:25]
	v_fma_f64 v[0:1], s[10:11], v[22:23], -v[0:1]
	v_fmac_f64_e32 v[2:3], s[12:13], v[22:23]
	s_and_b64 vcc, exec, s[0:1]
	v_lshl_add_u64 v[8:9], v[6:7], 4, v[8:9]
	s_cbranch_vccnz .LBB565_23
; %bb.22:
	flat_load_dwordx4 v[22:25], v[8:9]
	s_waitcnt vmcnt(0) lgkmcnt(0)
	v_mul_f64 v[12:13], s[28:29], v[24:25]
	v_mul_f64 v[24:25], s[26:27], v[24:25]
	v_fma_f64 v[12:13], s[26:27], v[22:23], -v[12:13]
	v_fmac_f64_e32 v[24:25], s[28:29], v[22:23]
	v_add_f64 v[0:1], v[0:1], v[12:13]
	v_add_f64 v[2:3], v[2:3], v[24:25]
.LBB565_23:
	flat_store_dwordx4 v[8:9], v[0:3]
.LBB565_24:
	s_or_b64 exec, exec, s[2:3]
	v_add_u32_e32 v10, 16, v10
	v_ashrrev_i32_e32 v0, 31, v10
	v_mul_lo_u32 v2, s36, v0
	v_mul_lo_u32 v3, s37, v10
	v_mad_u64_u32 v[0:1], s[6:7], s36, v10, 0
	v_cmp_gt_i32_e64 s[2:3], s33, v10
	v_add3_u32 v1, v1, v2, v3
	v_cmp_le_i32_e32 vcc, v4, v10
	v_lshl_add_u64 v[8:9], v[0:1], 4, s[4:5]
	s_and_b64 s[6:7], s[2:3], vcc
	s_and_saveexec_b64 s[4:5], s[6:7]
	s_cbranch_execz .LBB565_28
; %bb.25:
	v_mul_f64 v[0:1], s[12:13], v[20:21]
	v_mul_f64 v[2:3], s[10:11], v[20:21]
	v_fma_f64 v[0:1], s[10:11], v[18:19], -v[0:1]
	v_fmac_f64_e32 v[2:3], s[12:13], v[18:19]
	s_and_b64 vcc, exec, s[0:1]
	v_lshl_add_u64 v[4:5], v[4:5], 4, v[8:9]
	s_cbranch_vccnz .LBB565_27
; %bb.26:
	flat_load_dwordx4 v[18:21], v[4:5]
	s_waitcnt vmcnt(0) lgkmcnt(0)
	v_mul_f64 v[12:13], s[28:29], v[20:21]
	v_mul_f64 v[20:21], s[26:27], v[20:21]
	v_fma_f64 v[12:13], s[26:27], v[18:19], -v[12:13]
	v_fmac_f64_e32 v[20:21], s[28:29], v[18:19]
	v_add_f64 v[0:1], v[0:1], v[12:13]
	v_add_f64 v[2:3], v[2:3], v[20:21]
.LBB565_27:
	flat_store_dwordx4 v[4:5], v[0:3]
.LBB565_28:
	s_or_b64 exec, exec, s[4:5]
	v_cmp_le_i32_e32 vcc, v6, v10
	s_and_b64 s[2:3], s[2:3], vcc
	s_and_saveexec_b64 s[4:5], s[2:3]
	s_cbranch_execz .LBB565_32
; %bb.29:
	v_mul_f64 v[0:1], s[12:13], v[14:15]
	v_mul_f64 v[2:3], s[10:11], v[14:15]
	v_fma_f64 v[0:1], s[10:11], v[16:17], -v[0:1]
	v_fmac_f64_e32 v[2:3], s[12:13], v[16:17]
	s_and_b64 vcc, exec, s[0:1]
	v_lshl_add_u64 v[4:5], v[6:7], 4, v[8:9]
	s_cbranch_vccnz .LBB565_31
; %bb.30:
	flat_load_dwordx4 v[6:9], v[4:5]
	s_waitcnt vmcnt(0) lgkmcnt(0)
	v_mul_f64 v[10:11], s[28:29], v[8:9]
	v_mul_f64 v[8:9], s[26:27], v[8:9]
	v_fma_f64 v[10:11], s[26:27], v[6:7], -v[10:11]
	v_fmac_f64_e32 v[8:9], s[28:29], v[6:7]
	v_add_f64 v[0:1], v[0:1], v[10:11]
	v_add_f64 v[2:3], v[2:3], v[8:9]
.LBB565_31:
	flat_store_dwordx4 v[4:5], v[0:3]
.LBB565_32:
	s_endpgm
	.section	.rodata,"a",@progbits
	.p2align	6, 0x0
	.amdhsa_kernel _ZL29rocblas_internal_gemmt_kernelIlLi16ELi32ELi8ELc67ELc84ELc85ELb1ELb0E19rocblas_complex_numIdES1_PKPKS1_PKPS1_EviT_T9_T10_S9_lSB_S9_lSA_T11_S9_li
		.amdhsa_group_segment_fixed_size 8192
		.amdhsa_private_segment_fixed_size 0
		.amdhsa_kernarg_size 124
		.amdhsa_user_sgpr_count 2
		.amdhsa_user_sgpr_dispatch_ptr 0
		.amdhsa_user_sgpr_queue_ptr 0
		.amdhsa_user_sgpr_kernarg_segment_ptr 1
		.amdhsa_user_sgpr_dispatch_id 0
		.amdhsa_user_sgpr_kernarg_preload_length 0
		.amdhsa_user_sgpr_kernarg_preload_offset 0
		.amdhsa_user_sgpr_private_segment_size 0
		.amdhsa_uses_dynamic_stack 0
		.amdhsa_enable_private_segment 0
		.amdhsa_system_sgpr_workgroup_id_x 1
		.amdhsa_system_sgpr_workgroup_id_y 1
		.amdhsa_system_sgpr_workgroup_id_z 1
		.amdhsa_system_sgpr_workgroup_info 0
		.amdhsa_system_vgpr_workitem_id 1
		.amdhsa_next_free_vgpr 64
		.amdhsa_next_free_sgpr 40
		.amdhsa_accum_offset 64
		.amdhsa_reserve_vcc 1
		.amdhsa_float_round_mode_32 0
		.amdhsa_float_round_mode_16_64 0
		.amdhsa_float_denorm_mode_32 3
		.amdhsa_float_denorm_mode_16_64 3
		.amdhsa_dx10_clamp 1
		.amdhsa_ieee_mode 1
		.amdhsa_fp16_overflow 0
		.amdhsa_tg_split 0
		.amdhsa_exception_fp_ieee_invalid_op 0
		.amdhsa_exception_fp_denorm_src 0
		.amdhsa_exception_fp_ieee_div_zero 0
		.amdhsa_exception_fp_ieee_overflow 0
		.amdhsa_exception_fp_ieee_underflow 0
		.amdhsa_exception_fp_ieee_inexact 0
		.amdhsa_exception_int_div_zero 0
	.end_amdhsa_kernel
	.section	.text._ZL29rocblas_internal_gemmt_kernelIlLi16ELi32ELi8ELc67ELc84ELc85ELb1ELb0E19rocblas_complex_numIdES1_PKPKS1_PKPS1_EviT_T9_T10_S9_lSB_S9_lSA_T11_S9_li,"axG",@progbits,_ZL29rocblas_internal_gemmt_kernelIlLi16ELi32ELi8ELc67ELc84ELc85ELb1ELb0E19rocblas_complex_numIdES1_PKPKS1_PKPS1_EviT_T9_T10_S9_lSB_S9_lSA_T11_S9_li,comdat
.Lfunc_end565:
	.size	_ZL29rocblas_internal_gemmt_kernelIlLi16ELi32ELi8ELc67ELc84ELc85ELb1ELb0E19rocblas_complex_numIdES1_PKPKS1_PKPS1_EviT_T9_T10_S9_lSB_S9_lSA_T11_S9_li, .Lfunc_end565-_ZL29rocblas_internal_gemmt_kernelIlLi16ELi32ELi8ELc67ELc84ELc85ELb1ELb0E19rocblas_complex_numIdES1_PKPKS1_PKPS1_EviT_T9_T10_S9_lSB_S9_lSA_T11_S9_li
                                        ; -- End function
	.set _ZL29rocblas_internal_gemmt_kernelIlLi16ELi32ELi8ELc67ELc84ELc85ELb1ELb0E19rocblas_complex_numIdES1_PKPKS1_PKPS1_EviT_T9_T10_S9_lSB_S9_lSA_T11_S9_li.num_vgpr, 64
	.set _ZL29rocblas_internal_gemmt_kernelIlLi16ELi32ELi8ELc67ELc84ELc85ELb1ELb0E19rocblas_complex_numIdES1_PKPKS1_PKPS1_EviT_T9_T10_S9_lSB_S9_lSA_T11_S9_li.num_agpr, 0
	.set _ZL29rocblas_internal_gemmt_kernelIlLi16ELi32ELi8ELc67ELc84ELc85ELb1ELb0E19rocblas_complex_numIdES1_PKPKS1_PKPS1_EviT_T9_T10_S9_lSB_S9_lSA_T11_S9_li.numbered_sgpr, 40
	.set _ZL29rocblas_internal_gemmt_kernelIlLi16ELi32ELi8ELc67ELc84ELc85ELb1ELb0E19rocblas_complex_numIdES1_PKPKS1_PKPS1_EviT_T9_T10_S9_lSB_S9_lSA_T11_S9_li.num_named_barrier, 0
	.set _ZL29rocblas_internal_gemmt_kernelIlLi16ELi32ELi8ELc67ELc84ELc85ELb1ELb0E19rocblas_complex_numIdES1_PKPKS1_PKPS1_EviT_T9_T10_S9_lSB_S9_lSA_T11_S9_li.private_seg_size, 0
	.set _ZL29rocblas_internal_gemmt_kernelIlLi16ELi32ELi8ELc67ELc84ELc85ELb1ELb0E19rocblas_complex_numIdES1_PKPKS1_PKPS1_EviT_T9_T10_S9_lSB_S9_lSA_T11_S9_li.uses_vcc, 1
	.set _ZL29rocblas_internal_gemmt_kernelIlLi16ELi32ELi8ELc67ELc84ELc85ELb1ELb0E19rocblas_complex_numIdES1_PKPKS1_PKPS1_EviT_T9_T10_S9_lSB_S9_lSA_T11_S9_li.uses_flat_scratch, 0
	.set _ZL29rocblas_internal_gemmt_kernelIlLi16ELi32ELi8ELc67ELc84ELc85ELb1ELb0E19rocblas_complex_numIdES1_PKPKS1_PKPS1_EviT_T9_T10_S9_lSB_S9_lSA_T11_S9_li.has_dyn_sized_stack, 0
	.set _ZL29rocblas_internal_gemmt_kernelIlLi16ELi32ELi8ELc67ELc84ELc85ELb1ELb0E19rocblas_complex_numIdES1_PKPKS1_PKPS1_EviT_T9_T10_S9_lSB_S9_lSA_T11_S9_li.has_recursion, 0
	.set _ZL29rocblas_internal_gemmt_kernelIlLi16ELi32ELi8ELc67ELc84ELc85ELb1ELb0E19rocblas_complex_numIdES1_PKPKS1_PKPS1_EviT_T9_T10_S9_lSB_S9_lSA_T11_S9_li.has_indirect_call, 0
	.section	.AMDGPU.csdata,"",@progbits
; Kernel info:
; codeLenInByte = 3152
; TotalNumSgprs: 46
; NumVgprs: 64
; NumAgprs: 0
; TotalNumVgprs: 64
; ScratchSize: 0
; MemoryBound: 1
; FloatMode: 240
; IeeeMode: 1
; LDSByteSize: 8192 bytes/workgroup (compile time only)
; SGPRBlocks: 5
; VGPRBlocks: 7
; NumSGPRsForWavesPerEU: 46
; NumVGPRsForWavesPerEU: 64
; AccumOffset: 64
; Occupancy: 8
; WaveLimiterHint : 1
; COMPUTE_PGM_RSRC2:SCRATCH_EN: 0
; COMPUTE_PGM_RSRC2:USER_SGPR: 2
; COMPUTE_PGM_RSRC2:TRAP_HANDLER: 0
; COMPUTE_PGM_RSRC2:TGID_X_EN: 1
; COMPUTE_PGM_RSRC2:TGID_Y_EN: 1
; COMPUTE_PGM_RSRC2:TGID_Z_EN: 1
; COMPUTE_PGM_RSRC2:TIDIG_COMP_CNT: 1
; COMPUTE_PGM_RSRC3_GFX90A:ACCUM_OFFSET: 15
; COMPUTE_PGM_RSRC3_GFX90A:TG_SPLIT: 0
	.section	.text._ZL29rocblas_internal_gemmt_kernelIlLi16ELi32ELi8ELc67ELc67ELc85ELb1ELb1E19rocblas_complex_numIdES1_PKPKS1_PKPS1_EviT_T9_T10_S9_lSB_S9_lSA_T11_S9_li,"axG",@progbits,_ZL29rocblas_internal_gemmt_kernelIlLi16ELi32ELi8ELc67ELc67ELc85ELb1ELb1E19rocblas_complex_numIdES1_PKPKS1_PKPS1_EviT_T9_T10_S9_lSB_S9_lSA_T11_S9_li,comdat
	.globl	_ZL29rocblas_internal_gemmt_kernelIlLi16ELi32ELi8ELc67ELc67ELc85ELb1ELb1E19rocblas_complex_numIdES1_PKPKS1_PKPS1_EviT_T9_T10_S9_lSB_S9_lSA_T11_S9_li ; -- Begin function _ZL29rocblas_internal_gemmt_kernelIlLi16ELi32ELi8ELc67ELc67ELc85ELb1ELb1E19rocblas_complex_numIdES1_PKPKS1_PKPS1_EviT_T9_T10_S9_lSB_S9_lSA_T11_S9_li
	.p2align	8
	.type	_ZL29rocblas_internal_gemmt_kernelIlLi16ELi32ELi8ELc67ELc67ELc85ELb1ELb1E19rocblas_complex_numIdES1_PKPKS1_PKPS1_EviT_T9_T10_S9_lSB_S9_lSA_T11_S9_li,@function
_ZL29rocblas_internal_gemmt_kernelIlLi16ELi32ELi8ELc67ELc67ELc85ELb1ELb1E19rocblas_complex_numIdES1_PKPKS1_PKPS1_EviT_T9_T10_S9_lSB_S9_lSA_T11_S9_li: ; @_ZL29rocblas_internal_gemmt_kernelIlLi16ELi32ELi8ELc67ELc67ELc85ELb1ELb1E19rocblas_complex_numIdES1_PKPKS1_PKPS1_EviT_T9_T10_S9_lSB_S9_lSA_T11_S9_li
; %bb.0:
	s_load_dwordx8 s[24:31], s[0:1], 0x48
	s_load_dwordx16 s[8:23], s[0:1], 0x8
	s_mov_b64 s[34:35], 0
	s_waitcnt lgkmcnt(0)
	v_cmp_eq_f64_e64 s[36:37], s[26:27], 1.0
	v_cmp_eq_f64_e64 s[6:7], s[28:29], 0
	s_and_b64 s[36:37], s[36:37], s[6:7]
	s_andn2_b64 vcc, exec, s[36:37]
	s_mov_b64 s[36:37], -1
	s_cbranch_vccnz .LBB566_4
; %bb.1:
	s_cmp_lg_u64 s[8:9], 0
	s_cbranch_scc0 .LBB566_3
; %bb.2:
	v_cmp_neq_f64_e64 s[34:35], s[10:11], 0
	v_cmp_neq_f64_e64 s[36:37], s[12:13], 0
	s_or_b64 s[34:35], s[34:35], s[36:37]
.LBB566_3:
	s_mov_b64 s[36:37], s[34:35]
.LBB566_4:
	s_and_b64 vcc, exec, s[36:37]
	s_cbranch_vccz .LBB566_30
; %bb.5:
	s_mov_b32 s5, 0
	s_load_dwordx4 s[36:39], s[0:1], 0x68
	s_load_dword s33, s[0:1], 0x0
	s_lshl_b64 s[0:1], s[4:5], 3
	s_add_u32 s4, s30, s0
	s_addc_u32 s5, s31, s1
	s_load_dwordx2 s[4:5], s[4:5], 0x0
	s_lshl_b32 s30, s2, 5
	s_lshl_b32 s31, s3, 5
	v_cmp_eq_f64_e64 s[2:3], s[10:11], 0
	v_cmp_eq_f64_e64 s[34:35], s[12:13], 0
	s_and_b64 s[2:3], s[2:3], s[34:35]
	v_cmp_lt_i64_e64 s[34:35], s[8:9], 1
	s_or_b64 s[2:3], s[2:3], s[34:35]
	v_and_b32_e32 v5, 0x3ff, v0
	v_bfe_u32 v7, v0, 10, 10
	v_mov_b64_e32 v[26:27], 0
	s_and_b64 vcc, exec, s[2:3]
	v_mov_b64_e32 v[28:29], 0
	v_mov_b64_e32 v[22:23], 0
	;; [unrolled: 1-line block ×7, first 2 shown]
	s_cbranch_vccnz .LBB566_14
; %bb.6:
	s_add_u32 s2, s20, s0
	s_addc_u32 s3, s21, s1
	s_load_dwordx2 s[2:3], s[2:3], 0x0
	s_lshl_b64 s[20:21], s[24:25], 4
	v_lshl_add_u32 v1, v7, 4, v5
	v_lshrrev_b32_e32 v6, 5, v1
	v_lshrrev_b32_e32 v10, 3, v1
	s_waitcnt lgkmcnt(0)
	s_add_u32 s20, s2, s20
	s_addc_u32 s21, s3, s21
	s_add_u32 s0, s14, s0
	s_addc_u32 s1, s15, s1
	s_load_dwordx2 s[0:1], s[0:1], 0x0
	v_and_b32_e32 v1, 31, v1
	s_lshl_b64 s[2:3], s[18:19], 4
	v_or_b32_e32 v2, s30, v1
	v_lshlrev_b32_e32 v1, 4, v1
	s_waitcnt lgkmcnt(0)
	s_add_u32 s2, s0, s2
	s_addc_u32 s3, s1, s3
	v_cmp_gt_i32_e64 s[0:1], s33, v2
	v_lshl_or_b32 v30, v6, 9, v1
	s_ashr_i32 s18, s30, 31
	v_mul_lo_u32 v1, s17, v2
	v_mad_u64_u32 v[2:3], s[14:15], s16, v2, 0
	v_and_b32_e32 v4, 7, v5
	s_mul_i32 s14, s16, s18
	v_add3_u32 v3, v3, s14, v1
	v_lshlrev_b32_e32 v1, 4, v4
	v_add_u32_e32 v0, s31, v10
	v_lshl_or_b32 v1, v10, 7, v1
	v_add_u32_e32 v31, 0x1000, v1
	v_ashrrev_i32_e32 v1, 31, v0
	v_lshl_add_u64 v[8:9], v[2:3], 4, s[2:3]
	v_cmp_gt_i32_e64 s[2:3], s33, v0
	v_lshl_add_u64 v[10:11], v[0:1], 4, s[20:21]
	v_mov_b32_e32 v0, 0x1000
	v_lshlrev_b32_e32 v32, 4, v5
	v_lshl_add_u32 v33, v7, 7, v0
	v_mov_b32_e32 v13, 0
	v_mov_b64_e32 v[14:15], 0
	s_mov_b64 s[14:15], 0
	v_mov_b64_e32 v[16:17], 0
	v_mov_b64_e32 v[20:21], 0
	;; [unrolled: 1-line block ×7, first 2 shown]
	s_branch .LBB566_8
.LBB566_7:                              ;   in Loop: Header=BB566_8 Depth=1
	s_or_b64 exec, exec, s[16:17]
	ds_write_b128 v31, v[0:3]
	s_waitcnt lgkmcnt(0)
	s_barrier
	ds_read_b128 v[0:3], v32
	ds_read_b128 v[34:37], v33
	ds_read_b128 v[38:41], v33 offset:16
	ds_read_b128 v[42:45], v33 offset:32
	;; [unrolled: 1-line block ×4, first 2 shown]
	s_waitcnt lgkmcnt(4)
	v_mul_f64 v[54:55], v[36:37], v[2:3]
	v_fma_f64 v[54:55], v[34:35], v[0:1], -v[54:55]
	v_mul_f64 v[56:57], v[34:35], v[2:3]
	v_fmac_f64_e32 v[56:57], v[36:37], v[0:1]
	v_add_f64 v[54:55], v[26:27], v[54:55]
	s_waitcnt lgkmcnt(0)
	v_mul_f64 v[26:27], v[36:37], v[52:53]
	v_add_f64 v[56:57], v[56:57], v[28:29]
	v_fma_f64 v[58:59], v[34:35], v[50:51], -v[26:27]
	ds_read_b128 v[26:29], v33 offset:2048
	v_mul_f64 v[34:35], v[34:35], v[52:53]
	v_fmac_f64_e32 v[34:35], v[36:37], v[50:51]
	v_add_f64 v[36:37], v[22:23], v[58:59]
	v_add_f64 v[34:35], v[34:35], v[24:25]
	ds_read_b128 v[22:25], v33 offset:2064
	s_waitcnt lgkmcnt(1)
	v_mul_f64 v[58:59], v[28:29], v[2:3]
	v_mul_f64 v[2:3], v[26:27], v[2:3]
	v_fma_f64 v[58:59], v[26:27], v[0:1], -v[58:59]
	v_fmac_f64_e32 v[2:3], v[28:29], v[0:1]
	v_mul_f64 v[0:1], v[28:29], v[52:53]
	v_add_f64 v[18:19], v[18:19], v[58:59]
	v_add_f64 v[20:21], v[2:3], v[20:21]
	v_fma_f64 v[58:59], v[26:27], v[50:51], -v[0:1]
	v_mul_f64 v[26:27], v[26:27], v[52:53]
	ds_read_b128 v[0:3], v32 offset:512
	v_fmac_f64_e32 v[26:27], v[28:29], v[50:51]
	v_add_f64 v[28:29], v[16:17], v[58:59]
	v_add_f64 v[26:27], v[26:27], v[14:15]
	ds_read_b128 v[14:17], v32 offset:768
	s_waitcnt lgkmcnt(1)
	v_mul_f64 v[50:51], v[40:41], v[2:3]
	v_fma_f64 v[50:51], v[38:39], v[0:1], -v[50:51]
	v_add_f64 v[50:51], v[54:55], v[50:51]
	v_mul_f64 v[52:53], v[38:39], v[2:3]
	s_waitcnt lgkmcnt(0)
	v_mul_f64 v[54:55], v[40:41], v[16:17]
	v_fma_f64 v[54:55], v[38:39], v[14:15], -v[54:55]
	v_mul_f64 v[38:39], v[38:39], v[16:17]
	v_fmac_f64_e32 v[38:39], v[40:41], v[14:15]
	v_add_f64 v[34:35], v[38:39], v[34:35]
	v_mul_f64 v[38:39], v[24:25], v[2:3]
	v_mul_f64 v[2:3], v[22:23], v[2:3]
	v_fmac_f64_e32 v[52:53], v[40:41], v[0:1]
	v_fma_f64 v[38:39], v[22:23], v[0:1], -v[38:39]
	v_fmac_f64_e32 v[2:3], v[24:25], v[0:1]
	v_mul_f64 v[0:1], v[24:25], v[16:17]
	v_add_f64 v[38:39], v[18:19], v[38:39]
	v_add_f64 v[40:41], v[2:3], v[20:21]
	v_fma_f64 v[18:19], v[22:23], v[14:15], -v[0:1]
	v_mul_f64 v[16:17], v[22:23], v[16:17]
	ds_read_b128 v[0:3], v32 offset:1024
	v_fmac_f64_e32 v[16:17], v[24:25], v[14:15]
	v_add_f64 v[26:27], v[16:17], v[26:27]
	ds_read_b128 v[14:17], v32 offset:1280
	v_add_f64 v[28:29], v[28:29], v[18:19]
	s_waitcnt lgkmcnt(1)
	v_mul_f64 v[18:19], v[44:45], v[2:3]
	v_fma_f64 v[18:19], v[42:43], v[0:1], -v[18:19]
	v_mul_f64 v[20:21], v[42:43], v[2:3]
	v_add_f64 v[52:53], v[52:53], v[56:57]
	v_fmac_f64_e32 v[20:21], v[44:45], v[0:1]
	v_add_f64 v[50:51], v[50:51], v[18:19]
	s_waitcnt lgkmcnt(0)
	v_mul_f64 v[18:19], v[44:45], v[16:17]
	v_add_f64 v[52:53], v[20:21], v[52:53]
	v_fma_f64 v[22:23], v[42:43], v[14:15], -v[18:19]
	ds_read_b128 v[18:21], v33 offset:2080
	v_mul_f64 v[24:25], v[42:43], v[16:17]
	v_add_f64 v[36:37], v[36:37], v[54:55]
	v_fmac_f64_e32 v[24:25], v[44:45], v[14:15]
	v_add_f64 v[36:37], v[36:37], v[22:23]
	v_add_f64 v[34:35], v[24:25], v[34:35]
	ds_read_b128 v[22:25], v33 offset:2096
	s_waitcnt lgkmcnt(1)
	v_mul_f64 v[42:43], v[20:21], v[2:3]
	v_mul_f64 v[2:3], v[18:19], v[2:3]
	v_fma_f64 v[42:43], v[18:19], v[0:1], -v[42:43]
	v_fmac_f64_e32 v[2:3], v[20:21], v[0:1]
	v_mul_f64 v[0:1], v[20:21], v[16:17]
	v_mul_f64 v[16:17], v[18:19], v[16:17]
	v_fmac_f64_e32 v[16:17], v[20:21], v[14:15]
	v_add_f64 v[38:39], v[38:39], v[42:43]
	v_add_f64 v[40:41], v[2:3], v[40:41]
	v_fma_f64 v[42:43], v[18:19], v[14:15], -v[0:1]
	ds_read_b128 v[0:3], v32 offset:1536
	v_add_f64 v[20:21], v[16:17], v[26:27]
	ds_read_b128 v[14:17], v32 offset:1792
	v_add_f64 v[18:19], v[28:29], v[42:43]
	s_add_u32 s14, s14, 8
	s_waitcnt lgkmcnt(1)
	v_mul_f64 v[26:27], v[48:49], v[2:3]
	v_mul_f64 v[28:29], v[46:47], v[2:3]
	s_waitcnt lgkmcnt(0)
	v_mul_f64 v[42:43], v[48:49], v[16:17]
	v_fma_f64 v[42:43], v[46:47], v[14:15], -v[42:43]
	v_add_f64 v[36:37], v[36:37], v[42:43]
	v_mul_f64 v[42:43], v[24:25], v[2:3]
	v_mul_f64 v[2:3], v[22:23], v[2:3]
	v_fma_f64 v[26:27], v[46:47], v[0:1], -v[26:27]
	v_fmac_f64_e32 v[28:29], v[48:49], v[0:1]
	v_fma_f64 v[42:43], v[22:23], v[0:1], -v[42:43]
	v_fmac_f64_e32 v[2:3], v[24:25], v[0:1]
	v_mul_f64 v[0:1], v[24:25], v[16:17]
	v_mul_f64 v[44:45], v[46:47], v[16:17]
	v_add_f64 v[38:39], v[38:39], v[42:43]
	v_fma_f64 v[42:43], v[22:23], v[14:15], -v[0:1]
	v_mul_f64 v[22:23], v[22:23], v[16:17]
	v_fmac_f64_e32 v[44:45], v[48:49], v[14:15]
	v_add_f64 v[40:41], v[2:3], v[40:41]
	v_fmac_f64_e32 v[22:23], v[24:25], v[14:15]
	ds_read_b128 v[0:3], v33 offset:64
	ds_read_b128 v[14:17], v32 offset:2048
	v_add_f64 v[34:35], v[44:45], v[34:35]
	v_add_f64 v[42:43], v[18:19], v[42:43]
	;; [unrolled: 1-line block ×3, first 2 shown]
	ds_read_b128 v[18:21], v32 offset:2304
	ds_read_b128 v[22:25], v33 offset:80
	s_waitcnt lgkmcnt(2)
	v_mul_f64 v[46:47], v[2:3], v[16:17]
	v_add_f64 v[26:27], v[50:51], v[26:27]
	v_fma_f64 v[46:47], v[0:1], v[14:15], -v[46:47]
	v_mul_f64 v[48:49], v[0:1], v[16:17]
	v_add_f64 v[28:29], v[28:29], v[52:53]
	v_fmac_f64_e32 v[48:49], v[2:3], v[14:15]
	v_add_f64 v[46:47], v[26:27], v[46:47]
	s_waitcnt lgkmcnt(1)
	v_mul_f64 v[26:27], v[2:3], v[20:21]
	v_add_f64 v[48:49], v[48:49], v[28:29]
	v_fma_f64 v[50:51], v[0:1], v[18:19], -v[26:27]
	ds_read_b128 v[26:29], v33 offset:2112
	v_mul_f64 v[0:1], v[0:1], v[20:21]
	v_fmac_f64_e32 v[0:1], v[2:3], v[18:19]
	v_add_f64 v[36:37], v[36:37], v[50:51]
	v_add_f64 v[34:35], v[0:1], v[34:35]
	ds_read_b128 v[0:3], v33 offset:2128
	s_waitcnt lgkmcnt(1)
	v_mul_f64 v[50:51], v[28:29], v[16:17]
	v_mul_f64 v[16:17], v[26:27], v[16:17]
	v_fma_f64 v[50:51], v[26:27], v[14:15], -v[50:51]
	v_fmac_f64_e32 v[16:17], v[28:29], v[14:15]
	v_mul_f64 v[14:15], v[28:29], v[20:21]
	v_add_f64 v[38:39], v[38:39], v[50:51]
	v_add_f64 v[40:41], v[16:17], v[40:41]
	v_fma_f64 v[50:51], v[26:27], v[18:19], -v[14:15]
	v_mul_f64 v[20:21], v[26:27], v[20:21]
	ds_read_b128 v[14:17], v32 offset:2560
	v_fmac_f64_e32 v[20:21], v[28:29], v[18:19]
	v_add_f64 v[28:29], v[20:21], v[44:45]
	ds_read_b128 v[18:21], v32 offset:2816
	v_add_f64 v[26:27], v[42:43], v[50:51]
	s_waitcnt lgkmcnt(1)
	v_mul_f64 v[42:43], v[24:25], v[16:17]
	v_fma_f64 v[42:43], v[22:23], v[14:15], -v[42:43]
	v_add_f64 v[42:43], v[46:47], v[42:43]
	s_waitcnt lgkmcnt(0)
	v_mul_f64 v[46:47], v[24:25], v[20:21]
	v_mul_f64 v[44:45], v[22:23], v[16:17]
	v_fma_f64 v[46:47], v[22:23], v[18:19], -v[46:47]
	v_mul_f64 v[22:23], v[22:23], v[20:21]
	v_fmac_f64_e32 v[22:23], v[24:25], v[18:19]
	v_add_f64 v[34:35], v[22:23], v[34:35]
	v_mul_f64 v[22:23], v[2:3], v[16:17]
	v_mul_f64 v[16:17], v[0:1], v[16:17]
	v_fmac_f64_e32 v[44:45], v[24:25], v[14:15]
	v_fma_f64 v[22:23], v[0:1], v[14:15], -v[22:23]
	v_fmac_f64_e32 v[16:17], v[2:3], v[14:15]
	v_mul_f64 v[14:15], v[2:3], v[20:21]
	v_mul_f64 v[20:21], v[0:1], v[20:21]
	v_add_f64 v[38:39], v[38:39], v[22:23]
	v_add_f64 v[40:41], v[16:17], v[40:41]
	v_fma_f64 v[22:23], v[0:1], v[18:19], -v[14:15]
	v_fmac_f64_e32 v[20:21], v[2:3], v[18:19]
	ds_read_b128 v[0:3], v33 offset:96
	ds_read_b128 v[14:17], v32 offset:3072
	v_add_f64 v[44:45], v[44:45], v[48:49]
	v_add_f64 v[36:37], v[36:37], v[46:47]
	v_add_f64 v[46:47], v[26:27], v[22:23]
	v_add_f64 v[48:49], v[20:21], v[28:29]
	ds_read_b128 v[18:21], v32 offset:3328
	ds_read_b128 v[22:25], v33 offset:112
	s_waitcnt lgkmcnt(2)
	v_mul_f64 v[26:27], v[2:3], v[16:17]
	v_fma_f64 v[26:27], v[0:1], v[14:15], -v[26:27]
	v_mul_f64 v[28:29], v[0:1], v[16:17]
	v_fmac_f64_e32 v[28:29], v[2:3], v[14:15]
	v_add_f64 v[42:43], v[42:43], v[26:27]
	s_waitcnt lgkmcnt(1)
	v_mul_f64 v[26:27], v[2:3], v[20:21]
	v_add_f64 v[44:45], v[28:29], v[44:45]
	v_fma_f64 v[50:51], v[0:1], v[18:19], -v[26:27]
	ds_read_b128 v[26:29], v33 offset:2144
	v_mul_f64 v[0:1], v[0:1], v[20:21]
	v_fmac_f64_e32 v[0:1], v[2:3], v[18:19]
	v_add_f64 v[52:53], v[0:1], v[34:35]
	ds_read_b128 v[0:3], v33 offset:2160
	s_waitcnt lgkmcnt(1)
	v_mul_f64 v[34:35], v[28:29], v[16:17]
	v_mul_f64 v[16:17], v[26:27], v[16:17]
	v_fma_f64 v[34:35], v[26:27], v[14:15], -v[34:35]
	v_fmac_f64_e32 v[16:17], v[28:29], v[14:15]
	v_mul_f64 v[14:15], v[28:29], v[20:21]
	v_add_f64 v[38:39], v[38:39], v[34:35]
	v_add_f64 v[40:41], v[16:17], v[40:41]
	v_fma_f64 v[34:35], v[26:27], v[18:19], -v[14:15]
	ds_read_b128 v[14:17], v32 offset:3584
	v_add_f64 v[50:51], v[36:37], v[50:51]
	v_add_f64 v[46:47], v[46:47], v[34:35]
	ds_read_b128 v[34:37], v32 offset:3840
	v_mul_f64 v[20:21], v[26:27], v[20:21]
	v_fmac_f64_e32 v[20:21], v[28:29], v[18:19]
	s_waitcnt lgkmcnt(1)
	v_mul_f64 v[18:19], v[24:25], v[16:17]
	v_fma_f64 v[18:19], v[22:23], v[14:15], -v[18:19]
	v_add_f64 v[48:49], v[20:21], v[48:49]
	v_mul_f64 v[20:21], v[22:23], v[16:17]
	v_add_f64 v[26:27], v[42:43], v[18:19]
	s_waitcnt lgkmcnt(0)
	v_mul_f64 v[18:19], v[24:25], v[36:37]
	v_fmac_f64_e32 v[20:21], v[24:25], v[14:15]
	v_fma_f64 v[18:19], v[22:23], v[34:35], -v[18:19]
	v_add_f64 v[28:29], v[20:21], v[44:45]
	v_mul_f64 v[20:21], v[22:23], v[36:37]
	v_add_f64 v[22:23], v[50:51], v[18:19]
	v_mul_f64 v[18:19], v[2:3], v[16:17]
	v_mul_f64 v[16:17], v[0:1], v[16:17]
	v_fma_f64 v[18:19], v[0:1], v[14:15], -v[18:19]
	v_fmac_f64_e32 v[16:17], v[2:3], v[14:15]
	v_mul_f64 v[14:15], v[2:3], v[36:37]
	v_fma_f64 v[14:15], v[0:1], v[34:35], -v[14:15]
	v_mul_f64 v[0:1], v[0:1], v[36:37]
	v_fmac_f64_e32 v[20:21], v[24:25], v[34:35]
	v_fmac_f64_e32 v[0:1], v[2:3], v[34:35]
	s_addc_u32 s15, s15, 0
	v_add_f64 v[24:25], v[20:21], v[52:53]
	v_add_f64 v[20:21], v[16:17], v[40:41]
	;; [unrolled: 1-line block ×4, first 2 shown]
	v_mov_b64_e32 v[0:1], s[14:15]
	v_cmp_gt_i64_e32 vcc, s[8:9], v[0:1]
	v_add_f64 v[18:19], v[38:39], v[18:19]
	s_barrier
	s_cbranch_vccz .LBB566_14
.LBB566_8:                              ; =>This Inner Loop Header: Depth=1
	v_mov_b64_e32 v[0:1], 0
	v_mov_b64_e32 v[2:3], 0
	s_and_saveexec_b64 s[16:17], s[0:1]
	s_cbranch_execz .LBB566_12
; %bb.9:                                ;   in Loop: Header=BB566_8 Depth=1
	v_add_u32_e32 v12, s14, v6
	v_cmp_gt_u64_e32 vcc, s[8:9], v[12:13]
	v_mov_b64_e32 v[2:3], 0
	v_mov_b64_e32 v[0:1], 0
	s_and_saveexec_b64 s[18:19], vcc
	s_cbranch_execz .LBB566_11
; %bb.10:                               ;   in Loop: Header=BB566_8 Depth=1
	v_lshl_add_u64 v[0:1], v[12:13], 4, v[8:9]
	flat_load_dwordx4 v[0:3], v[0:1]
	s_waitcnt vmcnt(0) lgkmcnt(0)
	v_xor_b32_e32 v3, 0x80000000, v3
.LBB566_11:                             ;   in Loop: Header=BB566_8 Depth=1
	s_or_b64 exec, exec, s[18:19]
.LBB566_12:                             ;   in Loop: Header=BB566_8 Depth=1
	s_or_b64 exec, exec, s[16:17]
	v_add_u32_e32 v12, s14, v4
	v_cmp_gt_u64_e32 vcc, s[8:9], v[12:13]
	ds_write_b128 v30, v[0:3]
	s_and_b64 s[18:19], vcc, s[2:3]
	v_mov_b64_e32 v[0:1], 0
	v_mov_b64_e32 v[2:3], 0
	s_and_saveexec_b64 s[16:17], s[18:19]
	s_cbranch_execz .LBB566_7
; %bb.13:                               ;   in Loop: Header=BB566_8 Depth=1
	v_mad_u64_u32 v[0:1], s[18:19], s22, v12, 0
	v_mov_b32_e32 v2, v1
	v_mad_u64_u32 v[2:3], s[18:19], s23, v12, v[2:3]
	v_mov_b32_e32 v1, v2
	v_lshl_add_u64 v[0:1], v[0:1], 4, v[10:11]
	flat_load_dwordx4 v[0:3], v[0:1]
	s_waitcnt vmcnt(0) lgkmcnt(0)
	v_xor_b32_e32 v3, 0x80000000, v3
	s_branch .LBB566_7
.LBB566_14:
	s_waitcnt lgkmcnt(0)
	s_lshl_b64 s[0:1], s[38:39], 4
	v_add_u32_e32 v10, s31, v7
	s_add_u32 s4, s4, s0
	v_ashrrev_i32_e32 v0, 31, v10
	s_addc_u32 s5, s5, s1
	v_cmp_neq_f64_e64 s[0:1], s[26:27], 0
	s_xor_b64 s[6:7], s[6:7], -1
	v_mul_lo_u32 v2, s36, v0
	v_mul_lo_u32 v3, s37, v10
	v_mad_u64_u32 v[0:1], s[8:9], s36, v10, 0
	v_add_u32_e32 v4, s30, v5
	v_add3_u32 v1, v1, v2, v3
	s_or_b64 s[0:1], s[0:1], s[6:7]
	v_cmp_gt_i32_e64 s[2:3], s33, v10
	v_lshl_add_u64 v[8:9], v[0:1], 4, s[4:5]
	v_cmp_le_i32_e32 vcc, v4, v10
	v_cndmask_b32_e64 v0, 0, 1, s[0:1]
	s_and_b64 s[8:9], s[2:3], vcc
	v_ashrrev_i32_e32 v5, 31, v4
	v_cmp_ne_u32_e64 s[0:1], 1, v0
	s_and_saveexec_b64 s[6:7], s[8:9]
	s_cbranch_execz .LBB566_18
; %bb.15:
	v_mul_f64 v[0:1], s[12:13], v[28:29]
	v_mul_f64 v[2:3], s[10:11], v[28:29]
	v_fma_f64 v[0:1], s[10:11], v[26:27], -v[0:1]
	v_fmac_f64_e32 v[2:3], s[12:13], v[26:27]
	s_and_b64 vcc, exec, s[0:1]
	v_lshl_add_u64 v[6:7], v[4:5], 4, v[8:9]
	s_cbranch_vccnz .LBB566_17
; %bb.16:
	flat_load_dwordx4 v[26:29], v[6:7]
	s_waitcnt vmcnt(0) lgkmcnt(0)
	v_mul_f64 v[12:13], s[28:29], v[28:29]
	v_mul_f64 v[28:29], s[26:27], v[28:29]
	v_fma_f64 v[12:13], s[26:27], v[26:27], -v[12:13]
	v_fmac_f64_e32 v[28:29], s[28:29], v[26:27]
	v_add_f64 v[0:1], v[0:1], v[12:13]
	v_add_f64 v[2:3], v[2:3], v[28:29]
.LBB566_17:
	flat_store_dwordx4 v[6:7], v[0:3]
.LBB566_18:
	s_or_b64 exec, exec, s[6:7]
	v_add_u32_e32 v6, 16, v4
	v_cmp_le_i32_e32 vcc, v6, v10
	s_and_b64 s[6:7], s[2:3], vcc
	v_ashrrev_i32_e32 v7, 31, v6
	s_and_saveexec_b64 s[2:3], s[6:7]
	s_cbranch_execz .LBB566_22
; %bb.19:
	v_mul_f64 v[0:1], s[12:13], v[24:25]
	v_mul_f64 v[2:3], s[10:11], v[24:25]
	v_fma_f64 v[0:1], s[10:11], v[22:23], -v[0:1]
	v_fmac_f64_e32 v[2:3], s[12:13], v[22:23]
	s_and_b64 vcc, exec, s[0:1]
	v_lshl_add_u64 v[8:9], v[6:7], 4, v[8:9]
	s_cbranch_vccnz .LBB566_21
; %bb.20:
	flat_load_dwordx4 v[22:25], v[8:9]
	s_waitcnt vmcnt(0) lgkmcnt(0)
	v_mul_f64 v[12:13], s[28:29], v[24:25]
	v_mul_f64 v[24:25], s[26:27], v[24:25]
	v_fma_f64 v[12:13], s[26:27], v[22:23], -v[12:13]
	v_fmac_f64_e32 v[24:25], s[28:29], v[22:23]
	v_add_f64 v[0:1], v[0:1], v[12:13]
	v_add_f64 v[2:3], v[2:3], v[24:25]
.LBB566_21:
	flat_store_dwordx4 v[8:9], v[0:3]
.LBB566_22:
	s_or_b64 exec, exec, s[2:3]
	v_add_u32_e32 v10, 16, v10
	v_ashrrev_i32_e32 v0, 31, v10
	v_mul_lo_u32 v2, s36, v0
	v_mul_lo_u32 v3, s37, v10
	v_mad_u64_u32 v[0:1], s[6:7], s36, v10, 0
	v_cmp_gt_i32_e64 s[2:3], s33, v10
	v_add3_u32 v1, v1, v2, v3
	v_cmp_le_i32_e32 vcc, v4, v10
	v_lshl_add_u64 v[8:9], v[0:1], 4, s[4:5]
	s_and_b64 s[6:7], s[2:3], vcc
	s_and_saveexec_b64 s[4:5], s[6:7]
	s_cbranch_execz .LBB566_26
; %bb.23:
	v_mul_f64 v[0:1], s[12:13], v[20:21]
	v_mul_f64 v[2:3], s[10:11], v[20:21]
	v_fma_f64 v[0:1], s[10:11], v[18:19], -v[0:1]
	v_fmac_f64_e32 v[2:3], s[12:13], v[18:19]
	s_and_b64 vcc, exec, s[0:1]
	v_lshl_add_u64 v[4:5], v[4:5], 4, v[8:9]
	s_cbranch_vccnz .LBB566_25
; %bb.24:
	flat_load_dwordx4 v[18:21], v[4:5]
	s_waitcnt vmcnt(0) lgkmcnt(0)
	v_mul_f64 v[12:13], s[28:29], v[20:21]
	v_mul_f64 v[20:21], s[26:27], v[20:21]
	v_fma_f64 v[12:13], s[26:27], v[18:19], -v[12:13]
	v_fmac_f64_e32 v[20:21], s[28:29], v[18:19]
	v_add_f64 v[0:1], v[0:1], v[12:13]
	v_add_f64 v[2:3], v[2:3], v[20:21]
.LBB566_25:
	flat_store_dwordx4 v[4:5], v[0:3]
.LBB566_26:
	s_or_b64 exec, exec, s[4:5]
	v_cmp_le_i32_e32 vcc, v6, v10
	s_and_b64 s[2:3], s[2:3], vcc
	s_and_saveexec_b64 s[4:5], s[2:3]
	s_cbranch_execz .LBB566_30
; %bb.27:
	v_mul_f64 v[0:1], s[12:13], v[14:15]
	v_mul_f64 v[2:3], s[10:11], v[14:15]
	v_fma_f64 v[0:1], s[10:11], v[16:17], -v[0:1]
	v_fmac_f64_e32 v[2:3], s[12:13], v[16:17]
	s_and_b64 vcc, exec, s[0:1]
	v_lshl_add_u64 v[4:5], v[6:7], 4, v[8:9]
	s_cbranch_vccnz .LBB566_29
; %bb.28:
	flat_load_dwordx4 v[6:9], v[4:5]
	s_waitcnt vmcnt(0) lgkmcnt(0)
	v_mul_f64 v[10:11], s[28:29], v[8:9]
	v_mul_f64 v[8:9], s[26:27], v[8:9]
	v_fma_f64 v[10:11], s[26:27], v[6:7], -v[10:11]
	v_fmac_f64_e32 v[8:9], s[28:29], v[6:7]
	v_add_f64 v[0:1], v[0:1], v[10:11]
	v_add_f64 v[2:3], v[2:3], v[8:9]
.LBB566_29:
	flat_store_dwordx4 v[4:5], v[0:3]
.LBB566_30:
	s_endpgm
	.section	.rodata,"a",@progbits
	.p2align	6, 0x0
	.amdhsa_kernel _ZL29rocblas_internal_gemmt_kernelIlLi16ELi32ELi8ELc67ELc67ELc85ELb1ELb1E19rocblas_complex_numIdES1_PKPKS1_PKPS1_EviT_T9_T10_S9_lSB_S9_lSA_T11_S9_li
		.amdhsa_group_segment_fixed_size 8192
		.amdhsa_private_segment_fixed_size 0
		.amdhsa_kernarg_size 124
		.amdhsa_user_sgpr_count 2
		.amdhsa_user_sgpr_dispatch_ptr 0
		.amdhsa_user_sgpr_queue_ptr 0
		.amdhsa_user_sgpr_kernarg_segment_ptr 1
		.amdhsa_user_sgpr_dispatch_id 0
		.amdhsa_user_sgpr_kernarg_preload_length 0
		.amdhsa_user_sgpr_kernarg_preload_offset 0
		.amdhsa_user_sgpr_private_segment_size 0
		.amdhsa_uses_dynamic_stack 0
		.amdhsa_enable_private_segment 0
		.amdhsa_system_sgpr_workgroup_id_x 1
		.amdhsa_system_sgpr_workgroup_id_y 1
		.amdhsa_system_sgpr_workgroup_id_z 1
		.amdhsa_system_sgpr_workgroup_info 0
		.amdhsa_system_vgpr_workitem_id 1
		.amdhsa_next_free_vgpr 60
		.amdhsa_next_free_sgpr 40
		.amdhsa_accum_offset 60
		.amdhsa_reserve_vcc 1
		.amdhsa_float_round_mode_32 0
		.amdhsa_float_round_mode_16_64 0
		.amdhsa_float_denorm_mode_32 3
		.amdhsa_float_denorm_mode_16_64 3
		.amdhsa_dx10_clamp 1
		.amdhsa_ieee_mode 1
		.amdhsa_fp16_overflow 0
		.amdhsa_tg_split 0
		.amdhsa_exception_fp_ieee_invalid_op 0
		.amdhsa_exception_fp_denorm_src 0
		.amdhsa_exception_fp_ieee_div_zero 0
		.amdhsa_exception_fp_ieee_overflow 0
		.amdhsa_exception_fp_ieee_underflow 0
		.amdhsa_exception_fp_ieee_inexact 0
		.amdhsa_exception_int_div_zero 0
	.end_amdhsa_kernel
	.section	.text._ZL29rocblas_internal_gemmt_kernelIlLi16ELi32ELi8ELc67ELc67ELc85ELb1ELb1E19rocblas_complex_numIdES1_PKPKS1_PKPS1_EviT_T9_T10_S9_lSB_S9_lSA_T11_S9_li,"axG",@progbits,_ZL29rocblas_internal_gemmt_kernelIlLi16ELi32ELi8ELc67ELc67ELc85ELb1ELb1E19rocblas_complex_numIdES1_PKPKS1_PKPS1_EviT_T9_T10_S9_lSB_S9_lSA_T11_S9_li,comdat
.Lfunc_end566:
	.size	_ZL29rocblas_internal_gemmt_kernelIlLi16ELi32ELi8ELc67ELc67ELc85ELb1ELb1E19rocblas_complex_numIdES1_PKPKS1_PKPS1_EviT_T9_T10_S9_lSB_S9_lSA_T11_S9_li, .Lfunc_end566-_ZL29rocblas_internal_gemmt_kernelIlLi16ELi32ELi8ELc67ELc67ELc85ELb1ELb1E19rocblas_complex_numIdES1_PKPKS1_PKPS1_EviT_T9_T10_S9_lSB_S9_lSA_T11_S9_li
                                        ; -- End function
	.set _ZL29rocblas_internal_gemmt_kernelIlLi16ELi32ELi8ELc67ELc67ELc85ELb1ELb1E19rocblas_complex_numIdES1_PKPKS1_PKPS1_EviT_T9_T10_S9_lSB_S9_lSA_T11_S9_li.num_vgpr, 60
	.set _ZL29rocblas_internal_gemmt_kernelIlLi16ELi32ELi8ELc67ELc67ELc85ELb1ELb1E19rocblas_complex_numIdES1_PKPKS1_PKPS1_EviT_T9_T10_S9_lSB_S9_lSA_T11_S9_li.num_agpr, 0
	.set _ZL29rocblas_internal_gemmt_kernelIlLi16ELi32ELi8ELc67ELc67ELc85ELb1ELb1E19rocblas_complex_numIdES1_PKPKS1_PKPS1_EviT_T9_T10_S9_lSB_S9_lSA_T11_S9_li.numbered_sgpr, 40
	.set _ZL29rocblas_internal_gemmt_kernelIlLi16ELi32ELi8ELc67ELc67ELc85ELb1ELb1E19rocblas_complex_numIdES1_PKPKS1_PKPS1_EviT_T9_T10_S9_lSB_S9_lSA_T11_S9_li.num_named_barrier, 0
	.set _ZL29rocblas_internal_gemmt_kernelIlLi16ELi32ELi8ELc67ELc67ELc85ELb1ELb1E19rocblas_complex_numIdES1_PKPKS1_PKPS1_EviT_T9_T10_S9_lSB_S9_lSA_T11_S9_li.private_seg_size, 0
	.set _ZL29rocblas_internal_gemmt_kernelIlLi16ELi32ELi8ELc67ELc67ELc85ELb1ELb1E19rocblas_complex_numIdES1_PKPKS1_PKPS1_EviT_T9_T10_S9_lSB_S9_lSA_T11_S9_li.uses_vcc, 1
	.set _ZL29rocblas_internal_gemmt_kernelIlLi16ELi32ELi8ELc67ELc67ELc85ELb1ELb1E19rocblas_complex_numIdES1_PKPKS1_PKPS1_EviT_T9_T10_S9_lSB_S9_lSA_T11_S9_li.uses_flat_scratch, 0
	.set _ZL29rocblas_internal_gemmt_kernelIlLi16ELi32ELi8ELc67ELc67ELc85ELb1ELb1E19rocblas_complex_numIdES1_PKPKS1_PKPS1_EviT_T9_T10_S9_lSB_S9_lSA_T11_S9_li.has_dyn_sized_stack, 0
	.set _ZL29rocblas_internal_gemmt_kernelIlLi16ELi32ELi8ELc67ELc67ELc85ELb1ELb1E19rocblas_complex_numIdES1_PKPKS1_PKPS1_EviT_T9_T10_S9_lSB_S9_lSA_T11_S9_li.has_recursion, 0
	.set _ZL29rocblas_internal_gemmt_kernelIlLi16ELi32ELi8ELc67ELc67ELc85ELb1ELb1E19rocblas_complex_numIdES1_PKPKS1_PKPS1_EviT_T9_T10_S9_lSB_S9_lSA_T11_S9_li.has_indirect_call, 0
	.section	.AMDGPU.csdata,"",@progbits
; Kernel info:
; codeLenInByte = 3136
; TotalNumSgprs: 46
; NumVgprs: 60
; NumAgprs: 0
; TotalNumVgprs: 60
; ScratchSize: 0
; MemoryBound: 1
; FloatMode: 240
; IeeeMode: 1
; LDSByteSize: 8192 bytes/workgroup (compile time only)
; SGPRBlocks: 5
; VGPRBlocks: 7
; NumSGPRsForWavesPerEU: 46
; NumVGPRsForWavesPerEU: 60
; AccumOffset: 60
; Occupancy: 8
; WaveLimiterHint : 1
; COMPUTE_PGM_RSRC2:SCRATCH_EN: 0
; COMPUTE_PGM_RSRC2:USER_SGPR: 2
; COMPUTE_PGM_RSRC2:TRAP_HANDLER: 0
; COMPUTE_PGM_RSRC2:TGID_X_EN: 1
; COMPUTE_PGM_RSRC2:TGID_Y_EN: 1
; COMPUTE_PGM_RSRC2:TGID_Z_EN: 1
; COMPUTE_PGM_RSRC2:TIDIG_COMP_CNT: 1
; COMPUTE_PGM_RSRC3_GFX90A:ACCUM_OFFSET: 14
; COMPUTE_PGM_RSRC3_GFX90A:TG_SPLIT: 0
	.section	.text._ZL29rocblas_internal_gemmt_kernelIlLi16ELi32ELi8ELc78ELc78ELc76ELb0ELb0E19rocblas_complex_numIdES1_PKPKS1_PKPS1_EviT_T9_T10_S9_lSB_S9_lSA_T11_S9_li,"axG",@progbits,_ZL29rocblas_internal_gemmt_kernelIlLi16ELi32ELi8ELc78ELc78ELc76ELb0ELb0E19rocblas_complex_numIdES1_PKPKS1_PKPS1_EviT_T9_T10_S9_lSB_S9_lSA_T11_S9_li,comdat
	.globl	_ZL29rocblas_internal_gemmt_kernelIlLi16ELi32ELi8ELc78ELc78ELc76ELb0ELb0E19rocblas_complex_numIdES1_PKPKS1_PKPS1_EviT_T9_T10_S9_lSB_S9_lSA_T11_S9_li ; -- Begin function _ZL29rocblas_internal_gemmt_kernelIlLi16ELi32ELi8ELc78ELc78ELc76ELb0ELb0E19rocblas_complex_numIdES1_PKPKS1_PKPS1_EviT_T9_T10_S9_lSB_S9_lSA_T11_S9_li
	.p2align	8
	.type	_ZL29rocblas_internal_gemmt_kernelIlLi16ELi32ELi8ELc78ELc78ELc76ELb0ELb0E19rocblas_complex_numIdES1_PKPKS1_PKPS1_EviT_T9_T10_S9_lSB_S9_lSA_T11_S9_li,@function
_ZL29rocblas_internal_gemmt_kernelIlLi16ELi32ELi8ELc78ELc78ELc76ELb0ELb0E19rocblas_complex_numIdES1_PKPKS1_PKPS1_EviT_T9_T10_S9_lSB_S9_lSA_T11_S9_li: ; @_ZL29rocblas_internal_gemmt_kernelIlLi16ELi32ELi8ELc78ELc78ELc76ELb0ELb0E19rocblas_complex_numIdES1_PKPKS1_PKPS1_EviT_T9_T10_S9_lSB_S9_lSA_T11_S9_li
; %bb.0:
	s_load_dwordx8 s[24:31], s[0:1], 0x48
	s_load_dwordx16 s[8:23], s[0:1], 0x8
	s_mov_b64 s[34:35], 0
	s_waitcnt lgkmcnt(0)
	v_cmp_eq_f64_e64 s[36:37], s[26:27], 1.0
	v_cmp_eq_f64_e64 s[6:7], s[28:29], 0
	s_and_b64 s[36:37], s[36:37], s[6:7]
	s_andn2_b64 vcc, exec, s[36:37]
	s_mov_b64 s[36:37], -1
	s_cbranch_vccnz .LBB567_4
; %bb.1:
	s_cmp_lg_u64 s[8:9], 0
	s_cbranch_scc0 .LBB567_3
; %bb.2:
	v_cmp_neq_f64_e64 s[34:35], s[10:11], 0
	v_cmp_neq_f64_e64 s[36:37], s[12:13], 0
	s_or_b64 s[34:35], s[34:35], s[36:37]
.LBB567_3:
	s_mov_b64 s[36:37], s[34:35]
.LBB567_4:
	s_and_b64 vcc, exec, s[36:37]
	s_cbranch_vccz .LBB567_34
; %bb.5:
	s_mov_b32 s5, 0
	s_load_dwordx4 s[36:39], s[0:1], 0x68
	s_load_dword s33, s[0:1], 0x0
	s_lshl_b64 s[0:1], s[4:5], 3
	s_add_u32 s4, s30, s0
	s_addc_u32 s5, s31, s1
	s_load_dwordx2 s[4:5], s[4:5], 0x0
	s_lshl_b32 s30, s2, 5
	s_lshl_b32 s31, s3, 5
	v_cmp_eq_f64_e64 s[2:3], s[10:11], 0
	v_cmp_eq_f64_e64 s[34:35], s[12:13], 0
	s_and_b64 s[2:3], s[2:3], s[34:35]
	v_cmp_lt_i64_e64 s[34:35], s[8:9], 1
	s_or_b64 s[2:3], s[2:3], s[34:35]
	v_and_b32_e32 v1, 0x3ff, v0
	v_bfe_u32 v3, v0, 10, 10
	v_mov_b64_e32 v[24:25], 0
	s_and_b64 vcc, exec, s[2:3]
	v_mov_b64_e32 v[26:27], 0
	v_mov_b64_e32 v[20:21], 0
	;; [unrolled: 1-line block ×7, first 2 shown]
	s_cbranch_vccnz .LBB567_18
; %bb.6:
	s_add_u32 s2, s20, s0
	s_addc_u32 s3, s21, s1
	s_load_dwordx2 s[2:3], s[2:3], 0x0
	s_lshl_b64 s[20:21], s[24:25], 4
	v_lshl_add_u32 v4, v3, 4, v1
	v_and_b32_e32 v0, 7, v1
	v_lshrrev_b32_e32 v6, 3, v4
	s_waitcnt lgkmcnt(0)
	s_add_u32 s20, s2, s20
	s_addc_u32 s21, s3, s21
	s_add_u32 s0, s14, s0
	s_addc_u32 s1, s15, s1
	s_load_dwordx2 s[0:1], s[0:1], 0x0
	v_and_b32_e32 v5, 31, v4
	s_lshl_b64 s[2:3], s[18:19], 4
	v_lshlrev_b32_e32 v8, 4, v0
	v_lshrrev_b32_e32 v2, 5, v4
	v_add_u32_e32 v7, s31, v6
	v_or_b32_e32 v4, s30, v5
	s_waitcnt lgkmcnt(0)
	s_add_u32 s14, s0, s2
	v_lshlrev_b32_e32 v5, 4, v5
	v_lshl_or_b32 v6, v6, 7, v8
	s_addc_u32 s15, s1, s3
	v_lshl_or_b32 v28, v2, 9, v5
	v_ashrrev_i32_e32 v5, 31, v4
	v_add_u32_e32 v29, 0x1000, v6
	v_ashrrev_i32_e32 v6, 31, v7
	v_cmp_gt_i32_e64 s[0:1], s33, v4
	v_cmp_le_i32_e64 s[2:3], s33, v4
	v_lshl_add_u64 v[4:5], v[4:5], 4, s[14:15]
	v_cmp_gt_i32_e32 vcc, s33, v7
	v_mul_lo_u32 v8, s22, v6
	v_mul_lo_u32 v9, s23, v7
	v_mad_u64_u32 v[6:7], s[14:15], s22, v7, 0
	v_add3_u32 v7, v7, v8, v9
	v_mov_b32_e32 v8, 0x1000
	v_mov_b32_e32 v9, 0
	v_lshl_add_u64 v[6:7], v[6:7], 4, s[20:21]
	v_lshlrev_b32_e32 v30, 4, v1
	v_lshl_add_u32 v31, v3, 7, v8
	v_mov_b64_e32 v[12:13], 0
	s_mov_b64 s[14:15], 0
	s_xor_b64 s[18:19], vcc, -1
	v_mov_b32_e32 v32, v9
	v_mov_b32_e32 v33, v9
	;; [unrolled: 1-line block ×4, first 2 shown]
	v_mov_b64_e32 v[14:15], 0
	v_mov_b64_e32 v[18:19], 0
	;; [unrolled: 1-line block ×7, first 2 shown]
                                        ; implicit-def: $vgpr10_vgpr11
	s_branch .LBB567_8
.LBB567_7:                              ;   in Loop: Header=BB567_8 Depth=1
	s_or_b64 exec, exec, s[20:21]
	s_waitcnt lgkmcnt(0)
	s_barrier
	ds_read_b128 v[36:39], v30
	ds_read_b128 v[40:43], v31
	ds_read_b128 v[44:47], v31 offset:16
	ds_read_b128 v[48:51], v31 offset:32
	;; [unrolled: 1-line block ×4, first 2 shown]
	s_waitcnt lgkmcnt(4)
	v_mul_f64 v[60:61], v[42:43], v[38:39]
	v_fma_f64 v[60:61], v[40:41], v[36:37], -v[60:61]
	v_mul_f64 v[62:63], v[40:41], v[38:39]
	v_fmac_f64_e32 v[62:63], v[42:43], v[36:37]
	v_add_f64 v[60:61], v[24:25], v[60:61]
	s_waitcnt lgkmcnt(0)
	v_mul_f64 v[24:25], v[42:43], v[58:59]
	v_add_f64 v[62:63], v[62:63], v[26:27]
	v_fma_f64 v[64:65], v[40:41], v[56:57], -v[24:25]
	ds_read_b128 v[24:27], v31 offset:2048
	v_mul_f64 v[40:41], v[40:41], v[58:59]
	v_fmac_f64_e32 v[40:41], v[42:43], v[56:57]
	v_add_f64 v[42:43], v[20:21], v[64:65]
	v_add_f64 v[40:41], v[40:41], v[22:23]
	ds_read_b128 v[20:23], v31 offset:2064
	s_waitcnt lgkmcnt(1)
	v_mul_f64 v[64:65], v[26:27], v[38:39]
	v_fma_f64 v[64:65], v[24:25], v[36:37], -v[64:65]
	v_mul_f64 v[38:39], v[24:25], v[38:39]
	v_fmac_f64_e32 v[38:39], v[26:27], v[36:37]
	v_add_f64 v[36:37], v[16:17], v[64:65]
	v_mul_f64 v[16:17], v[26:27], v[58:59]
	v_add_f64 v[38:39], v[38:39], v[18:19]
	v_fma_f64 v[64:65], v[24:25], v[56:57], -v[16:17]
	v_mul_f64 v[24:25], v[24:25], v[58:59]
	ds_read_b128 v[16:19], v30 offset:512
	v_fmac_f64_e32 v[24:25], v[26:27], v[56:57]
	v_add_f64 v[26:27], v[14:15], v[64:65]
	v_add_f64 v[24:25], v[24:25], v[12:13]
	ds_read_b128 v[12:15], v30 offset:768
	s_waitcnt lgkmcnt(1)
	v_mul_f64 v[56:57], v[46:47], v[18:19]
	v_fma_f64 v[56:57], v[44:45], v[16:17], -v[56:57]
	v_add_f64 v[56:57], v[60:61], v[56:57]
	v_mul_f64 v[58:59], v[44:45], v[18:19]
	s_waitcnt lgkmcnt(0)
	v_mul_f64 v[60:61], v[46:47], v[14:15]
	v_fma_f64 v[60:61], v[44:45], v[12:13], -v[60:61]
	v_mul_f64 v[44:45], v[44:45], v[14:15]
	v_fmac_f64_e32 v[44:45], v[46:47], v[12:13]
	v_add_f64 v[40:41], v[44:45], v[40:41]
	v_mul_f64 v[44:45], v[22:23], v[18:19]
	v_mul_f64 v[18:19], v[20:21], v[18:19]
	v_fmac_f64_e32 v[58:59], v[46:47], v[16:17]
	v_fma_f64 v[44:45], v[20:21], v[16:17], -v[44:45]
	v_fmac_f64_e32 v[18:19], v[22:23], v[16:17]
	v_mul_f64 v[16:17], v[22:23], v[14:15]
	v_add_f64 v[46:47], v[18:19], v[38:39]
	v_fma_f64 v[18:19], v[20:21], v[12:13], -v[16:17]
	v_mul_f64 v[20:21], v[20:21], v[14:15]
	ds_read_b128 v[14:17], v30 offset:1024
	v_fmac_f64_e32 v[20:21], v[22:23], v[12:13]
	v_add_f64 v[42:43], v[42:43], v[60:61]
	v_add_f64 v[26:27], v[26:27], v[18:19]
	;; [unrolled: 1-line block ×3, first 2 shown]
	ds_read_b128 v[18:21], v30 offset:1280
	s_waitcnt lgkmcnt(1)
	v_mul_f64 v[22:23], v[48:49], v[16:17]
	v_add_f64 v[58:59], v[58:59], v[62:63]
	v_fmac_f64_e32 v[22:23], v[50:51], v[14:15]
	v_add_f64 v[58:59], v[22:23], v[58:59]
	ds_read_b128 v[22:25], v31 offset:2080
	v_mul_f64 v[12:13], v[50:51], v[16:17]
	v_fma_f64 v[12:13], v[48:49], v[14:15], -v[12:13]
	v_add_f64 v[44:45], v[36:37], v[44:45]
	v_add_f64 v[56:57], v[56:57], v[12:13]
	s_waitcnt lgkmcnt(1)
	v_mul_f64 v[12:13], v[50:51], v[20:21]
	v_mul_f64 v[36:37], v[48:49], v[20:21]
	v_fma_f64 v[12:13], v[48:49], v[18:19], -v[12:13]
	v_fmac_f64_e32 v[36:37], v[50:51], v[18:19]
	v_add_f64 v[42:43], v[42:43], v[12:13]
	v_add_f64 v[40:41], v[36:37], v[40:41]
	ds_read_b128 v[36:39], v31 offset:2096
	s_waitcnt lgkmcnt(1)
	v_mul_f64 v[12:13], v[24:25], v[16:17]
	v_fma_f64 v[12:13], v[22:23], v[14:15], -v[12:13]
	v_mul_f64 v[16:17], v[22:23], v[16:17]
	v_fmac_f64_e32 v[16:17], v[24:25], v[14:15]
	v_add_f64 v[44:45], v[44:45], v[12:13]
	v_mul_f64 v[12:13], v[24:25], v[20:21]
	v_add_f64 v[46:47], v[16:17], v[46:47]
	v_fma_f64 v[16:17], v[22:23], v[18:19], -v[12:13]
	ds_read_b128 v[12:15], v30 offset:1536
	v_mul_f64 v[20:21], v[22:23], v[20:21]
	v_fmac_f64_e32 v[20:21], v[24:25], v[18:19]
	v_add_f64 v[22:23], v[26:27], v[16:17]
	ds_read_b128 v[16:19], v30 offset:1792
	s_waitcnt lgkmcnt(1)
	v_mul_f64 v[24:25], v[54:55], v[14:15]
	v_fma_f64 v[24:25], v[52:53], v[12:13], -v[24:25]
	v_mul_f64 v[26:27], v[52:53], v[14:15]
	v_fmac_f64_e32 v[26:27], v[54:55], v[12:13]
	v_add_f64 v[48:49], v[56:57], v[24:25]
	s_waitcnt lgkmcnt(0)
	v_mul_f64 v[24:25], v[54:55], v[18:19]
	v_add_f64 v[50:51], v[26:27], v[58:59]
	v_fma_f64 v[24:25], v[52:53], v[16:17], -v[24:25]
	v_mul_f64 v[26:27], v[52:53], v[18:19]
	v_fmac_f64_e32 v[26:27], v[54:55], v[16:17]
	v_add_f64 v[42:43], v[42:43], v[24:25]
	v_mul_f64 v[24:25], v[38:39], v[14:15]
	v_mul_f64 v[14:15], v[36:37], v[14:15]
	v_add_f64 v[40:41], v[26:27], v[40:41]
	v_fma_f64 v[24:25], v[36:37], v[12:13], -v[24:25]
	v_fmac_f64_e32 v[14:15], v[38:39], v[12:13]
	v_mul_f64 v[12:13], v[38:39], v[18:19]
	v_mul_f64 v[26:27], v[36:37], v[18:19]
	v_add_f64 v[44:45], v[44:45], v[24:25]
	v_add_f64 v[46:47], v[14:15], v[46:47]
	v_fma_f64 v[24:25], v[36:37], v[16:17], -v[12:13]
	v_fmac_f64_e32 v[26:27], v[38:39], v[16:17]
	ds_read_b128 v[12:15], v31 offset:64
	ds_read_b128 v[16:19], v30 offset:2048
	v_add_f64 v[20:21], v[20:21], v[60:61]
	v_add_f64 v[52:53], v[22:23], v[24:25]
	;; [unrolled: 1-line block ×3, first 2 shown]
	ds_read_b128 v[20:23], v30 offset:2304
	ds_read_b128 v[24:27], v31 offset:80
	s_waitcnt lgkmcnt(2)
	v_mul_f64 v[36:37], v[14:15], v[18:19]
	v_fma_f64 v[36:37], v[12:13], v[16:17], -v[36:37]
	v_mul_f64 v[38:39], v[12:13], v[18:19]
	v_fmac_f64_e32 v[38:39], v[14:15], v[16:17]
	v_add_f64 v[48:49], v[48:49], v[36:37]
	s_waitcnt lgkmcnt(1)
	v_mul_f64 v[36:37], v[14:15], v[22:23]
	v_add_f64 v[50:51], v[38:39], v[50:51]
	v_fma_f64 v[56:57], v[12:13], v[20:21], -v[36:37]
	ds_read_b128 v[36:39], v31 offset:2112
	v_mul_f64 v[12:13], v[12:13], v[22:23]
	v_fmac_f64_e32 v[12:13], v[14:15], v[20:21]
	v_add_f64 v[42:43], v[42:43], v[56:57]
	v_add_f64 v[40:41], v[12:13], v[40:41]
	ds_read_b128 v[12:15], v31 offset:2128
	s_waitcnt lgkmcnt(1)
	v_mul_f64 v[56:57], v[38:39], v[18:19]
	v_mul_f64 v[18:19], v[36:37], v[18:19]
	v_fma_f64 v[56:57], v[36:37], v[16:17], -v[56:57]
	v_fmac_f64_e32 v[18:19], v[38:39], v[16:17]
	v_mul_f64 v[16:17], v[38:39], v[22:23]
	v_add_f64 v[44:45], v[44:45], v[56:57]
	v_add_f64 v[46:47], v[18:19], v[46:47]
	v_fma_f64 v[56:57], v[36:37], v[20:21], -v[16:17]
	v_mul_f64 v[22:23], v[36:37], v[22:23]
	ds_read_b128 v[16:19], v30 offset:2560
	v_fmac_f64_e32 v[22:23], v[38:39], v[20:21]
	v_add_f64 v[38:39], v[22:23], v[54:55]
	ds_read_b128 v[20:23], v30 offset:2816
	v_add_f64 v[36:37], v[52:53], v[56:57]
	s_waitcnt lgkmcnt(1)
	v_mul_f64 v[52:53], v[26:27], v[18:19]
	v_fma_f64 v[52:53], v[24:25], v[16:17], -v[52:53]
	v_add_f64 v[48:49], v[48:49], v[52:53]
	s_waitcnt lgkmcnt(0)
	v_mul_f64 v[52:53], v[26:27], v[22:23]
	v_mul_f64 v[54:55], v[24:25], v[18:19]
	v_fma_f64 v[52:53], v[24:25], v[20:21], -v[52:53]
	v_mul_f64 v[24:25], v[24:25], v[22:23]
	v_fmac_f64_e32 v[24:25], v[26:27], v[20:21]
	v_add_f64 v[40:41], v[24:25], v[40:41]
	v_mul_f64 v[24:25], v[14:15], v[18:19]
	v_mul_f64 v[18:19], v[12:13], v[18:19]
	v_fmac_f64_e32 v[54:55], v[26:27], v[16:17]
	v_fma_f64 v[24:25], v[12:13], v[16:17], -v[24:25]
	v_fmac_f64_e32 v[18:19], v[14:15], v[16:17]
	v_mul_f64 v[16:17], v[14:15], v[22:23]
	v_mul_f64 v[22:23], v[12:13], v[22:23]
	v_add_f64 v[44:45], v[44:45], v[24:25]
	v_add_f64 v[46:47], v[18:19], v[46:47]
	v_fma_f64 v[24:25], v[12:13], v[20:21], -v[16:17]
	v_fmac_f64_e32 v[22:23], v[14:15], v[20:21]
	ds_read_b128 v[12:15], v31 offset:96
	ds_read_b128 v[16:19], v30 offset:3072
	v_add_f64 v[50:51], v[54:55], v[50:51]
	v_add_f64 v[42:43], v[42:43], v[52:53]
	;; [unrolled: 1-line block ×4, first 2 shown]
	ds_read_b128 v[20:23], v30 offset:3328
	ds_read_b128 v[36:39], v31 offset:112
	s_waitcnt lgkmcnt(2)
	v_mul_f64 v[24:25], v[14:15], v[18:19]
	v_fma_f64 v[24:25], v[12:13], v[16:17], -v[24:25]
	v_mul_f64 v[26:27], v[12:13], v[18:19]
	v_fmac_f64_e32 v[26:27], v[14:15], v[16:17]
	v_add_f64 v[48:49], v[48:49], v[24:25]
	s_waitcnt lgkmcnt(1)
	v_mul_f64 v[24:25], v[14:15], v[22:23]
	v_add_f64 v[50:51], v[26:27], v[50:51]
	v_fma_f64 v[56:57], v[12:13], v[20:21], -v[24:25]
	ds_read_b128 v[24:27], v31 offset:2144
	v_mul_f64 v[12:13], v[12:13], v[22:23]
	v_fmac_f64_e32 v[12:13], v[14:15], v[20:21]
	v_add_f64 v[58:59], v[12:13], v[40:41]
	ds_read_b128 v[12:15], v31 offset:2160
	s_waitcnt lgkmcnt(1)
	v_mul_f64 v[40:41], v[26:27], v[18:19]
	v_mul_f64 v[18:19], v[24:25], v[18:19]
	v_fma_f64 v[40:41], v[24:25], v[16:17], -v[40:41]
	v_fmac_f64_e32 v[18:19], v[26:27], v[16:17]
	v_mul_f64 v[16:17], v[26:27], v[22:23]
	v_add_f64 v[44:45], v[44:45], v[40:41]
	v_add_f64 v[46:47], v[18:19], v[46:47]
	v_fma_f64 v[40:41], v[24:25], v[20:21], -v[16:17]
	ds_read_b128 v[16:19], v30 offset:3584
	v_add_f64 v[56:57], v[42:43], v[56:57]
	v_add_f64 v[52:53], v[52:53], v[40:41]
	ds_read_b128 v[40:43], v30 offset:3840
	v_mul_f64 v[22:23], v[24:25], v[22:23]
	v_fmac_f64_e32 v[22:23], v[26:27], v[20:21]
	s_waitcnt lgkmcnt(1)
	v_mul_f64 v[20:21], v[38:39], v[18:19]
	v_add_f64 v[54:55], v[22:23], v[54:55]
	v_fma_f64 v[20:21], v[36:37], v[16:17], -v[20:21]
	v_mul_f64 v[22:23], v[36:37], v[18:19]
	v_fmac_f64_e32 v[22:23], v[38:39], v[16:17]
	v_add_f64 v[24:25], v[48:49], v[20:21]
	s_waitcnt lgkmcnt(0)
	v_mul_f64 v[20:21], v[38:39], v[42:43]
	v_add_f64 v[26:27], v[22:23], v[50:51]
	v_fma_f64 v[20:21], v[36:37], v[40:41], -v[20:21]
	v_mul_f64 v[22:23], v[36:37], v[42:43]
	v_mul_f64 v[36:37], v[14:15], v[18:19]
	v_fma_f64 v[36:37], v[12:13], v[16:17], -v[36:37]
	v_mul_f64 v[18:19], v[12:13], v[18:19]
	v_fmac_f64_e32 v[18:19], v[14:15], v[16:17]
	v_add_f64 v[16:17], v[44:45], v[36:37]
	v_mul_f64 v[36:37], v[14:15], v[42:43]
	s_add_u32 s14, s14, 8
	v_fma_f64 v[36:37], v[12:13], v[40:41], -v[36:37]
	v_mul_f64 v[12:13], v[12:13], v[42:43]
	s_addc_u32 s15, s15, 0
	v_fmac_f64_e32 v[12:13], v[14:15], v[40:41]
	v_add_f64 v[14:15], v[52:53], v[36:37]
	v_mov_b64_e32 v[36:37], s[14:15]
	v_fmac_f64_e32 v[22:23], v[38:39], v[40:41]
	v_cmp_gt_i64_e32 vcc, s[8:9], v[36:37]
	v_add_f64 v[20:21], v[56:57], v[20:21]
	v_add_f64 v[22:23], v[22:23], v[58:59]
	;; [unrolled: 1-line block ×4, first 2 shown]
	s_barrier
	s_cbranch_vccz .LBB567_18
.LBB567_8:                              ; =>This Inner Loop Header: Depth=1
	s_mov_b64 s[24:25], s[2:3]
	s_mov_b64 s[20:21], 0
	s_and_saveexec_b64 s[22:23], s[0:1]
	s_cbranch_execnz .LBB567_16
; %bb.9:                                ;   in Loop: Header=BB567_8 Depth=1
	s_or_b64 exec, exec, s[22:23]
	s_and_saveexec_b64 s[22:23], s[24:25]
	s_xor_b64 s[22:23], exec, s[22:23]
	s_cbranch_execnz .LBB567_17
.LBB567_10:                             ;   in Loop: Header=BB567_8 Depth=1
	s_or_b64 exec, exec, s[22:23]
	s_and_saveexec_b64 s[22:23], s[20:21]
	s_cbranch_execz .LBB567_12
.LBB567_11:                             ;   in Loop: Header=BB567_8 Depth=1
	v_mul_lo_u32 v8, s17, v10
	v_mul_lo_u32 v38, s16, v11
	v_mad_u64_u32 v[36:37], s[20:21], s16, v10, 0
	v_add3_u32 v37, v37, v38, v8
	v_lshl_add_u64 v[36:37], v[36:37], 4, v[4:5]
	flat_load_dwordx4 v[36:39], v[36:37]
	s_waitcnt vmcnt(0) lgkmcnt(0)
	ds_write2_b64 v28, v[36:37], v[38:39] offset1:1
.LBB567_12:                             ;   in Loop: Header=BB567_8 Depth=1
	s_or_b64 exec, exec, s[22:23]
	v_add_u32_e32 v8, s14, v0
	v_cmp_le_u64_e32 vcc, s[8:9], v[8:9]
	s_or_b64 s[20:21], vcc, s[18:19]
	s_and_saveexec_b64 s[22:23], s[20:21]
	s_xor_b64 s[20:21], exec, s[22:23]
; %bb.13:                               ;   in Loop: Header=BB567_8 Depth=1
	ds_write_b128 v29, v[32:35]
; %bb.14:                               ;   in Loop: Header=BB567_8 Depth=1
	s_andn2_saveexec_b64 s[20:21], s[20:21]
	s_cbranch_execz .LBB567_7
; %bb.15:                               ;   in Loop: Header=BB567_8 Depth=1
	v_lshl_add_u64 v[36:37], v[8:9], 4, v[6:7]
	flat_load_dwordx4 v[36:39], v[36:37]
	s_waitcnt vmcnt(0) lgkmcnt(0)
	ds_write2_b64 v29, v[36:37], v[38:39] offset1:1
	s_branch .LBB567_7
.LBB567_16:                             ;   in Loop: Header=BB567_8 Depth=1
	v_add_u32_e32 v8, s14, v2
	v_cmp_le_u64_e32 vcc, s[8:9], v[8:9]
	s_andn2_b64 s[24:25], s[2:3], exec
	s_and_b64 s[34:35], vcc, exec
	s_mov_b64 s[20:21], exec
	s_or_b64 s[24:25], s[24:25], s[34:35]
	v_mov_b64_e32 v[10:11], v[8:9]
	s_or_b64 exec, exec, s[22:23]
	s_and_saveexec_b64 s[22:23], s[24:25]
	s_xor_b64 s[22:23], exec, s[22:23]
	s_cbranch_execz .LBB567_10
.LBB567_17:                             ;   in Loop: Header=BB567_8 Depth=1
	ds_write_b128 v28, v[32:35]
	s_andn2_b64 s[20:21], s[20:21], exec
	s_or_b64 exec, exec, s[22:23]
	s_and_saveexec_b64 s[22:23], s[20:21]
	s_cbranch_execnz .LBB567_11
	s_branch .LBB567_12
.LBB567_18:
	s_waitcnt lgkmcnt(0)
	s_lshl_b64 s[0:1], s[38:39], 4
	v_add_u32_e32 v10, s31, v3
	s_add_u32 s8, s4, s0
	v_ashrrev_i32_e32 v0, 31, v10
	s_addc_u32 s9, s5, s1
	v_add_u32_e32 v4, s30, v1
	v_cmp_neq_f64_e64 s[0:1], s[26:27], 0
	s_xor_b64 s[4:5], s[6:7], -1
	v_mul_lo_u32 v2, s36, v0
	v_mul_lo_u32 v3, s37, v10
	v_mad_u64_u32 v[0:1], s[2:3], s36, v10, 0
	v_add3_u32 v1, v1, v2, v3
	s_or_b64 s[0:1], s[0:1], s[4:5]
	v_lshl_add_u64 v[8:9], v[0:1], 4, s[8:9]
	v_cmp_le_i32_e32 vcc, v10, v4
	v_cmp_gt_i32_e64 s[2:3], s33, v4
	v_cndmask_b32_e64 v0, 0, 1, s[0:1]
	s_and_b64 s[6:7], vcc, s[2:3]
	v_ashrrev_i32_e32 v5, 31, v4
	v_cmp_ne_u32_e64 s[0:1], 1, v0
	s_and_saveexec_b64 s[4:5], s[6:7]
	s_cbranch_execz .LBB567_22
; %bb.19:
	v_mul_f64 v[0:1], s[12:13], v[26:27]
	v_mul_f64 v[2:3], s[10:11], v[26:27]
	v_fma_f64 v[0:1], s[10:11], v[24:25], -v[0:1]
	v_fmac_f64_e32 v[2:3], s[12:13], v[24:25]
	s_and_b64 vcc, exec, s[0:1]
	v_lshl_add_u64 v[6:7], v[4:5], 4, v[8:9]
	s_cbranch_vccnz .LBB567_21
; %bb.20:
	flat_load_dwordx4 v[24:27], v[6:7]
	s_waitcnt vmcnt(0) lgkmcnt(0)
	v_mul_f64 v[28:29], s[28:29], v[26:27]
	v_mul_f64 v[26:27], s[26:27], v[26:27]
	v_fma_f64 v[28:29], s[26:27], v[24:25], -v[28:29]
	v_fmac_f64_e32 v[26:27], s[28:29], v[24:25]
	v_add_f64 v[0:1], v[0:1], v[28:29]
	v_add_f64 v[2:3], v[2:3], v[26:27]
.LBB567_21:
	flat_store_dwordx4 v[6:7], v[0:3]
.LBB567_22:
	s_or_b64 exec, exec, s[4:5]
	v_add_u32_e32 v6, 16, v4
	v_cmp_le_i32_e32 vcc, v10, v6
	v_cmp_gt_i32_e64 s[4:5], s33, v6
	s_and_b64 s[14:15], vcc, s[4:5]
	v_ashrrev_i32_e32 v7, 31, v6
	s_and_saveexec_b64 s[6:7], s[14:15]
	s_cbranch_execz .LBB567_26
; %bb.23:
	v_mul_f64 v[0:1], s[12:13], v[22:23]
	v_mul_f64 v[2:3], s[10:11], v[22:23]
	v_fma_f64 v[0:1], s[10:11], v[20:21], -v[0:1]
	v_fmac_f64_e32 v[2:3], s[12:13], v[20:21]
	s_and_b64 vcc, exec, s[0:1]
	v_lshl_add_u64 v[8:9], v[6:7], 4, v[8:9]
	s_cbranch_vccnz .LBB567_25
; %bb.24:
	flat_load_dwordx4 v[20:23], v[8:9]
	s_waitcnt vmcnt(0) lgkmcnt(0)
	v_mul_f64 v[24:25], s[28:29], v[22:23]
	v_mul_f64 v[22:23], s[26:27], v[22:23]
	v_fma_f64 v[24:25], s[26:27], v[20:21], -v[24:25]
	v_fmac_f64_e32 v[22:23], s[28:29], v[20:21]
	v_add_f64 v[0:1], v[0:1], v[24:25]
	v_add_f64 v[2:3], v[2:3], v[22:23]
.LBB567_25:
	flat_store_dwordx4 v[8:9], v[0:3]
.LBB567_26:
	s_or_b64 exec, exec, s[6:7]
	v_add_u32_e32 v10, 16, v10
	v_ashrrev_i32_e32 v0, 31, v10
	v_mul_lo_u32 v2, s36, v0
	v_mul_lo_u32 v3, s37, v10
	v_mad_u64_u32 v[0:1], s[6:7], s36, v10, 0
	v_add3_u32 v1, v1, v2, v3
	v_cmp_le_i32_e32 vcc, v10, v4
	v_lshl_add_u64 v[8:9], v[0:1], 4, s[8:9]
	s_and_b64 s[6:7], vcc, s[2:3]
	s_and_saveexec_b64 s[2:3], s[6:7]
	s_cbranch_execz .LBB567_30
; %bb.27:
	v_mul_f64 v[0:1], s[12:13], v[18:19]
	v_mul_f64 v[2:3], s[10:11], v[18:19]
	v_fma_f64 v[0:1], s[10:11], v[16:17], -v[0:1]
	v_fmac_f64_e32 v[2:3], s[12:13], v[16:17]
	s_and_b64 vcc, exec, s[0:1]
	v_lshl_add_u64 v[4:5], v[4:5], 4, v[8:9]
	s_cbranch_vccnz .LBB567_29
; %bb.28:
	flat_load_dwordx4 v[16:19], v[4:5]
	s_waitcnt vmcnt(0) lgkmcnt(0)
	v_mul_f64 v[20:21], s[28:29], v[18:19]
	v_mul_f64 v[18:19], s[26:27], v[18:19]
	v_fma_f64 v[20:21], s[26:27], v[16:17], -v[20:21]
	v_fmac_f64_e32 v[18:19], s[28:29], v[16:17]
	v_add_f64 v[0:1], v[0:1], v[20:21]
	v_add_f64 v[2:3], v[2:3], v[18:19]
.LBB567_29:
	flat_store_dwordx4 v[4:5], v[0:3]
.LBB567_30:
	s_or_b64 exec, exec, s[2:3]
	v_cmp_le_i32_e32 vcc, v10, v6
	s_and_b64 s[2:3], vcc, s[4:5]
	s_and_saveexec_b64 s[4:5], s[2:3]
	s_cbranch_execz .LBB567_34
; %bb.31:
	v_mul_f64 v[0:1], s[12:13], v[12:13]
	v_mul_f64 v[2:3], s[10:11], v[12:13]
	v_fma_f64 v[0:1], s[10:11], v[14:15], -v[0:1]
	v_fmac_f64_e32 v[2:3], s[12:13], v[14:15]
	s_and_b64 vcc, exec, s[0:1]
	v_lshl_add_u64 v[4:5], v[6:7], 4, v[8:9]
	s_cbranch_vccnz .LBB567_33
; %bb.32:
	flat_load_dwordx4 v[6:9], v[4:5]
	s_waitcnt vmcnt(0) lgkmcnt(0)
	v_mul_f64 v[10:11], s[28:29], v[8:9]
	v_mul_f64 v[8:9], s[26:27], v[8:9]
	v_fma_f64 v[10:11], s[26:27], v[6:7], -v[10:11]
	v_fmac_f64_e32 v[8:9], s[28:29], v[6:7]
	v_add_f64 v[0:1], v[0:1], v[10:11]
	v_add_f64 v[2:3], v[2:3], v[8:9]
.LBB567_33:
	flat_store_dwordx4 v[4:5], v[0:3]
.LBB567_34:
	s_endpgm
	.section	.rodata,"a",@progbits
	.p2align	6, 0x0
	.amdhsa_kernel _ZL29rocblas_internal_gemmt_kernelIlLi16ELi32ELi8ELc78ELc78ELc76ELb0ELb0E19rocblas_complex_numIdES1_PKPKS1_PKPS1_EviT_T9_T10_S9_lSB_S9_lSA_T11_S9_li
		.amdhsa_group_segment_fixed_size 8192
		.amdhsa_private_segment_fixed_size 0
		.amdhsa_kernarg_size 124
		.amdhsa_user_sgpr_count 2
		.amdhsa_user_sgpr_dispatch_ptr 0
		.amdhsa_user_sgpr_queue_ptr 0
		.amdhsa_user_sgpr_kernarg_segment_ptr 1
		.amdhsa_user_sgpr_dispatch_id 0
		.amdhsa_user_sgpr_kernarg_preload_length 0
		.amdhsa_user_sgpr_kernarg_preload_offset 0
		.amdhsa_user_sgpr_private_segment_size 0
		.amdhsa_uses_dynamic_stack 0
		.amdhsa_enable_private_segment 0
		.amdhsa_system_sgpr_workgroup_id_x 1
		.amdhsa_system_sgpr_workgroup_id_y 1
		.amdhsa_system_sgpr_workgroup_id_z 1
		.amdhsa_system_sgpr_workgroup_info 0
		.amdhsa_system_vgpr_workitem_id 1
		.amdhsa_next_free_vgpr 66
		.amdhsa_next_free_sgpr 40
		.amdhsa_accum_offset 68
		.amdhsa_reserve_vcc 1
		.amdhsa_float_round_mode_32 0
		.amdhsa_float_round_mode_16_64 0
		.amdhsa_float_denorm_mode_32 3
		.amdhsa_float_denorm_mode_16_64 3
		.amdhsa_dx10_clamp 1
		.amdhsa_ieee_mode 1
		.amdhsa_fp16_overflow 0
		.amdhsa_tg_split 0
		.amdhsa_exception_fp_ieee_invalid_op 0
		.amdhsa_exception_fp_denorm_src 0
		.amdhsa_exception_fp_ieee_div_zero 0
		.amdhsa_exception_fp_ieee_overflow 0
		.amdhsa_exception_fp_ieee_underflow 0
		.amdhsa_exception_fp_ieee_inexact 0
		.amdhsa_exception_int_div_zero 0
	.end_amdhsa_kernel
	.section	.text._ZL29rocblas_internal_gemmt_kernelIlLi16ELi32ELi8ELc78ELc78ELc76ELb0ELb0E19rocblas_complex_numIdES1_PKPKS1_PKPS1_EviT_T9_T10_S9_lSB_S9_lSA_T11_S9_li,"axG",@progbits,_ZL29rocblas_internal_gemmt_kernelIlLi16ELi32ELi8ELc78ELc78ELc76ELb0ELb0E19rocblas_complex_numIdES1_PKPKS1_PKPS1_EviT_T9_T10_S9_lSB_S9_lSA_T11_S9_li,comdat
.Lfunc_end567:
	.size	_ZL29rocblas_internal_gemmt_kernelIlLi16ELi32ELi8ELc78ELc78ELc76ELb0ELb0E19rocblas_complex_numIdES1_PKPKS1_PKPS1_EviT_T9_T10_S9_lSB_S9_lSA_T11_S9_li, .Lfunc_end567-_ZL29rocblas_internal_gemmt_kernelIlLi16ELi32ELi8ELc78ELc78ELc76ELb0ELb0E19rocblas_complex_numIdES1_PKPKS1_PKPS1_EviT_T9_T10_S9_lSB_S9_lSA_T11_S9_li
                                        ; -- End function
	.set _ZL29rocblas_internal_gemmt_kernelIlLi16ELi32ELi8ELc78ELc78ELc76ELb0ELb0E19rocblas_complex_numIdES1_PKPKS1_PKPS1_EviT_T9_T10_S9_lSB_S9_lSA_T11_S9_li.num_vgpr, 66
	.set _ZL29rocblas_internal_gemmt_kernelIlLi16ELi32ELi8ELc78ELc78ELc76ELb0ELb0E19rocblas_complex_numIdES1_PKPKS1_PKPS1_EviT_T9_T10_S9_lSB_S9_lSA_T11_S9_li.num_agpr, 0
	.set _ZL29rocblas_internal_gemmt_kernelIlLi16ELi32ELi8ELc78ELc78ELc76ELb0ELb0E19rocblas_complex_numIdES1_PKPKS1_PKPS1_EviT_T9_T10_S9_lSB_S9_lSA_T11_S9_li.numbered_sgpr, 40
	.set _ZL29rocblas_internal_gemmt_kernelIlLi16ELi32ELi8ELc78ELc78ELc76ELb0ELb0E19rocblas_complex_numIdES1_PKPKS1_PKPS1_EviT_T9_T10_S9_lSB_S9_lSA_T11_S9_li.num_named_barrier, 0
	.set _ZL29rocblas_internal_gemmt_kernelIlLi16ELi32ELi8ELc78ELc78ELc76ELb0ELb0E19rocblas_complex_numIdES1_PKPKS1_PKPS1_EviT_T9_T10_S9_lSB_S9_lSA_T11_S9_li.private_seg_size, 0
	.set _ZL29rocblas_internal_gemmt_kernelIlLi16ELi32ELi8ELc78ELc78ELc76ELb0ELb0E19rocblas_complex_numIdES1_PKPKS1_PKPS1_EviT_T9_T10_S9_lSB_S9_lSA_T11_S9_li.uses_vcc, 1
	.set _ZL29rocblas_internal_gemmt_kernelIlLi16ELi32ELi8ELc78ELc78ELc76ELb0ELb0E19rocblas_complex_numIdES1_PKPKS1_PKPS1_EviT_T9_T10_S9_lSB_S9_lSA_T11_S9_li.uses_flat_scratch, 0
	.set _ZL29rocblas_internal_gemmt_kernelIlLi16ELi32ELi8ELc78ELc78ELc76ELb0ELb0E19rocblas_complex_numIdES1_PKPKS1_PKPS1_EviT_T9_T10_S9_lSB_S9_lSA_T11_S9_li.has_dyn_sized_stack, 0
	.set _ZL29rocblas_internal_gemmt_kernelIlLi16ELi32ELi8ELc78ELc78ELc76ELb0ELb0E19rocblas_complex_numIdES1_PKPKS1_PKPS1_EviT_T9_T10_S9_lSB_S9_lSA_T11_S9_li.has_recursion, 0
	.set _ZL29rocblas_internal_gemmt_kernelIlLi16ELi32ELi8ELc78ELc78ELc76ELb0ELb0E19rocblas_complex_numIdES1_PKPKS1_PKPS1_EviT_T9_T10_S9_lSB_S9_lSA_T11_S9_li.has_indirect_call, 0
	.section	.AMDGPU.csdata,"",@progbits
; Kernel info:
; codeLenInByte = 3236
; TotalNumSgprs: 46
; NumVgprs: 66
; NumAgprs: 0
; TotalNumVgprs: 66
; ScratchSize: 0
; MemoryBound: 0
; FloatMode: 240
; IeeeMode: 1
; LDSByteSize: 8192 bytes/workgroup (compile time only)
; SGPRBlocks: 5
; VGPRBlocks: 8
; NumSGPRsForWavesPerEU: 46
; NumVGPRsForWavesPerEU: 66
; AccumOffset: 68
; Occupancy: 7
; WaveLimiterHint : 1
; COMPUTE_PGM_RSRC2:SCRATCH_EN: 0
; COMPUTE_PGM_RSRC2:USER_SGPR: 2
; COMPUTE_PGM_RSRC2:TRAP_HANDLER: 0
; COMPUTE_PGM_RSRC2:TGID_X_EN: 1
; COMPUTE_PGM_RSRC2:TGID_Y_EN: 1
; COMPUTE_PGM_RSRC2:TGID_Z_EN: 1
; COMPUTE_PGM_RSRC2:TIDIG_COMP_CNT: 1
; COMPUTE_PGM_RSRC3_GFX90A:ACCUM_OFFSET: 16
; COMPUTE_PGM_RSRC3_GFX90A:TG_SPLIT: 0
	.section	.text._ZL29rocblas_internal_gemmt_kernelIlLi16ELi32ELi8ELc78ELc84ELc76ELb0ELb0E19rocblas_complex_numIdES1_PKPKS1_PKPS1_EviT_T9_T10_S9_lSB_S9_lSA_T11_S9_li,"axG",@progbits,_ZL29rocblas_internal_gemmt_kernelIlLi16ELi32ELi8ELc78ELc84ELc76ELb0ELb0E19rocblas_complex_numIdES1_PKPKS1_PKPS1_EviT_T9_T10_S9_lSB_S9_lSA_T11_S9_li,comdat
	.globl	_ZL29rocblas_internal_gemmt_kernelIlLi16ELi32ELi8ELc78ELc84ELc76ELb0ELb0E19rocblas_complex_numIdES1_PKPKS1_PKPS1_EviT_T9_T10_S9_lSB_S9_lSA_T11_S9_li ; -- Begin function _ZL29rocblas_internal_gemmt_kernelIlLi16ELi32ELi8ELc78ELc84ELc76ELb0ELb0E19rocblas_complex_numIdES1_PKPKS1_PKPS1_EviT_T9_T10_S9_lSB_S9_lSA_T11_S9_li
	.p2align	8
	.type	_ZL29rocblas_internal_gemmt_kernelIlLi16ELi32ELi8ELc78ELc84ELc76ELb0ELb0E19rocblas_complex_numIdES1_PKPKS1_PKPS1_EviT_T9_T10_S9_lSB_S9_lSA_T11_S9_li,@function
_ZL29rocblas_internal_gemmt_kernelIlLi16ELi32ELi8ELc78ELc84ELc76ELb0ELb0E19rocblas_complex_numIdES1_PKPKS1_PKPS1_EviT_T9_T10_S9_lSB_S9_lSA_T11_S9_li: ; @_ZL29rocblas_internal_gemmt_kernelIlLi16ELi32ELi8ELc78ELc84ELc76ELb0ELb0E19rocblas_complex_numIdES1_PKPKS1_PKPS1_EviT_T9_T10_S9_lSB_S9_lSA_T11_S9_li
; %bb.0:
	s_load_dwordx8 s[24:31], s[0:1], 0x48
	s_load_dwordx16 s[8:23], s[0:1], 0x8
	s_mov_b64 s[34:35], 0
	s_waitcnt lgkmcnt(0)
	v_cmp_eq_f64_e64 s[36:37], s[26:27], 1.0
	v_cmp_eq_f64_e64 s[6:7], s[28:29], 0
	s_and_b64 s[36:37], s[36:37], s[6:7]
	s_andn2_b64 vcc, exec, s[36:37]
	s_mov_b64 s[36:37], -1
	s_cbranch_vccnz .LBB568_4
; %bb.1:
	s_cmp_lg_u64 s[8:9], 0
	s_cbranch_scc0 .LBB568_3
; %bb.2:
	v_cmp_neq_f64_e64 s[34:35], s[10:11], 0
	v_cmp_neq_f64_e64 s[36:37], s[12:13], 0
	s_or_b64 s[34:35], s[34:35], s[36:37]
.LBB568_3:
	s_mov_b64 s[36:37], s[34:35]
.LBB568_4:
	s_and_b64 vcc, exec, s[36:37]
	s_cbranch_vccz .LBB568_34
; %bb.5:
	s_mov_b32 s5, 0
	s_load_dwordx4 s[36:39], s[0:1], 0x68
	s_load_dword s33, s[0:1], 0x0
	s_lshl_b64 s[0:1], s[4:5], 3
	s_add_u32 s4, s30, s0
	s_addc_u32 s5, s31, s1
	s_load_dwordx2 s[4:5], s[4:5], 0x0
	s_lshl_b32 s34, s2, 5
	s_lshl_b32 s35, s3, 5
	v_cmp_eq_f64_e64 s[2:3], s[10:11], 0
	v_cmp_eq_f64_e64 s[30:31], s[12:13], 0
	s_and_b64 s[2:3], s[2:3], s[30:31]
	v_cmp_lt_i64_e64 s[30:31], s[8:9], 1
	s_or_b64 s[2:3], s[2:3], s[30:31]
	v_and_b32_e32 v1, 0x3ff, v0
	v_bfe_u32 v3, v0, 10, 10
	v_mov_b64_e32 v[24:25], 0
	s_and_b64 vcc, exec, s[2:3]
	v_mov_b64_e32 v[26:27], 0
	v_mov_b64_e32 v[20:21], 0
	v_mov_b64_e32 v[22:23], 0
	v_mov_b64_e32 v[16:17], 0
	v_mov_b64_e32 v[18:19], 0
	v_mov_b64_e32 v[14:15], 0
	v_mov_b64_e32 v[12:13], 0
	s_cbranch_vccnz .LBB568_18
; %bb.6:
	s_add_u32 s2, s20, s0
	s_addc_u32 s3, s21, s1
	s_load_dwordx2 s[2:3], s[2:3], 0x0
	s_lshl_b64 s[20:21], s[24:25], 4
	v_lshl_add_u32 v4, v3, 4, v1
	v_and_b32_e32 v0, 7, v1
	v_lshrrev_b32_e32 v7, 3, v4
	s_waitcnt lgkmcnt(0)
	s_add_u32 s20, s2, s20
	s_addc_u32 s21, s3, s21
	s_add_u32 s0, s14, s0
	s_addc_u32 s1, s15, s1
	s_load_dwordx2 s[0:1], s[0:1], 0x0
	v_and_b32_e32 v5, 31, v4
	s_lshl_b64 s[2:3], s[18:19], 4
	v_lshlrev_b32_e32 v8, 4, v0
	v_lshrrev_b32_e32 v2, 5, v4
	v_add_u32_e32 v6, s35, v7
	v_or_b32_e32 v4, s34, v5
	s_waitcnt lgkmcnt(0)
	s_add_u32 s14, s0, s2
	v_lshlrev_b32_e32 v5, 4, v5
	v_lshl_or_b32 v7, v7, 7, v8
	s_addc_u32 s15, s1, s3
	v_lshl_or_b32 v28, v2, 9, v5
	v_ashrrev_i32_e32 v5, 31, v4
	v_cmp_gt_i32_e32 vcc, s33, v6
	v_add_u32_e32 v29, 0x1000, v7
	v_ashrrev_i32_e32 v7, 31, v6
	v_mov_b32_e32 v8, 0x1000
	v_mov_b32_e32 v9, 0
	v_cmp_gt_i32_e64 s[0:1], s33, v4
	v_cmp_le_i32_e64 s[2:3], s33, v4
	v_lshl_add_u64 v[4:5], v[4:5], 4, s[14:15]
	v_lshl_add_u64 v[6:7], v[6:7], 4, s[20:21]
	v_lshlrev_b32_e32 v30, 4, v1
	v_lshl_add_u32 v31, v3, 7, v8
	v_mov_b64_e32 v[12:13], 0
	s_mov_b64 s[14:15], 0
	s_xor_b64 s[18:19], vcc, -1
	v_mov_b32_e32 v32, v9
	v_mov_b32_e32 v33, v9
	;; [unrolled: 1-line block ×4, first 2 shown]
	v_mov_b64_e32 v[14:15], 0
	v_mov_b64_e32 v[18:19], 0
	;; [unrolled: 1-line block ×7, first 2 shown]
                                        ; implicit-def: $vgpr10_vgpr11
	s_branch .LBB568_8
.LBB568_7:                              ;   in Loop: Header=BB568_8 Depth=1
	s_or_b64 exec, exec, s[20:21]
	s_waitcnt lgkmcnt(0)
	s_barrier
	ds_read_b128 v[36:39], v30
	ds_read_b128 v[40:43], v31
	ds_read_b128 v[44:47], v31 offset:16
	ds_read_b128 v[48:51], v31 offset:32
	;; [unrolled: 1-line block ×4, first 2 shown]
	s_waitcnt lgkmcnt(4)
	v_mul_f64 v[60:61], v[42:43], v[38:39]
	v_fma_f64 v[60:61], v[40:41], v[36:37], -v[60:61]
	v_mul_f64 v[62:63], v[40:41], v[38:39]
	v_fmac_f64_e32 v[62:63], v[42:43], v[36:37]
	v_add_f64 v[60:61], v[24:25], v[60:61]
	s_waitcnt lgkmcnt(0)
	v_mul_f64 v[24:25], v[42:43], v[58:59]
	v_add_f64 v[62:63], v[62:63], v[26:27]
	v_fma_f64 v[64:65], v[40:41], v[56:57], -v[24:25]
	ds_read_b128 v[24:27], v31 offset:2048
	v_mul_f64 v[40:41], v[40:41], v[58:59]
	v_fmac_f64_e32 v[40:41], v[42:43], v[56:57]
	v_add_f64 v[42:43], v[20:21], v[64:65]
	v_add_f64 v[40:41], v[40:41], v[22:23]
	ds_read_b128 v[20:23], v31 offset:2064
	s_waitcnt lgkmcnt(1)
	v_mul_f64 v[64:65], v[26:27], v[38:39]
	v_fma_f64 v[64:65], v[24:25], v[36:37], -v[64:65]
	v_mul_f64 v[38:39], v[24:25], v[38:39]
	v_fmac_f64_e32 v[38:39], v[26:27], v[36:37]
	v_add_f64 v[36:37], v[16:17], v[64:65]
	v_mul_f64 v[16:17], v[26:27], v[58:59]
	v_add_f64 v[38:39], v[38:39], v[18:19]
	v_fma_f64 v[64:65], v[24:25], v[56:57], -v[16:17]
	v_mul_f64 v[24:25], v[24:25], v[58:59]
	ds_read_b128 v[16:19], v30 offset:512
	v_fmac_f64_e32 v[24:25], v[26:27], v[56:57]
	v_add_f64 v[26:27], v[14:15], v[64:65]
	v_add_f64 v[24:25], v[24:25], v[12:13]
	ds_read_b128 v[12:15], v30 offset:768
	s_waitcnt lgkmcnt(1)
	v_mul_f64 v[56:57], v[46:47], v[18:19]
	v_fma_f64 v[56:57], v[44:45], v[16:17], -v[56:57]
	v_add_f64 v[56:57], v[60:61], v[56:57]
	v_mul_f64 v[58:59], v[44:45], v[18:19]
	s_waitcnt lgkmcnt(0)
	v_mul_f64 v[60:61], v[46:47], v[14:15]
	v_fma_f64 v[60:61], v[44:45], v[12:13], -v[60:61]
	v_mul_f64 v[44:45], v[44:45], v[14:15]
	v_fmac_f64_e32 v[44:45], v[46:47], v[12:13]
	v_add_f64 v[40:41], v[44:45], v[40:41]
	v_mul_f64 v[44:45], v[22:23], v[18:19]
	v_mul_f64 v[18:19], v[20:21], v[18:19]
	v_fmac_f64_e32 v[58:59], v[46:47], v[16:17]
	v_fma_f64 v[44:45], v[20:21], v[16:17], -v[44:45]
	v_fmac_f64_e32 v[18:19], v[22:23], v[16:17]
	v_mul_f64 v[16:17], v[22:23], v[14:15]
	v_add_f64 v[46:47], v[18:19], v[38:39]
	v_fma_f64 v[18:19], v[20:21], v[12:13], -v[16:17]
	v_mul_f64 v[20:21], v[20:21], v[14:15]
	ds_read_b128 v[14:17], v30 offset:1024
	v_fmac_f64_e32 v[20:21], v[22:23], v[12:13]
	v_add_f64 v[42:43], v[42:43], v[60:61]
	v_add_f64 v[26:27], v[26:27], v[18:19]
	;; [unrolled: 1-line block ×3, first 2 shown]
	ds_read_b128 v[18:21], v30 offset:1280
	s_waitcnt lgkmcnt(1)
	v_mul_f64 v[22:23], v[48:49], v[16:17]
	v_add_f64 v[58:59], v[58:59], v[62:63]
	v_fmac_f64_e32 v[22:23], v[50:51], v[14:15]
	v_add_f64 v[58:59], v[22:23], v[58:59]
	ds_read_b128 v[22:25], v31 offset:2080
	v_mul_f64 v[12:13], v[50:51], v[16:17]
	v_fma_f64 v[12:13], v[48:49], v[14:15], -v[12:13]
	v_add_f64 v[44:45], v[36:37], v[44:45]
	v_add_f64 v[56:57], v[56:57], v[12:13]
	s_waitcnt lgkmcnt(1)
	v_mul_f64 v[12:13], v[50:51], v[20:21]
	v_mul_f64 v[36:37], v[48:49], v[20:21]
	v_fma_f64 v[12:13], v[48:49], v[18:19], -v[12:13]
	v_fmac_f64_e32 v[36:37], v[50:51], v[18:19]
	v_add_f64 v[42:43], v[42:43], v[12:13]
	v_add_f64 v[40:41], v[36:37], v[40:41]
	ds_read_b128 v[36:39], v31 offset:2096
	s_waitcnt lgkmcnt(1)
	v_mul_f64 v[12:13], v[24:25], v[16:17]
	v_fma_f64 v[12:13], v[22:23], v[14:15], -v[12:13]
	v_mul_f64 v[16:17], v[22:23], v[16:17]
	v_fmac_f64_e32 v[16:17], v[24:25], v[14:15]
	v_add_f64 v[44:45], v[44:45], v[12:13]
	v_mul_f64 v[12:13], v[24:25], v[20:21]
	v_add_f64 v[46:47], v[16:17], v[46:47]
	v_fma_f64 v[16:17], v[22:23], v[18:19], -v[12:13]
	ds_read_b128 v[12:15], v30 offset:1536
	v_mul_f64 v[20:21], v[22:23], v[20:21]
	v_fmac_f64_e32 v[20:21], v[24:25], v[18:19]
	v_add_f64 v[22:23], v[26:27], v[16:17]
	ds_read_b128 v[16:19], v30 offset:1792
	s_waitcnt lgkmcnt(1)
	v_mul_f64 v[24:25], v[54:55], v[14:15]
	v_fma_f64 v[24:25], v[52:53], v[12:13], -v[24:25]
	v_mul_f64 v[26:27], v[52:53], v[14:15]
	v_fmac_f64_e32 v[26:27], v[54:55], v[12:13]
	v_add_f64 v[48:49], v[56:57], v[24:25]
	s_waitcnt lgkmcnt(0)
	v_mul_f64 v[24:25], v[54:55], v[18:19]
	v_add_f64 v[50:51], v[26:27], v[58:59]
	v_fma_f64 v[24:25], v[52:53], v[16:17], -v[24:25]
	v_mul_f64 v[26:27], v[52:53], v[18:19]
	v_fmac_f64_e32 v[26:27], v[54:55], v[16:17]
	v_add_f64 v[42:43], v[42:43], v[24:25]
	v_mul_f64 v[24:25], v[38:39], v[14:15]
	v_mul_f64 v[14:15], v[36:37], v[14:15]
	v_add_f64 v[40:41], v[26:27], v[40:41]
	v_fma_f64 v[24:25], v[36:37], v[12:13], -v[24:25]
	v_fmac_f64_e32 v[14:15], v[38:39], v[12:13]
	v_mul_f64 v[12:13], v[38:39], v[18:19]
	v_mul_f64 v[26:27], v[36:37], v[18:19]
	v_add_f64 v[44:45], v[44:45], v[24:25]
	v_add_f64 v[46:47], v[14:15], v[46:47]
	v_fma_f64 v[24:25], v[36:37], v[16:17], -v[12:13]
	v_fmac_f64_e32 v[26:27], v[38:39], v[16:17]
	ds_read_b128 v[12:15], v31 offset:64
	ds_read_b128 v[16:19], v30 offset:2048
	v_add_f64 v[20:21], v[20:21], v[60:61]
	v_add_f64 v[52:53], v[22:23], v[24:25]
	;; [unrolled: 1-line block ×3, first 2 shown]
	ds_read_b128 v[20:23], v30 offset:2304
	ds_read_b128 v[24:27], v31 offset:80
	s_waitcnt lgkmcnt(2)
	v_mul_f64 v[36:37], v[14:15], v[18:19]
	v_fma_f64 v[36:37], v[12:13], v[16:17], -v[36:37]
	v_mul_f64 v[38:39], v[12:13], v[18:19]
	v_fmac_f64_e32 v[38:39], v[14:15], v[16:17]
	v_add_f64 v[48:49], v[48:49], v[36:37]
	s_waitcnt lgkmcnt(1)
	v_mul_f64 v[36:37], v[14:15], v[22:23]
	v_add_f64 v[50:51], v[38:39], v[50:51]
	v_fma_f64 v[56:57], v[12:13], v[20:21], -v[36:37]
	ds_read_b128 v[36:39], v31 offset:2112
	v_mul_f64 v[12:13], v[12:13], v[22:23]
	v_fmac_f64_e32 v[12:13], v[14:15], v[20:21]
	v_add_f64 v[42:43], v[42:43], v[56:57]
	v_add_f64 v[40:41], v[12:13], v[40:41]
	ds_read_b128 v[12:15], v31 offset:2128
	s_waitcnt lgkmcnt(1)
	v_mul_f64 v[56:57], v[38:39], v[18:19]
	v_mul_f64 v[18:19], v[36:37], v[18:19]
	v_fma_f64 v[56:57], v[36:37], v[16:17], -v[56:57]
	v_fmac_f64_e32 v[18:19], v[38:39], v[16:17]
	v_mul_f64 v[16:17], v[38:39], v[22:23]
	v_add_f64 v[44:45], v[44:45], v[56:57]
	v_add_f64 v[46:47], v[18:19], v[46:47]
	v_fma_f64 v[56:57], v[36:37], v[20:21], -v[16:17]
	v_mul_f64 v[22:23], v[36:37], v[22:23]
	ds_read_b128 v[16:19], v30 offset:2560
	v_fmac_f64_e32 v[22:23], v[38:39], v[20:21]
	v_add_f64 v[38:39], v[22:23], v[54:55]
	ds_read_b128 v[20:23], v30 offset:2816
	v_add_f64 v[36:37], v[52:53], v[56:57]
	s_waitcnt lgkmcnt(1)
	v_mul_f64 v[52:53], v[26:27], v[18:19]
	v_fma_f64 v[52:53], v[24:25], v[16:17], -v[52:53]
	v_add_f64 v[48:49], v[48:49], v[52:53]
	s_waitcnt lgkmcnt(0)
	v_mul_f64 v[52:53], v[26:27], v[22:23]
	v_mul_f64 v[54:55], v[24:25], v[18:19]
	v_fma_f64 v[52:53], v[24:25], v[20:21], -v[52:53]
	v_mul_f64 v[24:25], v[24:25], v[22:23]
	v_fmac_f64_e32 v[24:25], v[26:27], v[20:21]
	v_add_f64 v[40:41], v[24:25], v[40:41]
	v_mul_f64 v[24:25], v[14:15], v[18:19]
	v_mul_f64 v[18:19], v[12:13], v[18:19]
	v_fmac_f64_e32 v[54:55], v[26:27], v[16:17]
	v_fma_f64 v[24:25], v[12:13], v[16:17], -v[24:25]
	v_fmac_f64_e32 v[18:19], v[14:15], v[16:17]
	v_mul_f64 v[16:17], v[14:15], v[22:23]
	v_mul_f64 v[22:23], v[12:13], v[22:23]
	v_add_f64 v[44:45], v[44:45], v[24:25]
	v_add_f64 v[46:47], v[18:19], v[46:47]
	v_fma_f64 v[24:25], v[12:13], v[20:21], -v[16:17]
	v_fmac_f64_e32 v[22:23], v[14:15], v[20:21]
	ds_read_b128 v[12:15], v31 offset:96
	ds_read_b128 v[16:19], v30 offset:3072
	v_add_f64 v[50:51], v[54:55], v[50:51]
	v_add_f64 v[42:43], v[42:43], v[52:53]
	;; [unrolled: 1-line block ×4, first 2 shown]
	ds_read_b128 v[20:23], v30 offset:3328
	ds_read_b128 v[36:39], v31 offset:112
	s_waitcnt lgkmcnt(2)
	v_mul_f64 v[24:25], v[14:15], v[18:19]
	v_fma_f64 v[24:25], v[12:13], v[16:17], -v[24:25]
	v_mul_f64 v[26:27], v[12:13], v[18:19]
	v_fmac_f64_e32 v[26:27], v[14:15], v[16:17]
	v_add_f64 v[48:49], v[48:49], v[24:25]
	s_waitcnt lgkmcnt(1)
	v_mul_f64 v[24:25], v[14:15], v[22:23]
	v_add_f64 v[50:51], v[26:27], v[50:51]
	v_fma_f64 v[56:57], v[12:13], v[20:21], -v[24:25]
	ds_read_b128 v[24:27], v31 offset:2144
	v_mul_f64 v[12:13], v[12:13], v[22:23]
	v_fmac_f64_e32 v[12:13], v[14:15], v[20:21]
	v_add_f64 v[58:59], v[12:13], v[40:41]
	ds_read_b128 v[12:15], v31 offset:2160
	s_waitcnt lgkmcnt(1)
	v_mul_f64 v[40:41], v[26:27], v[18:19]
	v_mul_f64 v[18:19], v[24:25], v[18:19]
	v_fma_f64 v[40:41], v[24:25], v[16:17], -v[40:41]
	v_fmac_f64_e32 v[18:19], v[26:27], v[16:17]
	v_mul_f64 v[16:17], v[26:27], v[22:23]
	v_add_f64 v[44:45], v[44:45], v[40:41]
	v_add_f64 v[46:47], v[18:19], v[46:47]
	v_fma_f64 v[40:41], v[24:25], v[20:21], -v[16:17]
	ds_read_b128 v[16:19], v30 offset:3584
	v_add_f64 v[56:57], v[42:43], v[56:57]
	v_add_f64 v[52:53], v[52:53], v[40:41]
	ds_read_b128 v[40:43], v30 offset:3840
	v_mul_f64 v[22:23], v[24:25], v[22:23]
	v_fmac_f64_e32 v[22:23], v[26:27], v[20:21]
	s_waitcnt lgkmcnt(1)
	v_mul_f64 v[20:21], v[38:39], v[18:19]
	v_add_f64 v[54:55], v[22:23], v[54:55]
	v_fma_f64 v[20:21], v[36:37], v[16:17], -v[20:21]
	v_mul_f64 v[22:23], v[36:37], v[18:19]
	v_fmac_f64_e32 v[22:23], v[38:39], v[16:17]
	v_add_f64 v[24:25], v[48:49], v[20:21]
	s_waitcnt lgkmcnt(0)
	v_mul_f64 v[20:21], v[38:39], v[42:43]
	v_add_f64 v[26:27], v[22:23], v[50:51]
	v_fma_f64 v[20:21], v[36:37], v[40:41], -v[20:21]
	v_mul_f64 v[22:23], v[36:37], v[42:43]
	v_mul_f64 v[36:37], v[14:15], v[18:19]
	v_fma_f64 v[36:37], v[12:13], v[16:17], -v[36:37]
	v_mul_f64 v[18:19], v[12:13], v[18:19]
	v_fmac_f64_e32 v[18:19], v[14:15], v[16:17]
	v_add_f64 v[16:17], v[44:45], v[36:37]
	v_mul_f64 v[36:37], v[14:15], v[42:43]
	s_add_u32 s14, s14, 8
	v_fma_f64 v[36:37], v[12:13], v[40:41], -v[36:37]
	v_mul_f64 v[12:13], v[12:13], v[42:43]
	s_addc_u32 s15, s15, 0
	v_fmac_f64_e32 v[12:13], v[14:15], v[40:41]
	v_add_f64 v[14:15], v[52:53], v[36:37]
	v_mov_b64_e32 v[36:37], s[14:15]
	v_fmac_f64_e32 v[22:23], v[38:39], v[40:41]
	v_cmp_gt_i64_e32 vcc, s[8:9], v[36:37]
	v_add_f64 v[20:21], v[56:57], v[20:21]
	v_add_f64 v[22:23], v[22:23], v[58:59]
	;; [unrolled: 1-line block ×4, first 2 shown]
	s_barrier
	s_cbranch_vccz .LBB568_18
.LBB568_8:                              ; =>This Inner Loop Header: Depth=1
	s_mov_b64 s[30:31], s[2:3]
	s_mov_b64 s[20:21], 0
	s_and_saveexec_b64 s[24:25], s[0:1]
	s_cbranch_execnz .LBB568_16
; %bb.9:                                ;   in Loop: Header=BB568_8 Depth=1
	s_or_b64 exec, exec, s[24:25]
	s_and_saveexec_b64 s[24:25], s[30:31]
	s_xor_b64 s[24:25], exec, s[24:25]
	s_cbranch_execnz .LBB568_17
.LBB568_10:                             ;   in Loop: Header=BB568_8 Depth=1
	s_or_b64 exec, exec, s[24:25]
	s_and_saveexec_b64 s[24:25], s[20:21]
	s_cbranch_execz .LBB568_12
.LBB568_11:                             ;   in Loop: Header=BB568_8 Depth=1
	v_mul_lo_u32 v8, s17, v10
	v_mul_lo_u32 v38, s16, v11
	v_mad_u64_u32 v[36:37], s[20:21], s16, v10, 0
	v_add3_u32 v37, v37, v38, v8
	v_lshl_add_u64 v[36:37], v[36:37], 4, v[4:5]
	flat_load_dwordx4 v[36:39], v[36:37]
	s_waitcnt vmcnt(0) lgkmcnt(0)
	ds_write2_b64 v28, v[36:37], v[38:39] offset1:1
.LBB568_12:                             ;   in Loop: Header=BB568_8 Depth=1
	s_or_b64 exec, exec, s[24:25]
	v_add_u32_e32 v8, s14, v0
	v_cmp_le_u64_e32 vcc, s[8:9], v[8:9]
	s_or_b64 s[20:21], vcc, s[18:19]
	s_and_saveexec_b64 s[24:25], s[20:21]
	s_xor_b64 s[20:21], exec, s[24:25]
; %bb.13:                               ;   in Loop: Header=BB568_8 Depth=1
	ds_write_b128 v29, v[32:35]
; %bb.14:                               ;   in Loop: Header=BB568_8 Depth=1
	s_andn2_saveexec_b64 s[20:21], s[20:21]
	s_cbranch_execz .LBB568_7
; %bb.15:                               ;   in Loop: Header=BB568_8 Depth=1
	v_mad_u64_u32 v[36:37], s[24:25], s22, v8, 0
	v_mov_b32_e32 v38, v37
	v_mad_u64_u32 v[38:39], s[24:25], s23, v8, v[38:39]
	v_mov_b32_e32 v37, v38
	v_lshl_add_u64 v[36:37], v[36:37], 4, v[6:7]
	flat_load_dwordx4 v[36:39], v[36:37]
	s_waitcnt vmcnt(0) lgkmcnt(0)
	ds_write2_b64 v29, v[36:37], v[38:39] offset1:1
	s_branch .LBB568_7
.LBB568_16:                             ;   in Loop: Header=BB568_8 Depth=1
	v_add_u32_e32 v8, s14, v2
	v_cmp_le_u64_e32 vcc, s[8:9], v[8:9]
	s_andn2_b64 s[30:31], s[2:3], exec
	s_and_b64 s[40:41], vcc, exec
	s_mov_b64 s[20:21], exec
	s_or_b64 s[30:31], s[30:31], s[40:41]
	v_mov_b64_e32 v[10:11], v[8:9]
	s_or_b64 exec, exec, s[24:25]
	s_and_saveexec_b64 s[24:25], s[30:31]
	s_xor_b64 s[24:25], exec, s[24:25]
	s_cbranch_execz .LBB568_10
.LBB568_17:                             ;   in Loop: Header=BB568_8 Depth=1
	ds_write_b128 v28, v[32:35]
	s_andn2_b64 s[20:21], s[20:21], exec
	s_or_b64 exec, exec, s[24:25]
	s_and_saveexec_b64 s[24:25], s[20:21]
	s_cbranch_execnz .LBB568_11
	s_branch .LBB568_12
.LBB568_18:
	s_waitcnt lgkmcnt(0)
	s_lshl_b64 s[0:1], s[38:39], 4
	v_add_u32_e32 v10, s35, v3
	s_add_u32 s8, s4, s0
	v_ashrrev_i32_e32 v0, 31, v10
	s_addc_u32 s9, s5, s1
	v_add_u32_e32 v4, s34, v1
	v_cmp_neq_f64_e64 s[0:1], s[26:27], 0
	s_xor_b64 s[4:5], s[6:7], -1
	v_mul_lo_u32 v2, s36, v0
	v_mul_lo_u32 v3, s37, v10
	v_mad_u64_u32 v[0:1], s[2:3], s36, v10, 0
	v_add3_u32 v1, v1, v2, v3
	s_or_b64 s[0:1], s[0:1], s[4:5]
	v_lshl_add_u64 v[8:9], v[0:1], 4, s[8:9]
	v_cmp_le_i32_e32 vcc, v10, v4
	v_cmp_gt_i32_e64 s[2:3], s33, v4
	v_cndmask_b32_e64 v0, 0, 1, s[0:1]
	s_and_b64 s[6:7], vcc, s[2:3]
	v_ashrrev_i32_e32 v5, 31, v4
	v_cmp_ne_u32_e64 s[0:1], 1, v0
	s_and_saveexec_b64 s[4:5], s[6:7]
	s_cbranch_execz .LBB568_22
; %bb.19:
	v_mul_f64 v[0:1], s[12:13], v[26:27]
	v_mul_f64 v[2:3], s[10:11], v[26:27]
	v_fma_f64 v[0:1], s[10:11], v[24:25], -v[0:1]
	v_fmac_f64_e32 v[2:3], s[12:13], v[24:25]
	s_and_b64 vcc, exec, s[0:1]
	v_lshl_add_u64 v[6:7], v[4:5], 4, v[8:9]
	s_cbranch_vccnz .LBB568_21
; %bb.20:
	flat_load_dwordx4 v[24:27], v[6:7]
	s_waitcnt vmcnt(0) lgkmcnt(0)
	v_mul_f64 v[28:29], s[28:29], v[26:27]
	v_mul_f64 v[26:27], s[26:27], v[26:27]
	v_fma_f64 v[28:29], s[26:27], v[24:25], -v[28:29]
	v_fmac_f64_e32 v[26:27], s[28:29], v[24:25]
	v_add_f64 v[0:1], v[0:1], v[28:29]
	v_add_f64 v[2:3], v[2:3], v[26:27]
.LBB568_21:
	flat_store_dwordx4 v[6:7], v[0:3]
.LBB568_22:
	s_or_b64 exec, exec, s[4:5]
	v_add_u32_e32 v6, 16, v4
	v_cmp_le_i32_e32 vcc, v10, v6
	v_cmp_gt_i32_e64 s[4:5], s33, v6
	s_and_b64 s[14:15], vcc, s[4:5]
	v_ashrrev_i32_e32 v7, 31, v6
	s_and_saveexec_b64 s[6:7], s[14:15]
	s_cbranch_execz .LBB568_26
; %bb.23:
	v_mul_f64 v[0:1], s[12:13], v[22:23]
	v_mul_f64 v[2:3], s[10:11], v[22:23]
	v_fma_f64 v[0:1], s[10:11], v[20:21], -v[0:1]
	v_fmac_f64_e32 v[2:3], s[12:13], v[20:21]
	s_and_b64 vcc, exec, s[0:1]
	v_lshl_add_u64 v[8:9], v[6:7], 4, v[8:9]
	s_cbranch_vccnz .LBB568_25
; %bb.24:
	flat_load_dwordx4 v[20:23], v[8:9]
	s_waitcnt vmcnt(0) lgkmcnt(0)
	v_mul_f64 v[24:25], s[28:29], v[22:23]
	v_mul_f64 v[22:23], s[26:27], v[22:23]
	v_fma_f64 v[24:25], s[26:27], v[20:21], -v[24:25]
	v_fmac_f64_e32 v[22:23], s[28:29], v[20:21]
	v_add_f64 v[0:1], v[0:1], v[24:25]
	v_add_f64 v[2:3], v[2:3], v[22:23]
.LBB568_25:
	flat_store_dwordx4 v[8:9], v[0:3]
.LBB568_26:
	s_or_b64 exec, exec, s[6:7]
	v_add_u32_e32 v10, 16, v10
	v_ashrrev_i32_e32 v0, 31, v10
	v_mul_lo_u32 v2, s36, v0
	v_mul_lo_u32 v3, s37, v10
	v_mad_u64_u32 v[0:1], s[6:7], s36, v10, 0
	v_add3_u32 v1, v1, v2, v3
	v_cmp_le_i32_e32 vcc, v10, v4
	v_lshl_add_u64 v[8:9], v[0:1], 4, s[8:9]
	s_and_b64 s[6:7], vcc, s[2:3]
	s_and_saveexec_b64 s[2:3], s[6:7]
	s_cbranch_execz .LBB568_30
; %bb.27:
	v_mul_f64 v[0:1], s[12:13], v[18:19]
	v_mul_f64 v[2:3], s[10:11], v[18:19]
	v_fma_f64 v[0:1], s[10:11], v[16:17], -v[0:1]
	v_fmac_f64_e32 v[2:3], s[12:13], v[16:17]
	s_and_b64 vcc, exec, s[0:1]
	v_lshl_add_u64 v[4:5], v[4:5], 4, v[8:9]
	s_cbranch_vccnz .LBB568_29
; %bb.28:
	flat_load_dwordx4 v[16:19], v[4:5]
	s_waitcnt vmcnt(0) lgkmcnt(0)
	v_mul_f64 v[20:21], s[28:29], v[18:19]
	v_mul_f64 v[18:19], s[26:27], v[18:19]
	v_fma_f64 v[20:21], s[26:27], v[16:17], -v[20:21]
	v_fmac_f64_e32 v[18:19], s[28:29], v[16:17]
	v_add_f64 v[0:1], v[0:1], v[20:21]
	v_add_f64 v[2:3], v[2:3], v[18:19]
.LBB568_29:
	flat_store_dwordx4 v[4:5], v[0:3]
.LBB568_30:
	s_or_b64 exec, exec, s[2:3]
	v_cmp_le_i32_e32 vcc, v10, v6
	s_and_b64 s[2:3], vcc, s[4:5]
	s_and_saveexec_b64 s[4:5], s[2:3]
	s_cbranch_execz .LBB568_34
; %bb.31:
	v_mul_f64 v[0:1], s[12:13], v[12:13]
	v_mul_f64 v[2:3], s[10:11], v[12:13]
	v_fma_f64 v[0:1], s[10:11], v[14:15], -v[0:1]
	v_fmac_f64_e32 v[2:3], s[12:13], v[14:15]
	s_and_b64 vcc, exec, s[0:1]
	v_lshl_add_u64 v[4:5], v[6:7], 4, v[8:9]
	s_cbranch_vccnz .LBB568_33
; %bb.32:
	flat_load_dwordx4 v[6:9], v[4:5]
	s_waitcnt vmcnt(0) lgkmcnt(0)
	v_mul_f64 v[10:11], s[28:29], v[8:9]
	v_mul_f64 v[8:9], s[26:27], v[8:9]
	v_fma_f64 v[10:11], s[26:27], v[6:7], -v[10:11]
	v_fmac_f64_e32 v[8:9], s[28:29], v[6:7]
	v_add_f64 v[0:1], v[0:1], v[10:11]
	v_add_f64 v[2:3], v[2:3], v[8:9]
.LBB568_33:
	flat_store_dwordx4 v[4:5], v[0:3]
.LBB568_34:
	s_endpgm
	.section	.rodata,"a",@progbits
	.p2align	6, 0x0
	.amdhsa_kernel _ZL29rocblas_internal_gemmt_kernelIlLi16ELi32ELi8ELc78ELc84ELc76ELb0ELb0E19rocblas_complex_numIdES1_PKPKS1_PKPS1_EviT_T9_T10_S9_lSB_S9_lSA_T11_S9_li
		.amdhsa_group_segment_fixed_size 8192
		.amdhsa_private_segment_fixed_size 0
		.amdhsa_kernarg_size 124
		.amdhsa_user_sgpr_count 2
		.amdhsa_user_sgpr_dispatch_ptr 0
		.amdhsa_user_sgpr_queue_ptr 0
		.amdhsa_user_sgpr_kernarg_segment_ptr 1
		.amdhsa_user_sgpr_dispatch_id 0
		.amdhsa_user_sgpr_kernarg_preload_length 0
		.amdhsa_user_sgpr_kernarg_preload_offset 0
		.amdhsa_user_sgpr_private_segment_size 0
		.amdhsa_uses_dynamic_stack 0
		.amdhsa_enable_private_segment 0
		.amdhsa_system_sgpr_workgroup_id_x 1
		.amdhsa_system_sgpr_workgroup_id_y 1
		.amdhsa_system_sgpr_workgroup_id_z 1
		.amdhsa_system_sgpr_workgroup_info 0
		.amdhsa_system_vgpr_workitem_id 1
		.amdhsa_next_free_vgpr 66
		.amdhsa_next_free_sgpr 42
		.amdhsa_accum_offset 68
		.amdhsa_reserve_vcc 1
		.amdhsa_float_round_mode_32 0
		.amdhsa_float_round_mode_16_64 0
		.amdhsa_float_denorm_mode_32 3
		.amdhsa_float_denorm_mode_16_64 3
		.amdhsa_dx10_clamp 1
		.amdhsa_ieee_mode 1
		.amdhsa_fp16_overflow 0
		.amdhsa_tg_split 0
		.amdhsa_exception_fp_ieee_invalid_op 0
		.amdhsa_exception_fp_denorm_src 0
		.amdhsa_exception_fp_ieee_div_zero 0
		.amdhsa_exception_fp_ieee_overflow 0
		.amdhsa_exception_fp_ieee_underflow 0
		.amdhsa_exception_fp_ieee_inexact 0
		.amdhsa_exception_int_div_zero 0
	.end_amdhsa_kernel
	.section	.text._ZL29rocblas_internal_gemmt_kernelIlLi16ELi32ELi8ELc78ELc84ELc76ELb0ELb0E19rocblas_complex_numIdES1_PKPKS1_PKPS1_EviT_T9_T10_S9_lSB_S9_lSA_T11_S9_li,"axG",@progbits,_ZL29rocblas_internal_gemmt_kernelIlLi16ELi32ELi8ELc78ELc84ELc76ELb0ELb0E19rocblas_complex_numIdES1_PKPKS1_PKPS1_EviT_T9_T10_S9_lSB_S9_lSA_T11_S9_li,comdat
.Lfunc_end568:
	.size	_ZL29rocblas_internal_gemmt_kernelIlLi16ELi32ELi8ELc78ELc84ELc76ELb0ELb0E19rocblas_complex_numIdES1_PKPKS1_PKPS1_EviT_T9_T10_S9_lSB_S9_lSA_T11_S9_li, .Lfunc_end568-_ZL29rocblas_internal_gemmt_kernelIlLi16ELi32ELi8ELc78ELc84ELc76ELb0ELb0E19rocblas_complex_numIdES1_PKPKS1_PKPS1_EviT_T9_T10_S9_lSB_S9_lSA_T11_S9_li
                                        ; -- End function
	.set _ZL29rocblas_internal_gemmt_kernelIlLi16ELi32ELi8ELc78ELc84ELc76ELb0ELb0E19rocblas_complex_numIdES1_PKPKS1_PKPS1_EviT_T9_T10_S9_lSB_S9_lSA_T11_S9_li.num_vgpr, 66
	.set _ZL29rocblas_internal_gemmt_kernelIlLi16ELi32ELi8ELc78ELc84ELc76ELb0ELb0E19rocblas_complex_numIdES1_PKPKS1_PKPS1_EviT_T9_T10_S9_lSB_S9_lSA_T11_S9_li.num_agpr, 0
	.set _ZL29rocblas_internal_gemmt_kernelIlLi16ELi32ELi8ELc78ELc84ELc76ELb0ELb0E19rocblas_complex_numIdES1_PKPKS1_PKPS1_EviT_T9_T10_S9_lSB_S9_lSA_T11_S9_li.numbered_sgpr, 42
	.set _ZL29rocblas_internal_gemmt_kernelIlLi16ELi32ELi8ELc78ELc84ELc76ELb0ELb0E19rocblas_complex_numIdES1_PKPKS1_PKPS1_EviT_T9_T10_S9_lSB_S9_lSA_T11_S9_li.num_named_barrier, 0
	.set _ZL29rocblas_internal_gemmt_kernelIlLi16ELi32ELi8ELc78ELc84ELc76ELb0ELb0E19rocblas_complex_numIdES1_PKPKS1_PKPS1_EviT_T9_T10_S9_lSB_S9_lSA_T11_S9_li.private_seg_size, 0
	.set _ZL29rocblas_internal_gemmt_kernelIlLi16ELi32ELi8ELc78ELc84ELc76ELb0ELb0E19rocblas_complex_numIdES1_PKPKS1_PKPS1_EviT_T9_T10_S9_lSB_S9_lSA_T11_S9_li.uses_vcc, 1
	.set _ZL29rocblas_internal_gemmt_kernelIlLi16ELi32ELi8ELc78ELc84ELc76ELb0ELb0E19rocblas_complex_numIdES1_PKPKS1_PKPS1_EviT_T9_T10_S9_lSB_S9_lSA_T11_S9_li.uses_flat_scratch, 0
	.set _ZL29rocblas_internal_gemmt_kernelIlLi16ELi32ELi8ELc78ELc84ELc76ELb0ELb0E19rocblas_complex_numIdES1_PKPKS1_PKPS1_EviT_T9_T10_S9_lSB_S9_lSA_T11_S9_li.has_dyn_sized_stack, 0
	.set _ZL29rocblas_internal_gemmt_kernelIlLi16ELi32ELi8ELc78ELc84ELc76ELb0ELb0E19rocblas_complex_numIdES1_PKPKS1_PKPS1_EviT_T9_T10_S9_lSB_S9_lSA_T11_S9_li.has_recursion, 0
	.set _ZL29rocblas_internal_gemmt_kernelIlLi16ELi32ELi8ELc78ELc84ELc76ELb0ELb0E19rocblas_complex_numIdES1_PKPKS1_PKPS1_EviT_T9_T10_S9_lSB_S9_lSA_T11_S9_li.has_indirect_call, 0
	.section	.AMDGPU.csdata,"",@progbits
; Kernel info:
; codeLenInByte = 3228
; TotalNumSgprs: 48
; NumVgprs: 66
; NumAgprs: 0
; TotalNumVgprs: 66
; ScratchSize: 0
; MemoryBound: 0
; FloatMode: 240
; IeeeMode: 1
; LDSByteSize: 8192 bytes/workgroup (compile time only)
; SGPRBlocks: 5
; VGPRBlocks: 8
; NumSGPRsForWavesPerEU: 48
; NumVGPRsForWavesPerEU: 66
; AccumOffset: 68
; Occupancy: 7
; WaveLimiterHint : 1
; COMPUTE_PGM_RSRC2:SCRATCH_EN: 0
; COMPUTE_PGM_RSRC2:USER_SGPR: 2
; COMPUTE_PGM_RSRC2:TRAP_HANDLER: 0
; COMPUTE_PGM_RSRC2:TGID_X_EN: 1
; COMPUTE_PGM_RSRC2:TGID_Y_EN: 1
; COMPUTE_PGM_RSRC2:TGID_Z_EN: 1
; COMPUTE_PGM_RSRC2:TIDIG_COMP_CNT: 1
; COMPUTE_PGM_RSRC3_GFX90A:ACCUM_OFFSET: 16
; COMPUTE_PGM_RSRC3_GFX90A:TG_SPLIT: 0
	.section	.text._ZL29rocblas_internal_gemmt_kernelIlLi16ELi32ELi8ELc78ELc67ELc76ELb0ELb1E19rocblas_complex_numIdES1_PKPKS1_PKPS1_EviT_T9_T10_S9_lSB_S9_lSA_T11_S9_li,"axG",@progbits,_ZL29rocblas_internal_gemmt_kernelIlLi16ELi32ELi8ELc78ELc67ELc76ELb0ELb1E19rocblas_complex_numIdES1_PKPKS1_PKPS1_EviT_T9_T10_S9_lSB_S9_lSA_T11_S9_li,comdat
	.globl	_ZL29rocblas_internal_gemmt_kernelIlLi16ELi32ELi8ELc78ELc67ELc76ELb0ELb1E19rocblas_complex_numIdES1_PKPKS1_PKPS1_EviT_T9_T10_S9_lSB_S9_lSA_T11_S9_li ; -- Begin function _ZL29rocblas_internal_gemmt_kernelIlLi16ELi32ELi8ELc78ELc67ELc76ELb0ELb1E19rocblas_complex_numIdES1_PKPKS1_PKPS1_EviT_T9_T10_S9_lSB_S9_lSA_T11_S9_li
	.p2align	8
	.type	_ZL29rocblas_internal_gemmt_kernelIlLi16ELi32ELi8ELc78ELc67ELc76ELb0ELb1E19rocblas_complex_numIdES1_PKPKS1_PKPS1_EviT_T9_T10_S9_lSB_S9_lSA_T11_S9_li,@function
_ZL29rocblas_internal_gemmt_kernelIlLi16ELi32ELi8ELc78ELc67ELc76ELb0ELb1E19rocblas_complex_numIdES1_PKPKS1_PKPS1_EviT_T9_T10_S9_lSB_S9_lSA_T11_S9_li: ; @_ZL29rocblas_internal_gemmt_kernelIlLi16ELi32ELi8ELc78ELc67ELc76ELb0ELb1E19rocblas_complex_numIdES1_PKPKS1_PKPS1_EviT_T9_T10_S9_lSB_S9_lSA_T11_S9_li
; %bb.0:
	s_load_dwordx8 s[24:31], s[0:1], 0x48
	s_load_dwordx16 s[8:23], s[0:1], 0x8
	s_mov_b64 s[34:35], 0
	s_waitcnt lgkmcnt(0)
	v_cmp_eq_f64_e64 s[36:37], s[26:27], 1.0
	v_cmp_eq_f64_e64 s[6:7], s[28:29], 0
	s_and_b64 s[36:37], s[36:37], s[6:7]
	s_andn2_b64 vcc, exec, s[36:37]
	s_mov_b64 s[36:37], -1
	s_cbranch_vccnz .LBB569_4
; %bb.1:
	s_cmp_lg_u64 s[8:9], 0
	s_cbranch_scc0 .LBB569_3
; %bb.2:
	v_cmp_neq_f64_e64 s[34:35], s[10:11], 0
	v_cmp_neq_f64_e64 s[36:37], s[12:13], 0
	s_or_b64 s[34:35], s[34:35], s[36:37]
.LBB569_3:
	s_mov_b64 s[36:37], s[34:35]
.LBB569_4:
	s_and_b64 vcc, exec, s[36:37]
	s_cbranch_vccz .LBB569_32
; %bb.5:
	s_mov_b32 s5, 0
	s_load_dwordx4 s[36:39], s[0:1], 0x68
	s_load_dword s33, s[0:1], 0x0
	s_lshl_b64 s[0:1], s[4:5], 3
	s_add_u32 s4, s30, s0
	s_addc_u32 s5, s31, s1
	s_load_dwordx2 s[4:5], s[4:5], 0x0
	s_lshl_b32 s34, s2, 5
	s_lshl_b32 s35, s3, 5
	v_cmp_eq_f64_e64 s[2:3], s[10:11], 0
	v_cmp_eq_f64_e64 s[30:31], s[12:13], 0
	s_and_b64 s[2:3], s[2:3], s[30:31]
	v_cmp_lt_i64_e64 s[30:31], s[8:9], 1
	s_or_b64 s[2:3], s[2:3], s[30:31]
	v_and_b32_e32 v5, 0x3ff, v0
	v_bfe_u32 v7, v0, 10, 10
	v_mov_b64_e32 v[28:29], 0
	s_and_b64 vcc, exec, s[2:3]
	v_mov_b64_e32 v[30:31], 0
	v_mov_b64_e32 v[24:25], 0
	;; [unrolled: 1-line block ×7, first 2 shown]
	s_cbranch_vccnz .LBB569_16
; %bb.6:
	s_add_u32 s2, s20, s0
	s_addc_u32 s3, s21, s1
	s_load_dwordx2 s[2:3], s[2:3], 0x0
	s_lshl_b64 s[20:21], s[24:25], 4
	v_lshl_add_u32 v1, v7, 4, v5
	v_lshrrev_b32_e32 v6, 5, v1
	v_lshrrev_b32_e32 v10, 3, v1
	s_waitcnt lgkmcnt(0)
	s_add_u32 s20, s2, s20
	s_addc_u32 s21, s3, s21
	s_add_u32 s0, s14, s0
	s_addc_u32 s1, s15, s1
	s_load_dwordx2 s[0:1], s[0:1], 0x0
	v_and_b32_e32 v1, 31, v1
	v_and_b32_e32 v4, 7, v5
	v_or_b32_e32 v2, s34, v1
	v_lshlrev_b32_e32 v1, 4, v1
	s_lshl_b64 s[2:3], s[18:19], 4
	v_lshl_or_b32 v32, v6, 9, v1
	v_lshlrev_b32_e32 v1, 4, v4
	v_add_u32_e32 v0, s35, v10
	s_waitcnt lgkmcnt(0)
	s_add_u32 s2, s0, s2
	v_lshl_or_b32 v1, v10, 7, v1
	s_addc_u32 s3, s1, s3
	v_ashrrev_i32_e32 v3, 31, v2
	v_add_u32_e32 v33, 0x1000, v1
	v_ashrrev_i32_e32 v1, 31, v0
	v_lshl_add_u64 v[8:9], v[2:3], 4, s[2:3]
	v_cmp_gt_i32_e64 s[2:3], s33, v0
	v_lshl_add_u64 v[10:11], v[0:1], 4, s[20:21]
	v_mov_b32_e32 v0, 0x1000
	v_mov_b32_e32 v13, 0
	v_cmp_gt_i32_e64 s[0:1], s33, v2
	v_cmp_le_i32_e64 s[14:15], s33, v2
	v_lshlrev_b32_e32 v34, 4, v5
	v_lshl_add_u32 v35, v7, 7, v0
	v_mov_b64_e32 v[16:17], 0
	s_mov_b64 s[18:19], 0
	v_mov_b32_e32 v36, v13
	v_mov_b32_e32 v37, v13
	;; [unrolled: 1-line block ×4, first 2 shown]
	v_mov_b64_e32 v[18:19], 0
	v_mov_b64_e32 v[22:23], 0
	;; [unrolled: 1-line block ×7, first 2 shown]
                                        ; implicit-def: $vgpr14_vgpr15
	s_branch .LBB569_8
.LBB569_7:                              ;   in Loop: Header=BB569_8 Depth=1
	s_or_b64 exec, exec, s[20:21]
	ds_write_b128 v33, v[0:3]
	s_waitcnt lgkmcnt(0)
	s_barrier
	ds_read_b128 v[0:3], v34
	ds_read_b128 v[40:43], v35
	ds_read_b128 v[44:47], v35 offset:16
	ds_read_b128 v[48:51], v35 offset:32
	;; [unrolled: 1-line block ×4, first 2 shown]
	s_waitcnt lgkmcnt(4)
	v_mul_f64 v[60:61], v[42:43], v[2:3]
	v_fma_f64 v[60:61], v[40:41], v[0:1], -v[60:61]
	v_mul_f64 v[62:63], v[40:41], v[2:3]
	v_fmac_f64_e32 v[62:63], v[42:43], v[0:1]
	v_add_f64 v[60:61], v[28:29], v[60:61]
	s_waitcnt lgkmcnt(0)
	v_mul_f64 v[28:29], v[42:43], v[58:59]
	v_add_f64 v[62:63], v[62:63], v[30:31]
	v_fma_f64 v[64:65], v[40:41], v[56:57], -v[28:29]
	ds_read_b128 v[28:31], v35 offset:2048
	v_mul_f64 v[40:41], v[40:41], v[58:59]
	v_fmac_f64_e32 v[40:41], v[42:43], v[56:57]
	v_add_f64 v[42:43], v[24:25], v[64:65]
	v_add_f64 v[40:41], v[40:41], v[26:27]
	ds_read_b128 v[24:27], v35 offset:2064
	s_waitcnt lgkmcnt(1)
	v_mul_f64 v[64:65], v[30:31], v[2:3]
	v_mul_f64 v[2:3], v[28:29], v[2:3]
	v_fma_f64 v[64:65], v[28:29], v[0:1], -v[64:65]
	v_fmac_f64_e32 v[2:3], v[30:31], v[0:1]
	v_mul_f64 v[0:1], v[30:31], v[58:59]
	v_add_f64 v[20:21], v[20:21], v[64:65]
	v_add_f64 v[22:23], v[2:3], v[22:23]
	v_fma_f64 v[64:65], v[28:29], v[56:57], -v[0:1]
	v_mul_f64 v[28:29], v[28:29], v[58:59]
	ds_read_b128 v[0:3], v34 offset:512
	v_fmac_f64_e32 v[28:29], v[30:31], v[56:57]
	v_add_f64 v[30:31], v[18:19], v[64:65]
	v_add_f64 v[28:29], v[28:29], v[16:17]
	ds_read_b128 v[16:19], v34 offset:768
	s_waitcnt lgkmcnt(1)
	v_mul_f64 v[56:57], v[46:47], v[2:3]
	v_fma_f64 v[56:57], v[44:45], v[0:1], -v[56:57]
	v_add_f64 v[56:57], v[60:61], v[56:57]
	v_mul_f64 v[58:59], v[44:45], v[2:3]
	s_waitcnt lgkmcnt(0)
	v_mul_f64 v[60:61], v[46:47], v[18:19]
	v_fma_f64 v[60:61], v[44:45], v[16:17], -v[60:61]
	v_mul_f64 v[44:45], v[44:45], v[18:19]
	v_fmac_f64_e32 v[44:45], v[46:47], v[16:17]
	v_add_f64 v[40:41], v[44:45], v[40:41]
	v_mul_f64 v[44:45], v[26:27], v[2:3]
	v_mul_f64 v[2:3], v[24:25], v[2:3]
	v_fmac_f64_e32 v[58:59], v[46:47], v[0:1]
	v_fma_f64 v[44:45], v[24:25], v[0:1], -v[44:45]
	v_fmac_f64_e32 v[2:3], v[26:27], v[0:1]
	v_mul_f64 v[0:1], v[26:27], v[18:19]
	v_add_f64 v[44:45], v[20:21], v[44:45]
	v_add_f64 v[46:47], v[2:3], v[22:23]
	v_fma_f64 v[20:21], v[24:25], v[16:17], -v[0:1]
	v_mul_f64 v[18:19], v[24:25], v[18:19]
	ds_read_b128 v[0:3], v34 offset:1024
	v_fmac_f64_e32 v[18:19], v[26:27], v[16:17]
	v_add_f64 v[28:29], v[18:19], v[28:29]
	ds_read_b128 v[16:19], v34 offset:1280
	v_add_f64 v[30:31], v[30:31], v[20:21]
	s_waitcnt lgkmcnt(1)
	v_mul_f64 v[20:21], v[50:51], v[2:3]
	v_fma_f64 v[20:21], v[48:49], v[0:1], -v[20:21]
	v_mul_f64 v[22:23], v[48:49], v[2:3]
	v_add_f64 v[58:59], v[58:59], v[62:63]
	v_fmac_f64_e32 v[22:23], v[50:51], v[0:1]
	v_add_f64 v[56:57], v[56:57], v[20:21]
	s_waitcnt lgkmcnt(0)
	v_mul_f64 v[20:21], v[50:51], v[18:19]
	v_add_f64 v[58:59], v[22:23], v[58:59]
	v_fma_f64 v[24:25], v[48:49], v[16:17], -v[20:21]
	ds_read_b128 v[20:23], v35 offset:2080
	v_mul_f64 v[26:27], v[48:49], v[18:19]
	v_add_f64 v[42:43], v[42:43], v[60:61]
	v_fmac_f64_e32 v[26:27], v[50:51], v[16:17]
	v_add_f64 v[42:43], v[42:43], v[24:25]
	v_add_f64 v[40:41], v[26:27], v[40:41]
	ds_read_b128 v[24:27], v35 offset:2096
	s_waitcnt lgkmcnt(1)
	v_mul_f64 v[48:49], v[22:23], v[2:3]
	v_mul_f64 v[2:3], v[20:21], v[2:3]
	v_fma_f64 v[48:49], v[20:21], v[0:1], -v[48:49]
	v_fmac_f64_e32 v[2:3], v[22:23], v[0:1]
	v_mul_f64 v[0:1], v[22:23], v[18:19]
	v_mul_f64 v[18:19], v[20:21], v[18:19]
	v_fmac_f64_e32 v[18:19], v[22:23], v[16:17]
	v_add_f64 v[44:45], v[44:45], v[48:49]
	v_add_f64 v[46:47], v[2:3], v[46:47]
	v_fma_f64 v[48:49], v[20:21], v[16:17], -v[0:1]
	ds_read_b128 v[0:3], v34 offset:1536
	v_add_f64 v[22:23], v[18:19], v[28:29]
	ds_read_b128 v[16:19], v34 offset:1792
	v_add_f64 v[20:21], v[30:31], v[48:49]
	s_add_u32 s18, s18, 8
	s_waitcnt lgkmcnt(1)
	v_mul_f64 v[28:29], v[54:55], v[2:3]
	v_mul_f64 v[30:31], v[52:53], v[2:3]
	s_waitcnt lgkmcnt(0)
	v_mul_f64 v[48:49], v[54:55], v[18:19]
	v_fma_f64 v[48:49], v[52:53], v[16:17], -v[48:49]
	v_add_f64 v[42:43], v[42:43], v[48:49]
	v_mul_f64 v[48:49], v[26:27], v[2:3]
	v_mul_f64 v[2:3], v[24:25], v[2:3]
	v_fma_f64 v[28:29], v[52:53], v[0:1], -v[28:29]
	v_fmac_f64_e32 v[30:31], v[54:55], v[0:1]
	v_fma_f64 v[48:49], v[24:25], v[0:1], -v[48:49]
	v_fmac_f64_e32 v[2:3], v[26:27], v[0:1]
	v_mul_f64 v[0:1], v[26:27], v[18:19]
	v_mul_f64 v[50:51], v[52:53], v[18:19]
	v_add_f64 v[44:45], v[44:45], v[48:49]
	v_fma_f64 v[48:49], v[24:25], v[16:17], -v[0:1]
	v_mul_f64 v[24:25], v[24:25], v[18:19]
	v_fmac_f64_e32 v[50:51], v[54:55], v[16:17]
	v_add_f64 v[46:47], v[2:3], v[46:47]
	v_fmac_f64_e32 v[24:25], v[26:27], v[16:17]
	ds_read_b128 v[0:3], v35 offset:64
	ds_read_b128 v[16:19], v34 offset:2048
	v_add_f64 v[40:41], v[50:51], v[40:41]
	v_add_f64 v[48:49], v[20:21], v[48:49]
	;; [unrolled: 1-line block ×3, first 2 shown]
	ds_read_b128 v[20:23], v34 offset:2304
	ds_read_b128 v[24:27], v35 offset:80
	s_waitcnt lgkmcnt(2)
	v_mul_f64 v[52:53], v[2:3], v[18:19]
	v_add_f64 v[28:29], v[56:57], v[28:29]
	v_fma_f64 v[52:53], v[0:1], v[16:17], -v[52:53]
	v_mul_f64 v[54:55], v[0:1], v[18:19]
	v_add_f64 v[30:31], v[30:31], v[58:59]
	v_fmac_f64_e32 v[54:55], v[2:3], v[16:17]
	v_add_f64 v[52:53], v[28:29], v[52:53]
	s_waitcnt lgkmcnt(1)
	v_mul_f64 v[28:29], v[2:3], v[22:23]
	v_add_f64 v[54:55], v[54:55], v[30:31]
	v_fma_f64 v[56:57], v[0:1], v[20:21], -v[28:29]
	ds_read_b128 v[28:31], v35 offset:2112
	v_mul_f64 v[0:1], v[0:1], v[22:23]
	v_fmac_f64_e32 v[0:1], v[2:3], v[20:21]
	v_add_f64 v[42:43], v[42:43], v[56:57]
	v_add_f64 v[40:41], v[0:1], v[40:41]
	ds_read_b128 v[0:3], v35 offset:2128
	s_waitcnt lgkmcnt(1)
	v_mul_f64 v[56:57], v[30:31], v[18:19]
	v_mul_f64 v[18:19], v[28:29], v[18:19]
	v_fma_f64 v[56:57], v[28:29], v[16:17], -v[56:57]
	v_fmac_f64_e32 v[18:19], v[30:31], v[16:17]
	v_mul_f64 v[16:17], v[30:31], v[22:23]
	v_add_f64 v[44:45], v[44:45], v[56:57]
	v_add_f64 v[46:47], v[18:19], v[46:47]
	v_fma_f64 v[56:57], v[28:29], v[20:21], -v[16:17]
	v_mul_f64 v[22:23], v[28:29], v[22:23]
	ds_read_b128 v[16:19], v34 offset:2560
	v_fmac_f64_e32 v[22:23], v[30:31], v[20:21]
	v_add_f64 v[30:31], v[22:23], v[50:51]
	ds_read_b128 v[20:23], v34 offset:2816
	v_add_f64 v[28:29], v[48:49], v[56:57]
	s_waitcnt lgkmcnt(1)
	v_mul_f64 v[48:49], v[26:27], v[18:19]
	v_fma_f64 v[48:49], v[24:25], v[16:17], -v[48:49]
	v_add_f64 v[48:49], v[52:53], v[48:49]
	s_waitcnt lgkmcnt(0)
	v_mul_f64 v[52:53], v[26:27], v[22:23]
	v_mul_f64 v[50:51], v[24:25], v[18:19]
	v_fma_f64 v[52:53], v[24:25], v[20:21], -v[52:53]
	v_mul_f64 v[24:25], v[24:25], v[22:23]
	v_fmac_f64_e32 v[24:25], v[26:27], v[20:21]
	v_add_f64 v[40:41], v[24:25], v[40:41]
	v_mul_f64 v[24:25], v[2:3], v[18:19]
	v_mul_f64 v[18:19], v[0:1], v[18:19]
	v_fmac_f64_e32 v[50:51], v[26:27], v[16:17]
	v_fma_f64 v[24:25], v[0:1], v[16:17], -v[24:25]
	v_fmac_f64_e32 v[18:19], v[2:3], v[16:17]
	v_mul_f64 v[16:17], v[2:3], v[22:23]
	v_mul_f64 v[22:23], v[0:1], v[22:23]
	v_add_f64 v[44:45], v[44:45], v[24:25]
	v_add_f64 v[46:47], v[18:19], v[46:47]
	v_fma_f64 v[24:25], v[0:1], v[20:21], -v[16:17]
	v_fmac_f64_e32 v[22:23], v[2:3], v[20:21]
	ds_read_b128 v[0:3], v35 offset:96
	ds_read_b128 v[16:19], v34 offset:3072
	v_add_f64 v[50:51], v[50:51], v[54:55]
	v_add_f64 v[42:43], v[42:43], v[52:53]
	;; [unrolled: 1-line block ×4, first 2 shown]
	ds_read_b128 v[20:23], v34 offset:3328
	ds_read_b128 v[24:27], v35 offset:112
	s_waitcnt lgkmcnt(2)
	v_mul_f64 v[28:29], v[2:3], v[18:19]
	v_fma_f64 v[28:29], v[0:1], v[16:17], -v[28:29]
	v_mul_f64 v[30:31], v[0:1], v[18:19]
	v_fmac_f64_e32 v[30:31], v[2:3], v[16:17]
	v_add_f64 v[48:49], v[48:49], v[28:29]
	s_waitcnt lgkmcnt(1)
	v_mul_f64 v[28:29], v[2:3], v[22:23]
	v_add_f64 v[50:51], v[30:31], v[50:51]
	v_fma_f64 v[56:57], v[0:1], v[20:21], -v[28:29]
	ds_read_b128 v[28:31], v35 offset:2144
	v_mul_f64 v[0:1], v[0:1], v[22:23]
	v_fmac_f64_e32 v[0:1], v[2:3], v[20:21]
	v_add_f64 v[58:59], v[0:1], v[40:41]
	ds_read_b128 v[0:3], v35 offset:2160
	s_waitcnt lgkmcnt(1)
	v_mul_f64 v[40:41], v[30:31], v[18:19]
	v_mul_f64 v[18:19], v[28:29], v[18:19]
	v_fma_f64 v[40:41], v[28:29], v[16:17], -v[40:41]
	v_fmac_f64_e32 v[18:19], v[30:31], v[16:17]
	v_mul_f64 v[16:17], v[30:31], v[22:23]
	v_add_f64 v[44:45], v[44:45], v[40:41]
	v_add_f64 v[46:47], v[18:19], v[46:47]
	v_fma_f64 v[40:41], v[28:29], v[20:21], -v[16:17]
	ds_read_b128 v[16:19], v34 offset:3584
	v_add_f64 v[56:57], v[42:43], v[56:57]
	v_add_f64 v[52:53], v[52:53], v[40:41]
	ds_read_b128 v[40:43], v34 offset:3840
	v_mul_f64 v[22:23], v[28:29], v[22:23]
	v_fmac_f64_e32 v[22:23], v[30:31], v[20:21]
	s_waitcnt lgkmcnt(1)
	v_mul_f64 v[20:21], v[26:27], v[18:19]
	v_fma_f64 v[20:21], v[24:25], v[16:17], -v[20:21]
	v_add_f64 v[54:55], v[22:23], v[54:55]
	v_mul_f64 v[22:23], v[24:25], v[18:19]
	v_add_f64 v[28:29], v[48:49], v[20:21]
	s_waitcnt lgkmcnt(0)
	v_mul_f64 v[20:21], v[26:27], v[42:43]
	v_fmac_f64_e32 v[22:23], v[26:27], v[16:17]
	v_fma_f64 v[20:21], v[24:25], v[40:41], -v[20:21]
	v_add_f64 v[30:31], v[22:23], v[50:51]
	v_mul_f64 v[22:23], v[24:25], v[42:43]
	v_add_f64 v[24:25], v[56:57], v[20:21]
	v_mul_f64 v[20:21], v[2:3], v[18:19]
	v_mul_f64 v[18:19], v[0:1], v[18:19]
	v_fma_f64 v[20:21], v[0:1], v[16:17], -v[20:21]
	v_fmac_f64_e32 v[18:19], v[2:3], v[16:17]
	v_mul_f64 v[16:17], v[2:3], v[42:43]
	v_fma_f64 v[16:17], v[0:1], v[40:41], -v[16:17]
	v_mul_f64 v[0:1], v[0:1], v[42:43]
	v_fmac_f64_e32 v[22:23], v[26:27], v[40:41]
	v_fmac_f64_e32 v[0:1], v[2:3], v[40:41]
	s_addc_u32 s19, s19, 0
	v_add_f64 v[26:27], v[22:23], v[58:59]
	v_add_f64 v[22:23], v[18:19], v[46:47]
	;; [unrolled: 1-line block ×4, first 2 shown]
	v_mov_b64_e32 v[0:1], s[18:19]
	v_cmp_gt_i64_e32 vcc, s[8:9], v[0:1]
	v_add_f64 v[20:21], v[44:45], v[20:21]
	s_barrier
	s_cbranch_vccz .LBB569_16
.LBB569_8:                              ; =>This Inner Loop Header: Depth=1
	s_mov_b64 s[30:31], s[14:15]
	s_mov_b64 s[20:21], 0
	s_and_saveexec_b64 s[24:25], s[0:1]
	s_cbranch_execnz .LBB569_14
; %bb.9:                                ;   in Loop: Header=BB569_8 Depth=1
	s_or_b64 exec, exec, s[24:25]
	s_and_saveexec_b64 s[24:25], s[30:31]
	s_xor_b64 s[24:25], exec, s[24:25]
	s_cbranch_execnz .LBB569_15
.LBB569_10:                             ;   in Loop: Header=BB569_8 Depth=1
	s_or_b64 exec, exec, s[24:25]
	s_and_saveexec_b64 s[24:25], s[20:21]
	s_cbranch_execz .LBB569_12
.LBB569_11:                             ;   in Loop: Header=BB569_8 Depth=1
	v_mul_lo_u32 v2, s17, v14
	v_mul_lo_u32 v3, s16, v15
	v_mad_u64_u32 v[0:1], s[20:21], s16, v14, 0
	v_add3_u32 v1, v1, v3, v2
	v_lshl_add_u64 v[0:1], v[0:1], 4, v[8:9]
	flat_load_dwordx4 v[0:3], v[0:1]
	s_waitcnt vmcnt(0) lgkmcnt(0)
	ds_write2_b64 v32, v[0:1], v[2:3] offset1:1
.LBB569_12:                             ;   in Loop: Header=BB569_8 Depth=1
	s_or_b64 exec, exec, s[24:25]
	v_add_u32_e32 v12, s18, v4
	v_cmp_gt_u64_e32 vcc, s[8:9], v[12:13]
	s_and_b64 s[24:25], vcc, s[2:3]
	v_mov_b64_e32 v[0:1], 0
	v_mov_b64_e32 v[2:3], 0
	s_and_saveexec_b64 s[20:21], s[24:25]
	s_cbranch_execz .LBB569_7
; %bb.13:                               ;   in Loop: Header=BB569_8 Depth=1
	v_mad_u64_u32 v[0:1], s[24:25], s22, v12, 0
	v_mov_b32_e32 v2, v1
	v_mad_u64_u32 v[2:3], s[24:25], s23, v12, v[2:3]
	v_mov_b32_e32 v1, v2
	v_lshl_add_u64 v[0:1], v[0:1], 4, v[10:11]
	flat_load_dwordx4 v[0:3], v[0:1]
	s_waitcnt vmcnt(0) lgkmcnt(0)
	v_xor_b32_e32 v3, 0x80000000, v3
	s_branch .LBB569_7
.LBB569_14:                             ;   in Loop: Header=BB569_8 Depth=1
	v_add_u32_e32 v12, s18, v6
	v_cmp_le_u64_e32 vcc, s[8:9], v[12:13]
	s_andn2_b64 s[30:31], s[14:15], exec
	s_and_b64 s[40:41], vcc, exec
	s_mov_b64 s[20:21], exec
	s_or_b64 s[30:31], s[30:31], s[40:41]
	v_mov_b64_e32 v[14:15], v[12:13]
	s_or_b64 exec, exec, s[24:25]
	s_and_saveexec_b64 s[24:25], s[30:31]
	s_xor_b64 s[24:25], exec, s[24:25]
	s_cbranch_execz .LBB569_10
.LBB569_15:                             ;   in Loop: Header=BB569_8 Depth=1
	ds_write_b128 v32, v[36:39]
	s_andn2_b64 s[20:21], s[20:21], exec
	s_or_b64 exec, exec, s[24:25]
	s_and_saveexec_b64 s[24:25], s[20:21]
	s_cbranch_execnz .LBB569_11
	s_branch .LBB569_12
.LBB569_16:
	s_waitcnt lgkmcnt(0)
	s_lshl_b64 s[0:1], s[38:39], 4
	v_add_u32_e32 v10, s35, v7
	s_add_u32 s8, s4, s0
	v_ashrrev_i32_e32 v0, 31, v10
	s_addc_u32 s9, s5, s1
	v_cmp_neq_f64_e64 s[0:1], s[26:27], 0
	s_xor_b64 s[4:5], s[6:7], -1
	v_mul_lo_u32 v2, s36, v0
	v_mul_lo_u32 v3, s37, v10
	v_mad_u64_u32 v[0:1], s[2:3], s36, v10, 0
	v_add_u32_e32 v4, s34, v5
	v_add3_u32 v1, v1, v2, v3
	s_or_b64 s[0:1], s[0:1], s[4:5]
	v_lshl_add_u64 v[8:9], v[0:1], 4, s[8:9]
	v_cmp_le_i32_e32 vcc, v10, v4
	v_cmp_gt_i32_e64 s[2:3], s33, v4
	v_cndmask_b32_e64 v0, 0, 1, s[0:1]
	s_and_b64 s[6:7], vcc, s[2:3]
	v_ashrrev_i32_e32 v5, 31, v4
	v_cmp_ne_u32_e64 s[0:1], 1, v0
	s_and_saveexec_b64 s[4:5], s[6:7]
	s_cbranch_execz .LBB569_20
; %bb.17:
	v_mul_f64 v[0:1], s[12:13], v[30:31]
	v_mul_f64 v[2:3], s[10:11], v[30:31]
	v_fma_f64 v[0:1], s[10:11], v[28:29], -v[0:1]
	v_fmac_f64_e32 v[2:3], s[12:13], v[28:29]
	s_and_b64 vcc, exec, s[0:1]
	v_lshl_add_u64 v[6:7], v[4:5], 4, v[8:9]
	s_cbranch_vccnz .LBB569_19
; %bb.18:
	flat_load_dwordx4 v[12:15], v[6:7]
	s_waitcnt vmcnt(0) lgkmcnt(0)
	v_mul_f64 v[28:29], s[28:29], v[14:15]
	v_mul_f64 v[14:15], s[26:27], v[14:15]
	v_fma_f64 v[28:29], s[26:27], v[12:13], -v[28:29]
	v_fmac_f64_e32 v[14:15], s[28:29], v[12:13]
	v_add_f64 v[0:1], v[0:1], v[28:29]
	v_add_f64 v[2:3], v[2:3], v[14:15]
.LBB569_19:
	flat_store_dwordx4 v[6:7], v[0:3]
.LBB569_20:
	s_or_b64 exec, exec, s[4:5]
	v_add_u32_e32 v6, 16, v4
	v_cmp_le_i32_e32 vcc, v10, v6
	v_cmp_gt_i32_e64 s[4:5], s33, v6
	s_and_b64 s[14:15], vcc, s[4:5]
	v_ashrrev_i32_e32 v7, 31, v6
	s_and_saveexec_b64 s[6:7], s[14:15]
	s_cbranch_execz .LBB569_24
; %bb.21:
	v_mul_f64 v[0:1], s[12:13], v[26:27]
	v_mul_f64 v[2:3], s[10:11], v[26:27]
	v_fma_f64 v[0:1], s[10:11], v[24:25], -v[0:1]
	v_fmac_f64_e32 v[2:3], s[12:13], v[24:25]
	s_and_b64 vcc, exec, s[0:1]
	v_lshl_add_u64 v[8:9], v[6:7], 4, v[8:9]
	s_cbranch_vccnz .LBB569_23
; %bb.22:
	flat_load_dwordx4 v[12:15], v[8:9]
	s_waitcnt vmcnt(0) lgkmcnt(0)
	v_mul_f64 v[24:25], s[28:29], v[14:15]
	v_mul_f64 v[14:15], s[26:27], v[14:15]
	v_fma_f64 v[24:25], s[26:27], v[12:13], -v[24:25]
	v_fmac_f64_e32 v[14:15], s[28:29], v[12:13]
	v_add_f64 v[0:1], v[0:1], v[24:25]
	v_add_f64 v[2:3], v[2:3], v[14:15]
.LBB569_23:
	flat_store_dwordx4 v[8:9], v[0:3]
.LBB569_24:
	s_or_b64 exec, exec, s[6:7]
	v_add_u32_e32 v10, 16, v10
	v_ashrrev_i32_e32 v0, 31, v10
	v_mul_lo_u32 v2, s36, v0
	v_mul_lo_u32 v3, s37, v10
	v_mad_u64_u32 v[0:1], s[6:7], s36, v10, 0
	v_add3_u32 v1, v1, v2, v3
	v_cmp_le_i32_e32 vcc, v10, v4
	v_lshl_add_u64 v[8:9], v[0:1], 4, s[8:9]
	s_and_b64 s[6:7], vcc, s[2:3]
	s_and_saveexec_b64 s[2:3], s[6:7]
	s_cbranch_execz .LBB569_28
; %bb.25:
	v_mul_f64 v[0:1], s[12:13], v[22:23]
	v_mul_f64 v[2:3], s[10:11], v[22:23]
	v_fma_f64 v[0:1], s[10:11], v[20:21], -v[0:1]
	v_fmac_f64_e32 v[2:3], s[12:13], v[20:21]
	s_and_b64 vcc, exec, s[0:1]
	v_lshl_add_u64 v[4:5], v[4:5], 4, v[8:9]
	s_cbranch_vccnz .LBB569_27
; %bb.26:
	flat_load_dwordx4 v[12:15], v[4:5]
	s_waitcnt vmcnt(0) lgkmcnt(0)
	v_mul_f64 v[20:21], s[28:29], v[14:15]
	v_mul_f64 v[14:15], s[26:27], v[14:15]
	v_fma_f64 v[20:21], s[26:27], v[12:13], -v[20:21]
	v_fmac_f64_e32 v[14:15], s[28:29], v[12:13]
	v_add_f64 v[0:1], v[0:1], v[20:21]
	v_add_f64 v[2:3], v[2:3], v[14:15]
.LBB569_27:
	flat_store_dwordx4 v[4:5], v[0:3]
.LBB569_28:
	s_or_b64 exec, exec, s[2:3]
	v_cmp_le_i32_e32 vcc, v10, v6
	s_and_b64 s[2:3], vcc, s[4:5]
	s_and_saveexec_b64 s[4:5], s[2:3]
	s_cbranch_execz .LBB569_32
; %bb.29:
	v_mul_f64 v[0:1], s[12:13], v[16:17]
	v_mul_f64 v[2:3], s[10:11], v[16:17]
	v_fma_f64 v[0:1], s[10:11], v[18:19], -v[0:1]
	v_fmac_f64_e32 v[2:3], s[12:13], v[18:19]
	s_and_b64 vcc, exec, s[0:1]
	v_lshl_add_u64 v[4:5], v[6:7], 4, v[8:9]
	s_cbranch_vccnz .LBB569_31
; %bb.30:
	flat_load_dwordx4 v[6:9], v[4:5]
	s_waitcnt vmcnt(0) lgkmcnt(0)
	v_mul_f64 v[10:11], s[28:29], v[8:9]
	v_mul_f64 v[8:9], s[26:27], v[8:9]
	v_fma_f64 v[10:11], s[26:27], v[6:7], -v[10:11]
	v_fmac_f64_e32 v[8:9], s[28:29], v[6:7]
	v_add_f64 v[0:1], v[0:1], v[10:11]
	v_add_f64 v[2:3], v[2:3], v[8:9]
.LBB569_31:
	flat_store_dwordx4 v[4:5], v[0:3]
.LBB569_32:
	s_endpgm
	.section	.rodata,"a",@progbits
	.p2align	6, 0x0
	.amdhsa_kernel _ZL29rocblas_internal_gemmt_kernelIlLi16ELi32ELi8ELc78ELc67ELc76ELb0ELb1E19rocblas_complex_numIdES1_PKPKS1_PKPS1_EviT_T9_T10_S9_lSB_S9_lSA_T11_S9_li
		.amdhsa_group_segment_fixed_size 8192
		.amdhsa_private_segment_fixed_size 0
		.amdhsa_kernarg_size 124
		.amdhsa_user_sgpr_count 2
		.amdhsa_user_sgpr_dispatch_ptr 0
		.amdhsa_user_sgpr_queue_ptr 0
		.amdhsa_user_sgpr_kernarg_segment_ptr 1
		.amdhsa_user_sgpr_dispatch_id 0
		.amdhsa_user_sgpr_kernarg_preload_length 0
		.amdhsa_user_sgpr_kernarg_preload_offset 0
		.amdhsa_user_sgpr_private_segment_size 0
		.amdhsa_uses_dynamic_stack 0
		.amdhsa_enable_private_segment 0
		.amdhsa_system_sgpr_workgroup_id_x 1
		.amdhsa_system_sgpr_workgroup_id_y 1
		.amdhsa_system_sgpr_workgroup_id_z 1
		.amdhsa_system_sgpr_workgroup_info 0
		.amdhsa_system_vgpr_workitem_id 1
		.amdhsa_next_free_vgpr 66
		.amdhsa_next_free_sgpr 42
		.amdhsa_accum_offset 68
		.amdhsa_reserve_vcc 1
		.amdhsa_float_round_mode_32 0
		.amdhsa_float_round_mode_16_64 0
		.amdhsa_float_denorm_mode_32 3
		.amdhsa_float_denorm_mode_16_64 3
		.amdhsa_dx10_clamp 1
		.amdhsa_ieee_mode 1
		.amdhsa_fp16_overflow 0
		.amdhsa_tg_split 0
		.amdhsa_exception_fp_ieee_invalid_op 0
		.amdhsa_exception_fp_denorm_src 0
		.amdhsa_exception_fp_ieee_div_zero 0
		.amdhsa_exception_fp_ieee_overflow 0
		.amdhsa_exception_fp_ieee_underflow 0
		.amdhsa_exception_fp_ieee_inexact 0
		.amdhsa_exception_int_div_zero 0
	.end_amdhsa_kernel
	.section	.text._ZL29rocblas_internal_gemmt_kernelIlLi16ELi32ELi8ELc78ELc67ELc76ELb0ELb1E19rocblas_complex_numIdES1_PKPKS1_PKPS1_EviT_T9_T10_S9_lSB_S9_lSA_T11_S9_li,"axG",@progbits,_ZL29rocblas_internal_gemmt_kernelIlLi16ELi32ELi8ELc78ELc67ELc76ELb0ELb1E19rocblas_complex_numIdES1_PKPKS1_PKPS1_EviT_T9_T10_S9_lSB_S9_lSA_T11_S9_li,comdat
.Lfunc_end569:
	.size	_ZL29rocblas_internal_gemmt_kernelIlLi16ELi32ELi8ELc78ELc67ELc76ELb0ELb1E19rocblas_complex_numIdES1_PKPKS1_PKPS1_EviT_T9_T10_S9_lSB_S9_lSA_T11_S9_li, .Lfunc_end569-_ZL29rocblas_internal_gemmt_kernelIlLi16ELi32ELi8ELc78ELc67ELc76ELb0ELb1E19rocblas_complex_numIdES1_PKPKS1_PKPS1_EviT_T9_T10_S9_lSB_S9_lSA_T11_S9_li
                                        ; -- End function
	.set _ZL29rocblas_internal_gemmt_kernelIlLi16ELi32ELi8ELc78ELc67ELc76ELb0ELb1E19rocblas_complex_numIdES1_PKPKS1_PKPS1_EviT_T9_T10_S9_lSB_S9_lSA_T11_S9_li.num_vgpr, 66
	.set _ZL29rocblas_internal_gemmt_kernelIlLi16ELi32ELi8ELc78ELc67ELc76ELb0ELb1E19rocblas_complex_numIdES1_PKPKS1_PKPS1_EviT_T9_T10_S9_lSB_S9_lSA_T11_S9_li.num_agpr, 0
	.set _ZL29rocblas_internal_gemmt_kernelIlLi16ELi32ELi8ELc78ELc67ELc76ELb0ELb1E19rocblas_complex_numIdES1_PKPKS1_PKPS1_EviT_T9_T10_S9_lSB_S9_lSA_T11_S9_li.numbered_sgpr, 42
	.set _ZL29rocblas_internal_gemmt_kernelIlLi16ELi32ELi8ELc78ELc67ELc76ELb0ELb1E19rocblas_complex_numIdES1_PKPKS1_PKPS1_EviT_T9_T10_S9_lSB_S9_lSA_T11_S9_li.num_named_barrier, 0
	.set _ZL29rocblas_internal_gemmt_kernelIlLi16ELi32ELi8ELc78ELc67ELc76ELb0ELb1E19rocblas_complex_numIdES1_PKPKS1_PKPS1_EviT_T9_T10_S9_lSB_S9_lSA_T11_S9_li.private_seg_size, 0
	.set _ZL29rocblas_internal_gemmt_kernelIlLi16ELi32ELi8ELc78ELc67ELc76ELb0ELb1E19rocblas_complex_numIdES1_PKPKS1_PKPS1_EviT_T9_T10_S9_lSB_S9_lSA_T11_S9_li.uses_vcc, 1
	.set _ZL29rocblas_internal_gemmt_kernelIlLi16ELi32ELi8ELc78ELc67ELc76ELb0ELb1E19rocblas_complex_numIdES1_PKPKS1_PKPS1_EviT_T9_T10_S9_lSB_S9_lSA_T11_S9_li.uses_flat_scratch, 0
	.set _ZL29rocblas_internal_gemmt_kernelIlLi16ELi32ELi8ELc78ELc67ELc76ELb0ELb1E19rocblas_complex_numIdES1_PKPKS1_PKPS1_EviT_T9_T10_S9_lSB_S9_lSA_T11_S9_li.has_dyn_sized_stack, 0
	.set _ZL29rocblas_internal_gemmt_kernelIlLi16ELi32ELi8ELc78ELc67ELc76ELb0ELb1E19rocblas_complex_numIdES1_PKPKS1_PKPS1_EviT_T9_T10_S9_lSB_S9_lSA_T11_S9_li.has_recursion, 0
	.set _ZL29rocblas_internal_gemmt_kernelIlLi16ELi32ELi8ELc78ELc67ELc76ELb0ELb1E19rocblas_complex_numIdES1_PKPKS1_PKPS1_EviT_T9_T10_S9_lSB_S9_lSA_T11_S9_li.has_indirect_call, 0
	.section	.AMDGPU.csdata,"",@progbits
; Kernel info:
; codeLenInByte = 3228
; TotalNumSgprs: 48
; NumVgprs: 66
; NumAgprs: 0
; TotalNumVgprs: 66
; ScratchSize: 0
; MemoryBound: 1
; FloatMode: 240
; IeeeMode: 1
; LDSByteSize: 8192 bytes/workgroup (compile time only)
; SGPRBlocks: 5
; VGPRBlocks: 8
; NumSGPRsForWavesPerEU: 48
; NumVGPRsForWavesPerEU: 66
; AccumOffset: 68
; Occupancy: 7
; WaveLimiterHint : 1
; COMPUTE_PGM_RSRC2:SCRATCH_EN: 0
; COMPUTE_PGM_RSRC2:USER_SGPR: 2
; COMPUTE_PGM_RSRC2:TRAP_HANDLER: 0
; COMPUTE_PGM_RSRC2:TGID_X_EN: 1
; COMPUTE_PGM_RSRC2:TGID_Y_EN: 1
; COMPUTE_PGM_RSRC2:TGID_Z_EN: 1
; COMPUTE_PGM_RSRC2:TIDIG_COMP_CNT: 1
; COMPUTE_PGM_RSRC3_GFX90A:ACCUM_OFFSET: 16
; COMPUTE_PGM_RSRC3_GFX90A:TG_SPLIT: 0
	.section	.text._ZL29rocblas_internal_gemmt_kernelIlLi16ELi32ELi8ELc84ELc78ELc76ELb0ELb0E19rocblas_complex_numIdES1_PKPKS1_PKPS1_EviT_T9_T10_S9_lSB_S9_lSA_T11_S9_li,"axG",@progbits,_ZL29rocblas_internal_gemmt_kernelIlLi16ELi32ELi8ELc84ELc78ELc76ELb0ELb0E19rocblas_complex_numIdES1_PKPKS1_PKPS1_EviT_T9_T10_S9_lSB_S9_lSA_T11_S9_li,comdat
	.globl	_ZL29rocblas_internal_gemmt_kernelIlLi16ELi32ELi8ELc84ELc78ELc76ELb0ELb0E19rocblas_complex_numIdES1_PKPKS1_PKPS1_EviT_T9_T10_S9_lSB_S9_lSA_T11_S9_li ; -- Begin function _ZL29rocblas_internal_gemmt_kernelIlLi16ELi32ELi8ELc84ELc78ELc76ELb0ELb0E19rocblas_complex_numIdES1_PKPKS1_PKPS1_EviT_T9_T10_S9_lSB_S9_lSA_T11_S9_li
	.p2align	8
	.type	_ZL29rocblas_internal_gemmt_kernelIlLi16ELi32ELi8ELc84ELc78ELc76ELb0ELb0E19rocblas_complex_numIdES1_PKPKS1_PKPS1_EviT_T9_T10_S9_lSB_S9_lSA_T11_S9_li,@function
_ZL29rocblas_internal_gemmt_kernelIlLi16ELi32ELi8ELc84ELc78ELc76ELb0ELb0E19rocblas_complex_numIdES1_PKPKS1_PKPS1_EviT_T9_T10_S9_lSB_S9_lSA_T11_S9_li: ; @_ZL29rocblas_internal_gemmt_kernelIlLi16ELi32ELi8ELc84ELc78ELc76ELb0ELb0E19rocblas_complex_numIdES1_PKPKS1_PKPS1_EviT_T9_T10_S9_lSB_S9_lSA_T11_S9_li
; %bb.0:
	s_load_dwordx8 s[24:31], s[0:1], 0x48
	s_load_dwordx16 s[8:23], s[0:1], 0x8
	s_mov_b64 s[34:35], 0
	s_waitcnt lgkmcnt(0)
	v_cmp_eq_f64_e64 s[36:37], s[26:27], 1.0
	v_cmp_eq_f64_e64 s[6:7], s[28:29], 0
	s_and_b64 s[36:37], s[36:37], s[6:7]
	s_andn2_b64 vcc, exec, s[36:37]
	s_mov_b64 s[36:37], -1
	s_cbranch_vccnz .LBB570_4
; %bb.1:
	s_cmp_lg_u64 s[8:9], 0
	s_cbranch_scc0 .LBB570_3
; %bb.2:
	v_cmp_neq_f64_e64 s[34:35], s[10:11], 0
	v_cmp_neq_f64_e64 s[36:37], s[12:13], 0
	s_or_b64 s[34:35], s[34:35], s[36:37]
.LBB570_3:
	s_mov_b64 s[36:37], s[34:35]
.LBB570_4:
	s_and_b64 vcc, exec, s[36:37]
	s_cbranch_vccz .LBB570_34
; %bb.5:
	s_mov_b32 s5, 0
	s_load_dwordx4 s[36:39], s[0:1], 0x68
	s_load_dword s33, s[0:1], 0x0
	s_lshl_b64 s[0:1], s[4:5], 3
	s_add_u32 s4, s30, s0
	s_addc_u32 s5, s31, s1
	s_load_dwordx2 s[4:5], s[4:5], 0x0
	s_lshl_b32 s30, s2, 5
	s_lshl_b32 s31, s3, 5
	v_cmp_eq_f64_e64 s[2:3], s[10:11], 0
	v_cmp_eq_f64_e64 s[34:35], s[12:13], 0
	s_and_b64 s[2:3], s[2:3], s[34:35]
	v_cmp_lt_i64_e64 s[34:35], s[8:9], 1
	s_or_b64 s[2:3], s[2:3], s[34:35]
	v_and_b32_e32 v1, 0x3ff, v0
	v_bfe_u32 v3, v0, 10, 10
	v_mov_b64_e32 v[24:25], 0
	s_and_b64 vcc, exec, s[2:3]
	v_mov_b64_e32 v[26:27], 0
	v_mov_b64_e32 v[20:21], 0
	;; [unrolled: 1-line block ×7, first 2 shown]
	s_cbranch_vccnz .LBB570_18
; %bb.6:
	s_add_u32 s2, s20, s0
	s_addc_u32 s3, s21, s1
	s_load_dwordx2 s[2:3], s[2:3], 0x0
	s_lshl_b64 s[20:21], s[24:25], 4
	v_lshl_add_u32 v4, v3, 4, v1
	v_lshrrev_b32_e32 v2, 5, v4
	v_lshrrev_b32_e32 v6, 3, v4
	s_waitcnt lgkmcnt(0)
	s_add_u32 s20, s2, s20
	s_addc_u32 s21, s3, s21
	s_add_u32 s0, s14, s0
	s_addc_u32 s1, s15, s1
	s_load_dwordx2 s[0:1], s[0:1], 0x0
	s_lshl_b64 s[2:3], s[18:19], 4
	v_and_b32_e32 v4, 31, v4
	v_or_b32_e32 v5, s30, v4
	v_lshlrev_b32_e32 v4, 4, v4
	s_waitcnt lgkmcnt(0)
	s_add_u32 s14, s0, s2
	s_addc_u32 s15, s1, s3
	s_ashr_i32 s24, s30, 31
	v_and_b32_e32 v0, 7, v1
	v_cmp_gt_i32_e64 s[0:1], s33, v5
	v_cmp_le_i32_e64 s[2:3], s33, v5
	v_lshl_or_b32 v28, v2, 9, v4
	v_mul_lo_u32 v8, s17, v5
	v_mad_u64_u32 v[4:5], s[18:19], s16, v5, 0
	s_mul_i32 s16, s16, s24
	v_add3_u32 v5, v5, s16, v8
	v_lshlrev_b32_e32 v8, 4, v0
	v_add_u32_e32 v7, s31, v6
	v_lshl_or_b32 v6, v6, 7, v8
	v_add_u32_e32 v29, 0x1000, v6
	v_ashrrev_i32_e32 v6, 31, v7
	v_lshl_add_u64 v[4:5], v[4:5], 4, s[14:15]
	v_cmp_gt_i32_e32 vcc, s33, v7
	v_mul_lo_u32 v8, s22, v6
	v_mul_lo_u32 v9, s23, v7
	v_mad_u64_u32 v[6:7], s[14:15], s22, v7, 0
	v_add3_u32 v7, v7, v8, v9
	v_mov_b32_e32 v8, 0x1000
	v_mov_b32_e32 v9, 0
	v_lshl_add_u64 v[6:7], v[6:7], 4, s[20:21]
	v_lshlrev_b32_e32 v30, 4, v1
	v_lshl_add_u32 v31, v3, 7, v8
	v_mov_b64_e32 v[12:13], 0
	s_mov_b64 s[14:15], 0
	s_xor_b64 s[16:17], vcc, -1
	v_mov_b32_e32 v32, v9
	v_mov_b32_e32 v33, v9
	;; [unrolled: 1-line block ×4, first 2 shown]
	v_mov_b64_e32 v[14:15], 0
	v_mov_b64_e32 v[18:19], 0
	;; [unrolled: 1-line block ×7, first 2 shown]
                                        ; implicit-def: $vgpr10_vgpr11
	s_branch .LBB570_8
.LBB570_7:                              ;   in Loop: Header=BB570_8 Depth=1
	s_or_b64 exec, exec, s[18:19]
	s_waitcnt lgkmcnt(0)
	s_barrier
	ds_read_b128 v[36:39], v30
	ds_read_b128 v[40:43], v31
	ds_read_b128 v[44:47], v31 offset:16
	ds_read_b128 v[48:51], v31 offset:32
	;; [unrolled: 1-line block ×4, first 2 shown]
	s_waitcnt lgkmcnt(4)
	v_mul_f64 v[60:61], v[42:43], v[38:39]
	v_fma_f64 v[60:61], v[40:41], v[36:37], -v[60:61]
	v_mul_f64 v[62:63], v[40:41], v[38:39]
	v_fmac_f64_e32 v[62:63], v[42:43], v[36:37]
	v_add_f64 v[60:61], v[24:25], v[60:61]
	s_waitcnt lgkmcnt(0)
	v_mul_f64 v[24:25], v[42:43], v[58:59]
	v_add_f64 v[62:63], v[62:63], v[26:27]
	v_fma_f64 v[64:65], v[40:41], v[56:57], -v[24:25]
	ds_read_b128 v[24:27], v31 offset:2048
	v_mul_f64 v[40:41], v[40:41], v[58:59]
	v_fmac_f64_e32 v[40:41], v[42:43], v[56:57]
	v_add_f64 v[42:43], v[20:21], v[64:65]
	v_add_f64 v[40:41], v[40:41], v[22:23]
	ds_read_b128 v[20:23], v31 offset:2064
	s_waitcnt lgkmcnt(1)
	v_mul_f64 v[64:65], v[26:27], v[38:39]
	v_fma_f64 v[64:65], v[24:25], v[36:37], -v[64:65]
	v_mul_f64 v[38:39], v[24:25], v[38:39]
	v_fmac_f64_e32 v[38:39], v[26:27], v[36:37]
	v_add_f64 v[36:37], v[16:17], v[64:65]
	v_mul_f64 v[16:17], v[26:27], v[58:59]
	v_add_f64 v[38:39], v[38:39], v[18:19]
	v_fma_f64 v[64:65], v[24:25], v[56:57], -v[16:17]
	v_mul_f64 v[24:25], v[24:25], v[58:59]
	ds_read_b128 v[16:19], v30 offset:512
	v_fmac_f64_e32 v[24:25], v[26:27], v[56:57]
	v_add_f64 v[26:27], v[14:15], v[64:65]
	v_add_f64 v[24:25], v[24:25], v[12:13]
	ds_read_b128 v[12:15], v30 offset:768
	s_waitcnt lgkmcnt(1)
	v_mul_f64 v[56:57], v[46:47], v[18:19]
	v_fma_f64 v[56:57], v[44:45], v[16:17], -v[56:57]
	v_add_f64 v[56:57], v[60:61], v[56:57]
	v_mul_f64 v[58:59], v[44:45], v[18:19]
	s_waitcnt lgkmcnt(0)
	v_mul_f64 v[60:61], v[46:47], v[14:15]
	v_fma_f64 v[60:61], v[44:45], v[12:13], -v[60:61]
	v_mul_f64 v[44:45], v[44:45], v[14:15]
	v_fmac_f64_e32 v[44:45], v[46:47], v[12:13]
	v_add_f64 v[40:41], v[44:45], v[40:41]
	v_mul_f64 v[44:45], v[22:23], v[18:19]
	v_mul_f64 v[18:19], v[20:21], v[18:19]
	v_fmac_f64_e32 v[58:59], v[46:47], v[16:17]
	v_fma_f64 v[44:45], v[20:21], v[16:17], -v[44:45]
	v_fmac_f64_e32 v[18:19], v[22:23], v[16:17]
	v_mul_f64 v[16:17], v[22:23], v[14:15]
	v_add_f64 v[46:47], v[18:19], v[38:39]
	v_fma_f64 v[18:19], v[20:21], v[12:13], -v[16:17]
	v_mul_f64 v[20:21], v[20:21], v[14:15]
	ds_read_b128 v[14:17], v30 offset:1024
	v_fmac_f64_e32 v[20:21], v[22:23], v[12:13]
	v_add_f64 v[42:43], v[42:43], v[60:61]
	v_add_f64 v[26:27], v[26:27], v[18:19]
	;; [unrolled: 1-line block ×3, first 2 shown]
	ds_read_b128 v[18:21], v30 offset:1280
	s_waitcnt lgkmcnt(1)
	v_mul_f64 v[22:23], v[48:49], v[16:17]
	v_add_f64 v[58:59], v[58:59], v[62:63]
	v_fmac_f64_e32 v[22:23], v[50:51], v[14:15]
	v_add_f64 v[58:59], v[22:23], v[58:59]
	ds_read_b128 v[22:25], v31 offset:2080
	v_mul_f64 v[12:13], v[50:51], v[16:17]
	v_fma_f64 v[12:13], v[48:49], v[14:15], -v[12:13]
	v_add_f64 v[44:45], v[36:37], v[44:45]
	v_add_f64 v[56:57], v[56:57], v[12:13]
	s_waitcnt lgkmcnt(1)
	v_mul_f64 v[12:13], v[50:51], v[20:21]
	v_mul_f64 v[36:37], v[48:49], v[20:21]
	v_fma_f64 v[12:13], v[48:49], v[18:19], -v[12:13]
	v_fmac_f64_e32 v[36:37], v[50:51], v[18:19]
	v_add_f64 v[42:43], v[42:43], v[12:13]
	v_add_f64 v[40:41], v[36:37], v[40:41]
	ds_read_b128 v[36:39], v31 offset:2096
	s_waitcnt lgkmcnt(1)
	v_mul_f64 v[12:13], v[24:25], v[16:17]
	v_fma_f64 v[12:13], v[22:23], v[14:15], -v[12:13]
	v_mul_f64 v[16:17], v[22:23], v[16:17]
	v_fmac_f64_e32 v[16:17], v[24:25], v[14:15]
	v_add_f64 v[44:45], v[44:45], v[12:13]
	v_mul_f64 v[12:13], v[24:25], v[20:21]
	v_add_f64 v[46:47], v[16:17], v[46:47]
	v_fma_f64 v[16:17], v[22:23], v[18:19], -v[12:13]
	ds_read_b128 v[12:15], v30 offset:1536
	v_mul_f64 v[20:21], v[22:23], v[20:21]
	v_fmac_f64_e32 v[20:21], v[24:25], v[18:19]
	v_add_f64 v[22:23], v[26:27], v[16:17]
	ds_read_b128 v[16:19], v30 offset:1792
	s_waitcnt lgkmcnt(1)
	v_mul_f64 v[24:25], v[54:55], v[14:15]
	v_fma_f64 v[24:25], v[52:53], v[12:13], -v[24:25]
	v_mul_f64 v[26:27], v[52:53], v[14:15]
	v_fmac_f64_e32 v[26:27], v[54:55], v[12:13]
	v_add_f64 v[48:49], v[56:57], v[24:25]
	s_waitcnt lgkmcnt(0)
	v_mul_f64 v[24:25], v[54:55], v[18:19]
	v_add_f64 v[50:51], v[26:27], v[58:59]
	v_fma_f64 v[24:25], v[52:53], v[16:17], -v[24:25]
	v_mul_f64 v[26:27], v[52:53], v[18:19]
	v_fmac_f64_e32 v[26:27], v[54:55], v[16:17]
	v_add_f64 v[42:43], v[42:43], v[24:25]
	v_mul_f64 v[24:25], v[38:39], v[14:15]
	v_mul_f64 v[14:15], v[36:37], v[14:15]
	v_add_f64 v[40:41], v[26:27], v[40:41]
	v_fma_f64 v[24:25], v[36:37], v[12:13], -v[24:25]
	v_fmac_f64_e32 v[14:15], v[38:39], v[12:13]
	v_mul_f64 v[12:13], v[38:39], v[18:19]
	v_mul_f64 v[26:27], v[36:37], v[18:19]
	v_add_f64 v[44:45], v[44:45], v[24:25]
	v_add_f64 v[46:47], v[14:15], v[46:47]
	v_fma_f64 v[24:25], v[36:37], v[16:17], -v[12:13]
	v_fmac_f64_e32 v[26:27], v[38:39], v[16:17]
	ds_read_b128 v[12:15], v31 offset:64
	ds_read_b128 v[16:19], v30 offset:2048
	v_add_f64 v[20:21], v[20:21], v[60:61]
	v_add_f64 v[52:53], v[22:23], v[24:25]
	;; [unrolled: 1-line block ×3, first 2 shown]
	ds_read_b128 v[20:23], v30 offset:2304
	ds_read_b128 v[24:27], v31 offset:80
	s_waitcnt lgkmcnt(2)
	v_mul_f64 v[36:37], v[14:15], v[18:19]
	v_fma_f64 v[36:37], v[12:13], v[16:17], -v[36:37]
	v_mul_f64 v[38:39], v[12:13], v[18:19]
	v_fmac_f64_e32 v[38:39], v[14:15], v[16:17]
	v_add_f64 v[48:49], v[48:49], v[36:37]
	s_waitcnt lgkmcnt(1)
	v_mul_f64 v[36:37], v[14:15], v[22:23]
	v_add_f64 v[50:51], v[38:39], v[50:51]
	v_fma_f64 v[56:57], v[12:13], v[20:21], -v[36:37]
	ds_read_b128 v[36:39], v31 offset:2112
	v_mul_f64 v[12:13], v[12:13], v[22:23]
	v_fmac_f64_e32 v[12:13], v[14:15], v[20:21]
	v_add_f64 v[42:43], v[42:43], v[56:57]
	v_add_f64 v[40:41], v[12:13], v[40:41]
	ds_read_b128 v[12:15], v31 offset:2128
	s_waitcnt lgkmcnt(1)
	v_mul_f64 v[56:57], v[38:39], v[18:19]
	v_mul_f64 v[18:19], v[36:37], v[18:19]
	v_fma_f64 v[56:57], v[36:37], v[16:17], -v[56:57]
	v_fmac_f64_e32 v[18:19], v[38:39], v[16:17]
	v_mul_f64 v[16:17], v[38:39], v[22:23]
	v_add_f64 v[44:45], v[44:45], v[56:57]
	v_add_f64 v[46:47], v[18:19], v[46:47]
	v_fma_f64 v[56:57], v[36:37], v[20:21], -v[16:17]
	v_mul_f64 v[22:23], v[36:37], v[22:23]
	ds_read_b128 v[16:19], v30 offset:2560
	v_fmac_f64_e32 v[22:23], v[38:39], v[20:21]
	v_add_f64 v[38:39], v[22:23], v[54:55]
	ds_read_b128 v[20:23], v30 offset:2816
	v_add_f64 v[36:37], v[52:53], v[56:57]
	s_waitcnt lgkmcnt(1)
	v_mul_f64 v[52:53], v[26:27], v[18:19]
	v_fma_f64 v[52:53], v[24:25], v[16:17], -v[52:53]
	v_add_f64 v[48:49], v[48:49], v[52:53]
	s_waitcnt lgkmcnt(0)
	v_mul_f64 v[52:53], v[26:27], v[22:23]
	v_mul_f64 v[54:55], v[24:25], v[18:19]
	v_fma_f64 v[52:53], v[24:25], v[20:21], -v[52:53]
	v_mul_f64 v[24:25], v[24:25], v[22:23]
	v_fmac_f64_e32 v[24:25], v[26:27], v[20:21]
	v_add_f64 v[40:41], v[24:25], v[40:41]
	v_mul_f64 v[24:25], v[14:15], v[18:19]
	v_mul_f64 v[18:19], v[12:13], v[18:19]
	v_fmac_f64_e32 v[54:55], v[26:27], v[16:17]
	v_fma_f64 v[24:25], v[12:13], v[16:17], -v[24:25]
	v_fmac_f64_e32 v[18:19], v[14:15], v[16:17]
	v_mul_f64 v[16:17], v[14:15], v[22:23]
	v_mul_f64 v[22:23], v[12:13], v[22:23]
	v_add_f64 v[44:45], v[44:45], v[24:25]
	v_add_f64 v[46:47], v[18:19], v[46:47]
	v_fma_f64 v[24:25], v[12:13], v[20:21], -v[16:17]
	v_fmac_f64_e32 v[22:23], v[14:15], v[20:21]
	ds_read_b128 v[12:15], v31 offset:96
	ds_read_b128 v[16:19], v30 offset:3072
	v_add_f64 v[50:51], v[54:55], v[50:51]
	v_add_f64 v[42:43], v[42:43], v[52:53]
	;; [unrolled: 1-line block ×4, first 2 shown]
	ds_read_b128 v[20:23], v30 offset:3328
	ds_read_b128 v[36:39], v31 offset:112
	s_waitcnt lgkmcnt(2)
	v_mul_f64 v[24:25], v[14:15], v[18:19]
	v_fma_f64 v[24:25], v[12:13], v[16:17], -v[24:25]
	v_mul_f64 v[26:27], v[12:13], v[18:19]
	v_fmac_f64_e32 v[26:27], v[14:15], v[16:17]
	v_add_f64 v[48:49], v[48:49], v[24:25]
	s_waitcnt lgkmcnt(1)
	v_mul_f64 v[24:25], v[14:15], v[22:23]
	v_add_f64 v[50:51], v[26:27], v[50:51]
	v_fma_f64 v[56:57], v[12:13], v[20:21], -v[24:25]
	ds_read_b128 v[24:27], v31 offset:2144
	v_mul_f64 v[12:13], v[12:13], v[22:23]
	v_fmac_f64_e32 v[12:13], v[14:15], v[20:21]
	v_add_f64 v[58:59], v[12:13], v[40:41]
	ds_read_b128 v[12:15], v31 offset:2160
	s_waitcnt lgkmcnt(1)
	v_mul_f64 v[40:41], v[26:27], v[18:19]
	v_mul_f64 v[18:19], v[24:25], v[18:19]
	v_fma_f64 v[40:41], v[24:25], v[16:17], -v[40:41]
	v_fmac_f64_e32 v[18:19], v[26:27], v[16:17]
	v_mul_f64 v[16:17], v[26:27], v[22:23]
	v_add_f64 v[44:45], v[44:45], v[40:41]
	v_add_f64 v[46:47], v[18:19], v[46:47]
	v_fma_f64 v[40:41], v[24:25], v[20:21], -v[16:17]
	ds_read_b128 v[16:19], v30 offset:3584
	v_add_f64 v[56:57], v[42:43], v[56:57]
	v_add_f64 v[52:53], v[52:53], v[40:41]
	ds_read_b128 v[40:43], v30 offset:3840
	v_mul_f64 v[22:23], v[24:25], v[22:23]
	v_fmac_f64_e32 v[22:23], v[26:27], v[20:21]
	s_waitcnt lgkmcnt(1)
	v_mul_f64 v[20:21], v[38:39], v[18:19]
	v_add_f64 v[54:55], v[22:23], v[54:55]
	v_fma_f64 v[20:21], v[36:37], v[16:17], -v[20:21]
	v_mul_f64 v[22:23], v[36:37], v[18:19]
	v_fmac_f64_e32 v[22:23], v[38:39], v[16:17]
	v_add_f64 v[24:25], v[48:49], v[20:21]
	s_waitcnt lgkmcnt(0)
	v_mul_f64 v[20:21], v[38:39], v[42:43]
	v_add_f64 v[26:27], v[22:23], v[50:51]
	v_fma_f64 v[20:21], v[36:37], v[40:41], -v[20:21]
	v_mul_f64 v[22:23], v[36:37], v[42:43]
	v_mul_f64 v[36:37], v[14:15], v[18:19]
	v_fma_f64 v[36:37], v[12:13], v[16:17], -v[36:37]
	v_mul_f64 v[18:19], v[12:13], v[18:19]
	v_fmac_f64_e32 v[18:19], v[14:15], v[16:17]
	v_add_f64 v[16:17], v[44:45], v[36:37]
	v_mul_f64 v[36:37], v[14:15], v[42:43]
	s_add_u32 s14, s14, 8
	v_fma_f64 v[36:37], v[12:13], v[40:41], -v[36:37]
	v_mul_f64 v[12:13], v[12:13], v[42:43]
	s_addc_u32 s15, s15, 0
	v_fmac_f64_e32 v[12:13], v[14:15], v[40:41]
	v_add_f64 v[14:15], v[52:53], v[36:37]
	v_mov_b64_e32 v[36:37], s[14:15]
	v_fmac_f64_e32 v[22:23], v[38:39], v[40:41]
	v_cmp_gt_i64_e32 vcc, s[8:9], v[36:37]
	v_add_f64 v[20:21], v[56:57], v[20:21]
	v_add_f64 v[22:23], v[22:23], v[58:59]
	;; [unrolled: 1-line block ×4, first 2 shown]
	s_barrier
	s_cbranch_vccz .LBB570_18
.LBB570_8:                              ; =>This Inner Loop Header: Depth=1
	s_mov_b64 s[22:23], s[2:3]
	s_mov_b64 s[18:19], 0
	s_and_saveexec_b64 s[20:21], s[0:1]
	s_cbranch_execnz .LBB570_16
; %bb.9:                                ;   in Loop: Header=BB570_8 Depth=1
	s_or_b64 exec, exec, s[20:21]
	s_and_saveexec_b64 s[20:21], s[22:23]
	s_xor_b64 s[20:21], exec, s[20:21]
	s_cbranch_execnz .LBB570_17
.LBB570_10:                             ;   in Loop: Header=BB570_8 Depth=1
	s_or_b64 exec, exec, s[20:21]
	s_and_saveexec_b64 s[20:21], s[18:19]
	s_cbranch_execz .LBB570_12
.LBB570_11:                             ;   in Loop: Header=BB570_8 Depth=1
	v_lshl_add_u64 v[36:37], v[10:11], 4, v[4:5]
	flat_load_dwordx4 v[36:39], v[36:37]
	s_waitcnt vmcnt(0) lgkmcnt(0)
	ds_write2_b64 v28, v[36:37], v[38:39] offset1:1
.LBB570_12:                             ;   in Loop: Header=BB570_8 Depth=1
	s_or_b64 exec, exec, s[20:21]
	v_add_u32_e32 v8, s14, v0
	v_cmp_le_u64_e32 vcc, s[8:9], v[8:9]
	s_or_b64 s[18:19], vcc, s[16:17]
	s_and_saveexec_b64 s[20:21], s[18:19]
	s_xor_b64 s[18:19], exec, s[20:21]
; %bb.13:                               ;   in Loop: Header=BB570_8 Depth=1
	ds_write_b128 v29, v[32:35]
; %bb.14:                               ;   in Loop: Header=BB570_8 Depth=1
	s_andn2_saveexec_b64 s[18:19], s[18:19]
	s_cbranch_execz .LBB570_7
; %bb.15:                               ;   in Loop: Header=BB570_8 Depth=1
	v_lshl_add_u64 v[36:37], v[8:9], 4, v[6:7]
	flat_load_dwordx4 v[36:39], v[36:37]
	s_waitcnt vmcnt(0) lgkmcnt(0)
	ds_write2_b64 v29, v[36:37], v[38:39] offset1:1
	s_branch .LBB570_7
.LBB570_16:                             ;   in Loop: Header=BB570_8 Depth=1
	v_add_u32_e32 v8, s14, v2
	v_cmp_le_u64_e32 vcc, s[8:9], v[8:9]
	s_andn2_b64 s[22:23], s[2:3], exec
	s_and_b64 s[24:25], vcc, exec
	s_mov_b64 s[18:19], exec
	s_or_b64 s[22:23], s[22:23], s[24:25]
	v_mov_b64_e32 v[10:11], v[8:9]
	s_or_b64 exec, exec, s[20:21]
	s_and_saveexec_b64 s[20:21], s[22:23]
	s_xor_b64 s[20:21], exec, s[20:21]
	s_cbranch_execz .LBB570_10
.LBB570_17:                             ;   in Loop: Header=BB570_8 Depth=1
	ds_write_b128 v28, v[32:35]
	s_andn2_b64 s[18:19], s[18:19], exec
	s_or_b64 exec, exec, s[20:21]
	s_and_saveexec_b64 s[20:21], s[18:19]
	s_cbranch_execnz .LBB570_11
	s_branch .LBB570_12
.LBB570_18:
	s_waitcnt lgkmcnt(0)
	s_lshl_b64 s[0:1], s[38:39], 4
	v_add_u32_e32 v10, s31, v3
	s_add_u32 s8, s4, s0
	v_ashrrev_i32_e32 v0, 31, v10
	s_addc_u32 s9, s5, s1
	v_add_u32_e32 v4, s30, v1
	v_cmp_neq_f64_e64 s[0:1], s[26:27], 0
	s_xor_b64 s[4:5], s[6:7], -1
	v_mul_lo_u32 v2, s36, v0
	v_mul_lo_u32 v3, s37, v10
	v_mad_u64_u32 v[0:1], s[2:3], s36, v10, 0
	v_add3_u32 v1, v1, v2, v3
	s_or_b64 s[0:1], s[0:1], s[4:5]
	v_lshl_add_u64 v[8:9], v[0:1], 4, s[8:9]
	v_cmp_le_i32_e32 vcc, v10, v4
	v_cmp_gt_i32_e64 s[2:3], s33, v4
	v_cndmask_b32_e64 v0, 0, 1, s[0:1]
	s_and_b64 s[6:7], vcc, s[2:3]
	v_ashrrev_i32_e32 v5, 31, v4
	v_cmp_ne_u32_e64 s[0:1], 1, v0
	s_and_saveexec_b64 s[4:5], s[6:7]
	s_cbranch_execz .LBB570_22
; %bb.19:
	v_mul_f64 v[0:1], s[12:13], v[26:27]
	v_mul_f64 v[2:3], s[10:11], v[26:27]
	v_fma_f64 v[0:1], s[10:11], v[24:25], -v[0:1]
	v_fmac_f64_e32 v[2:3], s[12:13], v[24:25]
	s_and_b64 vcc, exec, s[0:1]
	v_lshl_add_u64 v[6:7], v[4:5], 4, v[8:9]
	s_cbranch_vccnz .LBB570_21
; %bb.20:
	flat_load_dwordx4 v[24:27], v[6:7]
	s_waitcnt vmcnt(0) lgkmcnt(0)
	v_mul_f64 v[28:29], s[28:29], v[26:27]
	v_mul_f64 v[26:27], s[26:27], v[26:27]
	v_fma_f64 v[28:29], s[26:27], v[24:25], -v[28:29]
	v_fmac_f64_e32 v[26:27], s[28:29], v[24:25]
	v_add_f64 v[0:1], v[0:1], v[28:29]
	v_add_f64 v[2:3], v[2:3], v[26:27]
.LBB570_21:
	flat_store_dwordx4 v[6:7], v[0:3]
.LBB570_22:
	s_or_b64 exec, exec, s[4:5]
	v_add_u32_e32 v6, 16, v4
	v_cmp_le_i32_e32 vcc, v10, v6
	v_cmp_gt_i32_e64 s[4:5], s33, v6
	s_and_b64 s[14:15], vcc, s[4:5]
	v_ashrrev_i32_e32 v7, 31, v6
	s_and_saveexec_b64 s[6:7], s[14:15]
	s_cbranch_execz .LBB570_26
; %bb.23:
	v_mul_f64 v[0:1], s[12:13], v[22:23]
	v_mul_f64 v[2:3], s[10:11], v[22:23]
	v_fma_f64 v[0:1], s[10:11], v[20:21], -v[0:1]
	v_fmac_f64_e32 v[2:3], s[12:13], v[20:21]
	s_and_b64 vcc, exec, s[0:1]
	v_lshl_add_u64 v[8:9], v[6:7], 4, v[8:9]
	s_cbranch_vccnz .LBB570_25
; %bb.24:
	flat_load_dwordx4 v[20:23], v[8:9]
	s_waitcnt vmcnt(0) lgkmcnt(0)
	v_mul_f64 v[24:25], s[28:29], v[22:23]
	v_mul_f64 v[22:23], s[26:27], v[22:23]
	v_fma_f64 v[24:25], s[26:27], v[20:21], -v[24:25]
	v_fmac_f64_e32 v[22:23], s[28:29], v[20:21]
	v_add_f64 v[0:1], v[0:1], v[24:25]
	v_add_f64 v[2:3], v[2:3], v[22:23]
.LBB570_25:
	flat_store_dwordx4 v[8:9], v[0:3]
.LBB570_26:
	s_or_b64 exec, exec, s[6:7]
	v_add_u32_e32 v10, 16, v10
	v_ashrrev_i32_e32 v0, 31, v10
	v_mul_lo_u32 v2, s36, v0
	v_mul_lo_u32 v3, s37, v10
	v_mad_u64_u32 v[0:1], s[6:7], s36, v10, 0
	v_add3_u32 v1, v1, v2, v3
	v_cmp_le_i32_e32 vcc, v10, v4
	v_lshl_add_u64 v[8:9], v[0:1], 4, s[8:9]
	s_and_b64 s[6:7], vcc, s[2:3]
	s_and_saveexec_b64 s[2:3], s[6:7]
	s_cbranch_execz .LBB570_30
; %bb.27:
	v_mul_f64 v[0:1], s[12:13], v[18:19]
	v_mul_f64 v[2:3], s[10:11], v[18:19]
	v_fma_f64 v[0:1], s[10:11], v[16:17], -v[0:1]
	v_fmac_f64_e32 v[2:3], s[12:13], v[16:17]
	s_and_b64 vcc, exec, s[0:1]
	v_lshl_add_u64 v[4:5], v[4:5], 4, v[8:9]
	s_cbranch_vccnz .LBB570_29
; %bb.28:
	flat_load_dwordx4 v[16:19], v[4:5]
	s_waitcnt vmcnt(0) lgkmcnt(0)
	v_mul_f64 v[20:21], s[28:29], v[18:19]
	v_mul_f64 v[18:19], s[26:27], v[18:19]
	v_fma_f64 v[20:21], s[26:27], v[16:17], -v[20:21]
	v_fmac_f64_e32 v[18:19], s[28:29], v[16:17]
	v_add_f64 v[0:1], v[0:1], v[20:21]
	v_add_f64 v[2:3], v[2:3], v[18:19]
.LBB570_29:
	flat_store_dwordx4 v[4:5], v[0:3]
.LBB570_30:
	s_or_b64 exec, exec, s[2:3]
	v_cmp_le_i32_e32 vcc, v10, v6
	s_and_b64 s[2:3], vcc, s[4:5]
	s_and_saveexec_b64 s[4:5], s[2:3]
	s_cbranch_execz .LBB570_34
; %bb.31:
	v_mul_f64 v[0:1], s[12:13], v[12:13]
	v_mul_f64 v[2:3], s[10:11], v[12:13]
	v_fma_f64 v[0:1], s[10:11], v[14:15], -v[0:1]
	v_fmac_f64_e32 v[2:3], s[12:13], v[14:15]
	s_and_b64 vcc, exec, s[0:1]
	v_lshl_add_u64 v[4:5], v[6:7], 4, v[8:9]
	s_cbranch_vccnz .LBB570_33
; %bb.32:
	flat_load_dwordx4 v[6:9], v[4:5]
	s_waitcnt vmcnt(0) lgkmcnt(0)
	v_mul_f64 v[10:11], s[28:29], v[8:9]
	v_mul_f64 v[8:9], s[26:27], v[8:9]
	v_fma_f64 v[10:11], s[26:27], v[6:7], -v[10:11]
	v_fmac_f64_e32 v[8:9], s[28:29], v[6:7]
	v_add_f64 v[0:1], v[0:1], v[10:11]
	v_add_f64 v[2:3], v[2:3], v[8:9]
.LBB570_33:
	flat_store_dwordx4 v[4:5], v[0:3]
.LBB570_34:
	s_endpgm
	.section	.rodata,"a",@progbits
	.p2align	6, 0x0
	.amdhsa_kernel _ZL29rocblas_internal_gemmt_kernelIlLi16ELi32ELi8ELc84ELc78ELc76ELb0ELb0E19rocblas_complex_numIdES1_PKPKS1_PKPS1_EviT_T9_T10_S9_lSB_S9_lSA_T11_S9_li
		.amdhsa_group_segment_fixed_size 8192
		.amdhsa_private_segment_fixed_size 0
		.amdhsa_kernarg_size 124
		.amdhsa_user_sgpr_count 2
		.amdhsa_user_sgpr_dispatch_ptr 0
		.amdhsa_user_sgpr_queue_ptr 0
		.amdhsa_user_sgpr_kernarg_segment_ptr 1
		.amdhsa_user_sgpr_dispatch_id 0
		.amdhsa_user_sgpr_kernarg_preload_length 0
		.amdhsa_user_sgpr_kernarg_preload_offset 0
		.amdhsa_user_sgpr_private_segment_size 0
		.amdhsa_uses_dynamic_stack 0
		.amdhsa_enable_private_segment 0
		.amdhsa_system_sgpr_workgroup_id_x 1
		.amdhsa_system_sgpr_workgroup_id_y 1
		.amdhsa_system_sgpr_workgroup_id_z 1
		.amdhsa_system_sgpr_workgroup_info 0
		.amdhsa_system_vgpr_workitem_id 1
		.amdhsa_next_free_vgpr 66
		.amdhsa_next_free_sgpr 40
		.amdhsa_accum_offset 68
		.amdhsa_reserve_vcc 1
		.amdhsa_float_round_mode_32 0
		.amdhsa_float_round_mode_16_64 0
		.amdhsa_float_denorm_mode_32 3
		.amdhsa_float_denorm_mode_16_64 3
		.amdhsa_dx10_clamp 1
		.amdhsa_ieee_mode 1
		.amdhsa_fp16_overflow 0
		.amdhsa_tg_split 0
		.amdhsa_exception_fp_ieee_invalid_op 0
		.amdhsa_exception_fp_denorm_src 0
		.amdhsa_exception_fp_ieee_div_zero 0
		.amdhsa_exception_fp_ieee_overflow 0
		.amdhsa_exception_fp_ieee_underflow 0
		.amdhsa_exception_fp_ieee_inexact 0
		.amdhsa_exception_int_div_zero 0
	.end_amdhsa_kernel
	.section	.text._ZL29rocblas_internal_gemmt_kernelIlLi16ELi32ELi8ELc84ELc78ELc76ELb0ELb0E19rocblas_complex_numIdES1_PKPKS1_PKPS1_EviT_T9_T10_S9_lSB_S9_lSA_T11_S9_li,"axG",@progbits,_ZL29rocblas_internal_gemmt_kernelIlLi16ELi32ELi8ELc84ELc78ELc76ELb0ELb0E19rocblas_complex_numIdES1_PKPKS1_PKPS1_EviT_T9_T10_S9_lSB_S9_lSA_T11_S9_li,comdat
.Lfunc_end570:
	.size	_ZL29rocblas_internal_gemmt_kernelIlLi16ELi32ELi8ELc84ELc78ELc76ELb0ELb0E19rocblas_complex_numIdES1_PKPKS1_PKPS1_EviT_T9_T10_S9_lSB_S9_lSA_T11_S9_li, .Lfunc_end570-_ZL29rocblas_internal_gemmt_kernelIlLi16ELi32ELi8ELc84ELc78ELc76ELb0ELb0E19rocblas_complex_numIdES1_PKPKS1_PKPS1_EviT_T9_T10_S9_lSB_S9_lSA_T11_S9_li
                                        ; -- End function
	.set _ZL29rocblas_internal_gemmt_kernelIlLi16ELi32ELi8ELc84ELc78ELc76ELb0ELb0E19rocblas_complex_numIdES1_PKPKS1_PKPS1_EviT_T9_T10_S9_lSB_S9_lSA_T11_S9_li.num_vgpr, 66
	.set _ZL29rocblas_internal_gemmt_kernelIlLi16ELi32ELi8ELc84ELc78ELc76ELb0ELb0E19rocblas_complex_numIdES1_PKPKS1_PKPS1_EviT_T9_T10_S9_lSB_S9_lSA_T11_S9_li.num_agpr, 0
	.set _ZL29rocblas_internal_gemmt_kernelIlLi16ELi32ELi8ELc84ELc78ELc76ELb0ELb0E19rocblas_complex_numIdES1_PKPKS1_PKPS1_EviT_T9_T10_S9_lSB_S9_lSA_T11_S9_li.numbered_sgpr, 40
	.set _ZL29rocblas_internal_gemmt_kernelIlLi16ELi32ELi8ELc84ELc78ELc76ELb0ELb0E19rocblas_complex_numIdES1_PKPKS1_PKPS1_EviT_T9_T10_S9_lSB_S9_lSA_T11_S9_li.num_named_barrier, 0
	.set _ZL29rocblas_internal_gemmt_kernelIlLi16ELi32ELi8ELc84ELc78ELc76ELb0ELb0E19rocblas_complex_numIdES1_PKPKS1_PKPS1_EviT_T9_T10_S9_lSB_S9_lSA_T11_S9_li.private_seg_size, 0
	.set _ZL29rocblas_internal_gemmt_kernelIlLi16ELi32ELi8ELc84ELc78ELc76ELb0ELb0E19rocblas_complex_numIdES1_PKPKS1_PKPS1_EviT_T9_T10_S9_lSB_S9_lSA_T11_S9_li.uses_vcc, 1
	.set _ZL29rocblas_internal_gemmt_kernelIlLi16ELi32ELi8ELc84ELc78ELc76ELb0ELb0E19rocblas_complex_numIdES1_PKPKS1_PKPS1_EviT_T9_T10_S9_lSB_S9_lSA_T11_S9_li.uses_flat_scratch, 0
	.set _ZL29rocblas_internal_gemmt_kernelIlLi16ELi32ELi8ELc84ELc78ELc76ELb0ELb0E19rocblas_complex_numIdES1_PKPKS1_PKPS1_EviT_T9_T10_S9_lSB_S9_lSA_T11_S9_li.has_dyn_sized_stack, 0
	.set _ZL29rocblas_internal_gemmt_kernelIlLi16ELi32ELi8ELc84ELc78ELc76ELb0ELb0E19rocblas_complex_numIdES1_PKPKS1_PKPS1_EviT_T9_T10_S9_lSB_S9_lSA_T11_S9_li.has_recursion, 0
	.set _ZL29rocblas_internal_gemmt_kernelIlLi16ELi32ELi8ELc84ELc78ELc76ELb0ELb0E19rocblas_complex_numIdES1_PKPKS1_PKPS1_EviT_T9_T10_S9_lSB_S9_lSA_T11_S9_li.has_indirect_call, 0
	.section	.AMDGPU.csdata,"",@progbits
; Kernel info:
; codeLenInByte = 3232
; TotalNumSgprs: 46
; NumVgprs: 66
; NumAgprs: 0
; TotalNumVgprs: 66
; ScratchSize: 0
; MemoryBound: 0
; FloatMode: 240
; IeeeMode: 1
; LDSByteSize: 8192 bytes/workgroup (compile time only)
; SGPRBlocks: 5
; VGPRBlocks: 8
; NumSGPRsForWavesPerEU: 46
; NumVGPRsForWavesPerEU: 66
; AccumOffset: 68
; Occupancy: 7
; WaveLimiterHint : 1
; COMPUTE_PGM_RSRC2:SCRATCH_EN: 0
; COMPUTE_PGM_RSRC2:USER_SGPR: 2
; COMPUTE_PGM_RSRC2:TRAP_HANDLER: 0
; COMPUTE_PGM_RSRC2:TGID_X_EN: 1
; COMPUTE_PGM_RSRC2:TGID_Y_EN: 1
; COMPUTE_PGM_RSRC2:TGID_Z_EN: 1
; COMPUTE_PGM_RSRC2:TIDIG_COMP_CNT: 1
; COMPUTE_PGM_RSRC3_GFX90A:ACCUM_OFFSET: 16
; COMPUTE_PGM_RSRC3_GFX90A:TG_SPLIT: 0
	.section	.text._ZL29rocblas_internal_gemmt_kernelIlLi16ELi32ELi8ELc84ELc84ELc76ELb0ELb0E19rocblas_complex_numIdES1_PKPKS1_PKPS1_EviT_T9_T10_S9_lSB_S9_lSA_T11_S9_li,"axG",@progbits,_ZL29rocblas_internal_gemmt_kernelIlLi16ELi32ELi8ELc84ELc84ELc76ELb0ELb0E19rocblas_complex_numIdES1_PKPKS1_PKPS1_EviT_T9_T10_S9_lSB_S9_lSA_T11_S9_li,comdat
	.globl	_ZL29rocblas_internal_gemmt_kernelIlLi16ELi32ELi8ELc84ELc84ELc76ELb0ELb0E19rocblas_complex_numIdES1_PKPKS1_PKPS1_EviT_T9_T10_S9_lSB_S9_lSA_T11_S9_li ; -- Begin function _ZL29rocblas_internal_gemmt_kernelIlLi16ELi32ELi8ELc84ELc84ELc76ELb0ELb0E19rocblas_complex_numIdES1_PKPKS1_PKPS1_EviT_T9_T10_S9_lSB_S9_lSA_T11_S9_li
	.p2align	8
	.type	_ZL29rocblas_internal_gemmt_kernelIlLi16ELi32ELi8ELc84ELc84ELc76ELb0ELb0E19rocblas_complex_numIdES1_PKPKS1_PKPS1_EviT_T9_T10_S9_lSB_S9_lSA_T11_S9_li,@function
_ZL29rocblas_internal_gemmt_kernelIlLi16ELi32ELi8ELc84ELc84ELc76ELb0ELb0E19rocblas_complex_numIdES1_PKPKS1_PKPS1_EviT_T9_T10_S9_lSB_S9_lSA_T11_S9_li: ; @_ZL29rocblas_internal_gemmt_kernelIlLi16ELi32ELi8ELc84ELc84ELc76ELb0ELb0E19rocblas_complex_numIdES1_PKPKS1_PKPS1_EviT_T9_T10_S9_lSB_S9_lSA_T11_S9_li
; %bb.0:
	s_load_dwordx8 s[24:31], s[0:1], 0x48
	s_load_dwordx16 s[8:23], s[0:1], 0x8
	s_mov_b64 s[34:35], 0
	s_waitcnt lgkmcnt(0)
	v_cmp_eq_f64_e64 s[36:37], s[26:27], 1.0
	v_cmp_eq_f64_e64 s[6:7], s[28:29], 0
	s_and_b64 s[36:37], s[36:37], s[6:7]
	s_andn2_b64 vcc, exec, s[36:37]
	s_mov_b64 s[36:37], -1
	s_cbranch_vccnz .LBB571_4
; %bb.1:
	s_cmp_lg_u64 s[8:9], 0
	s_cbranch_scc0 .LBB571_3
; %bb.2:
	v_cmp_neq_f64_e64 s[34:35], s[10:11], 0
	v_cmp_neq_f64_e64 s[36:37], s[12:13], 0
	s_or_b64 s[34:35], s[34:35], s[36:37]
.LBB571_3:
	s_mov_b64 s[36:37], s[34:35]
.LBB571_4:
	s_and_b64 vcc, exec, s[36:37]
	s_cbranch_vccz .LBB571_34
; %bb.5:
	s_mov_b32 s5, 0
	s_load_dwordx4 s[36:39], s[0:1], 0x68
	s_load_dword s33, s[0:1], 0x0
	s_lshl_b64 s[0:1], s[4:5], 3
	s_add_u32 s4, s30, s0
	s_addc_u32 s5, s31, s1
	s_load_dwordx2 s[4:5], s[4:5], 0x0
	s_lshl_b32 s30, s2, 5
	s_lshl_b32 s31, s3, 5
	v_cmp_eq_f64_e64 s[2:3], s[10:11], 0
	v_cmp_eq_f64_e64 s[34:35], s[12:13], 0
	s_and_b64 s[2:3], s[2:3], s[34:35]
	v_cmp_lt_i64_e64 s[34:35], s[8:9], 1
	s_or_b64 s[2:3], s[2:3], s[34:35]
	v_and_b32_e32 v1, 0x3ff, v0
	v_bfe_u32 v3, v0, 10, 10
	v_mov_b64_e32 v[24:25], 0
	s_and_b64 vcc, exec, s[2:3]
	v_mov_b64_e32 v[26:27], 0
	v_mov_b64_e32 v[20:21], 0
	;; [unrolled: 1-line block ×7, first 2 shown]
	s_cbranch_vccnz .LBB571_18
; %bb.6:
	s_add_u32 s2, s20, s0
	s_addc_u32 s3, s21, s1
	s_load_dwordx2 s[2:3], s[2:3], 0x0
	s_lshl_b64 s[20:21], s[24:25], 4
	v_lshl_add_u32 v4, v3, 4, v1
	v_lshrrev_b32_e32 v2, 5, v4
	v_lshrrev_b32_e32 v7, 3, v4
	s_waitcnt lgkmcnt(0)
	s_add_u32 s20, s2, s20
	s_addc_u32 s21, s3, s21
	s_add_u32 s0, s14, s0
	s_addc_u32 s1, s15, s1
	s_load_dwordx2 s[0:1], s[0:1], 0x0
	s_lshl_b64 s[2:3], s[18:19], 4
	v_and_b32_e32 v4, 31, v4
	v_or_b32_e32 v5, s30, v4
	v_lshlrev_b32_e32 v4, 4, v4
	s_waitcnt lgkmcnt(0)
	s_add_u32 s14, s0, s2
	s_addc_u32 s15, s1, s3
	s_ashr_i32 s24, s30, 31
	v_and_b32_e32 v0, 7, v1
	v_cmp_gt_i32_e64 s[0:1], s33, v5
	v_cmp_le_i32_e64 s[2:3], s33, v5
	v_lshl_or_b32 v28, v2, 9, v4
	v_mul_lo_u32 v8, s17, v5
	v_mad_u64_u32 v[4:5], s[18:19], s16, v5, 0
	s_mul_i32 s16, s16, s24
	v_add3_u32 v5, v5, s16, v8
	v_lshlrev_b32_e32 v8, 4, v0
	v_add_u32_e32 v6, s31, v7
	v_lshl_or_b32 v7, v7, 7, v8
	v_cmp_gt_i32_e32 vcc, s33, v6
	v_add_u32_e32 v29, 0x1000, v7
	v_ashrrev_i32_e32 v7, 31, v6
	v_mov_b32_e32 v8, 0x1000
	v_mov_b32_e32 v9, 0
	v_lshl_add_u64 v[4:5], v[4:5], 4, s[14:15]
	v_lshl_add_u64 v[6:7], v[6:7], 4, s[20:21]
	v_lshlrev_b32_e32 v30, 4, v1
	v_lshl_add_u32 v31, v3, 7, v8
	v_mov_b64_e32 v[12:13], 0
	s_mov_b64 s[14:15], 0
	s_xor_b64 s[16:17], vcc, -1
	v_mov_b32_e32 v32, v9
	v_mov_b32_e32 v33, v9
	;; [unrolled: 1-line block ×4, first 2 shown]
	v_mov_b64_e32 v[14:15], 0
	v_mov_b64_e32 v[18:19], 0
	;; [unrolled: 1-line block ×7, first 2 shown]
                                        ; implicit-def: $vgpr10_vgpr11
	s_branch .LBB571_8
.LBB571_7:                              ;   in Loop: Header=BB571_8 Depth=1
	s_or_b64 exec, exec, s[18:19]
	s_waitcnt lgkmcnt(0)
	s_barrier
	ds_read_b128 v[36:39], v30
	ds_read_b128 v[40:43], v31
	ds_read_b128 v[44:47], v31 offset:16
	ds_read_b128 v[48:51], v31 offset:32
	ds_read_b128 v[52:55], v31 offset:48
	ds_read_b128 v[56:59], v30 offset:256
	s_waitcnt lgkmcnt(4)
	v_mul_f64 v[60:61], v[42:43], v[38:39]
	v_fma_f64 v[60:61], v[40:41], v[36:37], -v[60:61]
	v_mul_f64 v[62:63], v[40:41], v[38:39]
	v_fmac_f64_e32 v[62:63], v[42:43], v[36:37]
	v_add_f64 v[60:61], v[24:25], v[60:61]
	s_waitcnt lgkmcnt(0)
	v_mul_f64 v[24:25], v[42:43], v[58:59]
	v_add_f64 v[62:63], v[62:63], v[26:27]
	v_fma_f64 v[64:65], v[40:41], v[56:57], -v[24:25]
	ds_read_b128 v[24:27], v31 offset:2048
	v_mul_f64 v[40:41], v[40:41], v[58:59]
	v_fmac_f64_e32 v[40:41], v[42:43], v[56:57]
	v_add_f64 v[42:43], v[20:21], v[64:65]
	v_add_f64 v[40:41], v[40:41], v[22:23]
	ds_read_b128 v[20:23], v31 offset:2064
	s_waitcnt lgkmcnt(1)
	v_mul_f64 v[64:65], v[26:27], v[38:39]
	v_fma_f64 v[64:65], v[24:25], v[36:37], -v[64:65]
	v_mul_f64 v[38:39], v[24:25], v[38:39]
	v_fmac_f64_e32 v[38:39], v[26:27], v[36:37]
	v_add_f64 v[36:37], v[16:17], v[64:65]
	v_mul_f64 v[16:17], v[26:27], v[58:59]
	v_add_f64 v[38:39], v[38:39], v[18:19]
	v_fma_f64 v[64:65], v[24:25], v[56:57], -v[16:17]
	v_mul_f64 v[24:25], v[24:25], v[58:59]
	ds_read_b128 v[16:19], v30 offset:512
	v_fmac_f64_e32 v[24:25], v[26:27], v[56:57]
	v_add_f64 v[26:27], v[14:15], v[64:65]
	v_add_f64 v[24:25], v[24:25], v[12:13]
	ds_read_b128 v[12:15], v30 offset:768
	s_waitcnt lgkmcnt(1)
	v_mul_f64 v[56:57], v[46:47], v[18:19]
	v_fma_f64 v[56:57], v[44:45], v[16:17], -v[56:57]
	v_add_f64 v[56:57], v[60:61], v[56:57]
	v_mul_f64 v[58:59], v[44:45], v[18:19]
	s_waitcnt lgkmcnt(0)
	v_mul_f64 v[60:61], v[46:47], v[14:15]
	v_fma_f64 v[60:61], v[44:45], v[12:13], -v[60:61]
	v_mul_f64 v[44:45], v[44:45], v[14:15]
	v_fmac_f64_e32 v[44:45], v[46:47], v[12:13]
	v_add_f64 v[40:41], v[44:45], v[40:41]
	v_mul_f64 v[44:45], v[22:23], v[18:19]
	v_mul_f64 v[18:19], v[20:21], v[18:19]
	v_fmac_f64_e32 v[58:59], v[46:47], v[16:17]
	v_fma_f64 v[44:45], v[20:21], v[16:17], -v[44:45]
	v_fmac_f64_e32 v[18:19], v[22:23], v[16:17]
	v_mul_f64 v[16:17], v[22:23], v[14:15]
	v_add_f64 v[46:47], v[18:19], v[38:39]
	v_fma_f64 v[18:19], v[20:21], v[12:13], -v[16:17]
	v_mul_f64 v[20:21], v[20:21], v[14:15]
	ds_read_b128 v[14:17], v30 offset:1024
	v_fmac_f64_e32 v[20:21], v[22:23], v[12:13]
	v_add_f64 v[42:43], v[42:43], v[60:61]
	v_add_f64 v[26:27], v[26:27], v[18:19]
	v_add_f64 v[60:61], v[20:21], v[24:25]
	ds_read_b128 v[18:21], v30 offset:1280
	s_waitcnt lgkmcnt(1)
	v_mul_f64 v[22:23], v[48:49], v[16:17]
	v_add_f64 v[58:59], v[58:59], v[62:63]
	v_fmac_f64_e32 v[22:23], v[50:51], v[14:15]
	v_add_f64 v[58:59], v[22:23], v[58:59]
	ds_read_b128 v[22:25], v31 offset:2080
	v_mul_f64 v[12:13], v[50:51], v[16:17]
	v_fma_f64 v[12:13], v[48:49], v[14:15], -v[12:13]
	v_add_f64 v[44:45], v[36:37], v[44:45]
	v_add_f64 v[56:57], v[56:57], v[12:13]
	s_waitcnt lgkmcnt(1)
	v_mul_f64 v[12:13], v[50:51], v[20:21]
	v_mul_f64 v[36:37], v[48:49], v[20:21]
	v_fma_f64 v[12:13], v[48:49], v[18:19], -v[12:13]
	v_fmac_f64_e32 v[36:37], v[50:51], v[18:19]
	v_add_f64 v[42:43], v[42:43], v[12:13]
	v_add_f64 v[40:41], v[36:37], v[40:41]
	ds_read_b128 v[36:39], v31 offset:2096
	s_waitcnt lgkmcnt(1)
	v_mul_f64 v[12:13], v[24:25], v[16:17]
	v_fma_f64 v[12:13], v[22:23], v[14:15], -v[12:13]
	v_mul_f64 v[16:17], v[22:23], v[16:17]
	v_fmac_f64_e32 v[16:17], v[24:25], v[14:15]
	v_add_f64 v[44:45], v[44:45], v[12:13]
	v_mul_f64 v[12:13], v[24:25], v[20:21]
	v_add_f64 v[46:47], v[16:17], v[46:47]
	v_fma_f64 v[16:17], v[22:23], v[18:19], -v[12:13]
	ds_read_b128 v[12:15], v30 offset:1536
	v_mul_f64 v[20:21], v[22:23], v[20:21]
	v_fmac_f64_e32 v[20:21], v[24:25], v[18:19]
	v_add_f64 v[22:23], v[26:27], v[16:17]
	ds_read_b128 v[16:19], v30 offset:1792
	s_waitcnt lgkmcnt(1)
	v_mul_f64 v[24:25], v[54:55], v[14:15]
	v_fma_f64 v[24:25], v[52:53], v[12:13], -v[24:25]
	v_mul_f64 v[26:27], v[52:53], v[14:15]
	v_fmac_f64_e32 v[26:27], v[54:55], v[12:13]
	v_add_f64 v[48:49], v[56:57], v[24:25]
	s_waitcnt lgkmcnt(0)
	v_mul_f64 v[24:25], v[54:55], v[18:19]
	v_add_f64 v[50:51], v[26:27], v[58:59]
	v_fma_f64 v[24:25], v[52:53], v[16:17], -v[24:25]
	v_mul_f64 v[26:27], v[52:53], v[18:19]
	v_fmac_f64_e32 v[26:27], v[54:55], v[16:17]
	v_add_f64 v[42:43], v[42:43], v[24:25]
	v_mul_f64 v[24:25], v[38:39], v[14:15]
	v_mul_f64 v[14:15], v[36:37], v[14:15]
	v_add_f64 v[40:41], v[26:27], v[40:41]
	v_fma_f64 v[24:25], v[36:37], v[12:13], -v[24:25]
	v_fmac_f64_e32 v[14:15], v[38:39], v[12:13]
	v_mul_f64 v[12:13], v[38:39], v[18:19]
	v_mul_f64 v[26:27], v[36:37], v[18:19]
	v_add_f64 v[44:45], v[44:45], v[24:25]
	v_add_f64 v[46:47], v[14:15], v[46:47]
	v_fma_f64 v[24:25], v[36:37], v[16:17], -v[12:13]
	v_fmac_f64_e32 v[26:27], v[38:39], v[16:17]
	ds_read_b128 v[12:15], v31 offset:64
	ds_read_b128 v[16:19], v30 offset:2048
	v_add_f64 v[20:21], v[20:21], v[60:61]
	v_add_f64 v[52:53], v[22:23], v[24:25]
	;; [unrolled: 1-line block ×3, first 2 shown]
	ds_read_b128 v[20:23], v30 offset:2304
	ds_read_b128 v[24:27], v31 offset:80
	s_waitcnt lgkmcnt(2)
	v_mul_f64 v[36:37], v[14:15], v[18:19]
	v_fma_f64 v[36:37], v[12:13], v[16:17], -v[36:37]
	v_mul_f64 v[38:39], v[12:13], v[18:19]
	v_fmac_f64_e32 v[38:39], v[14:15], v[16:17]
	v_add_f64 v[48:49], v[48:49], v[36:37]
	s_waitcnt lgkmcnt(1)
	v_mul_f64 v[36:37], v[14:15], v[22:23]
	v_add_f64 v[50:51], v[38:39], v[50:51]
	v_fma_f64 v[56:57], v[12:13], v[20:21], -v[36:37]
	ds_read_b128 v[36:39], v31 offset:2112
	v_mul_f64 v[12:13], v[12:13], v[22:23]
	v_fmac_f64_e32 v[12:13], v[14:15], v[20:21]
	v_add_f64 v[42:43], v[42:43], v[56:57]
	v_add_f64 v[40:41], v[12:13], v[40:41]
	ds_read_b128 v[12:15], v31 offset:2128
	s_waitcnt lgkmcnt(1)
	v_mul_f64 v[56:57], v[38:39], v[18:19]
	v_mul_f64 v[18:19], v[36:37], v[18:19]
	v_fma_f64 v[56:57], v[36:37], v[16:17], -v[56:57]
	v_fmac_f64_e32 v[18:19], v[38:39], v[16:17]
	v_mul_f64 v[16:17], v[38:39], v[22:23]
	v_add_f64 v[44:45], v[44:45], v[56:57]
	v_add_f64 v[46:47], v[18:19], v[46:47]
	v_fma_f64 v[56:57], v[36:37], v[20:21], -v[16:17]
	v_mul_f64 v[22:23], v[36:37], v[22:23]
	ds_read_b128 v[16:19], v30 offset:2560
	v_fmac_f64_e32 v[22:23], v[38:39], v[20:21]
	v_add_f64 v[38:39], v[22:23], v[54:55]
	ds_read_b128 v[20:23], v30 offset:2816
	v_add_f64 v[36:37], v[52:53], v[56:57]
	s_waitcnt lgkmcnt(1)
	v_mul_f64 v[52:53], v[26:27], v[18:19]
	v_fma_f64 v[52:53], v[24:25], v[16:17], -v[52:53]
	v_add_f64 v[48:49], v[48:49], v[52:53]
	s_waitcnt lgkmcnt(0)
	v_mul_f64 v[52:53], v[26:27], v[22:23]
	v_mul_f64 v[54:55], v[24:25], v[18:19]
	v_fma_f64 v[52:53], v[24:25], v[20:21], -v[52:53]
	v_mul_f64 v[24:25], v[24:25], v[22:23]
	v_fmac_f64_e32 v[24:25], v[26:27], v[20:21]
	v_add_f64 v[40:41], v[24:25], v[40:41]
	v_mul_f64 v[24:25], v[14:15], v[18:19]
	v_mul_f64 v[18:19], v[12:13], v[18:19]
	v_fmac_f64_e32 v[54:55], v[26:27], v[16:17]
	v_fma_f64 v[24:25], v[12:13], v[16:17], -v[24:25]
	v_fmac_f64_e32 v[18:19], v[14:15], v[16:17]
	v_mul_f64 v[16:17], v[14:15], v[22:23]
	v_mul_f64 v[22:23], v[12:13], v[22:23]
	v_add_f64 v[44:45], v[44:45], v[24:25]
	v_add_f64 v[46:47], v[18:19], v[46:47]
	v_fma_f64 v[24:25], v[12:13], v[20:21], -v[16:17]
	v_fmac_f64_e32 v[22:23], v[14:15], v[20:21]
	ds_read_b128 v[12:15], v31 offset:96
	ds_read_b128 v[16:19], v30 offset:3072
	v_add_f64 v[50:51], v[54:55], v[50:51]
	v_add_f64 v[42:43], v[42:43], v[52:53]
	;; [unrolled: 1-line block ×4, first 2 shown]
	ds_read_b128 v[20:23], v30 offset:3328
	ds_read_b128 v[36:39], v31 offset:112
	s_waitcnt lgkmcnt(2)
	v_mul_f64 v[24:25], v[14:15], v[18:19]
	v_fma_f64 v[24:25], v[12:13], v[16:17], -v[24:25]
	v_mul_f64 v[26:27], v[12:13], v[18:19]
	v_fmac_f64_e32 v[26:27], v[14:15], v[16:17]
	v_add_f64 v[48:49], v[48:49], v[24:25]
	s_waitcnt lgkmcnt(1)
	v_mul_f64 v[24:25], v[14:15], v[22:23]
	v_add_f64 v[50:51], v[26:27], v[50:51]
	v_fma_f64 v[56:57], v[12:13], v[20:21], -v[24:25]
	ds_read_b128 v[24:27], v31 offset:2144
	v_mul_f64 v[12:13], v[12:13], v[22:23]
	v_fmac_f64_e32 v[12:13], v[14:15], v[20:21]
	v_add_f64 v[58:59], v[12:13], v[40:41]
	ds_read_b128 v[12:15], v31 offset:2160
	s_waitcnt lgkmcnt(1)
	v_mul_f64 v[40:41], v[26:27], v[18:19]
	v_mul_f64 v[18:19], v[24:25], v[18:19]
	v_fma_f64 v[40:41], v[24:25], v[16:17], -v[40:41]
	v_fmac_f64_e32 v[18:19], v[26:27], v[16:17]
	v_mul_f64 v[16:17], v[26:27], v[22:23]
	v_add_f64 v[44:45], v[44:45], v[40:41]
	v_add_f64 v[46:47], v[18:19], v[46:47]
	v_fma_f64 v[40:41], v[24:25], v[20:21], -v[16:17]
	ds_read_b128 v[16:19], v30 offset:3584
	v_add_f64 v[56:57], v[42:43], v[56:57]
	v_add_f64 v[52:53], v[52:53], v[40:41]
	ds_read_b128 v[40:43], v30 offset:3840
	v_mul_f64 v[22:23], v[24:25], v[22:23]
	v_fmac_f64_e32 v[22:23], v[26:27], v[20:21]
	s_waitcnt lgkmcnt(1)
	v_mul_f64 v[20:21], v[38:39], v[18:19]
	v_add_f64 v[54:55], v[22:23], v[54:55]
	v_fma_f64 v[20:21], v[36:37], v[16:17], -v[20:21]
	v_mul_f64 v[22:23], v[36:37], v[18:19]
	v_fmac_f64_e32 v[22:23], v[38:39], v[16:17]
	v_add_f64 v[24:25], v[48:49], v[20:21]
	s_waitcnt lgkmcnt(0)
	v_mul_f64 v[20:21], v[38:39], v[42:43]
	v_add_f64 v[26:27], v[22:23], v[50:51]
	v_fma_f64 v[20:21], v[36:37], v[40:41], -v[20:21]
	v_mul_f64 v[22:23], v[36:37], v[42:43]
	v_mul_f64 v[36:37], v[14:15], v[18:19]
	v_fma_f64 v[36:37], v[12:13], v[16:17], -v[36:37]
	v_mul_f64 v[18:19], v[12:13], v[18:19]
	v_fmac_f64_e32 v[18:19], v[14:15], v[16:17]
	v_add_f64 v[16:17], v[44:45], v[36:37]
	v_mul_f64 v[36:37], v[14:15], v[42:43]
	s_add_u32 s14, s14, 8
	v_fma_f64 v[36:37], v[12:13], v[40:41], -v[36:37]
	v_mul_f64 v[12:13], v[12:13], v[42:43]
	s_addc_u32 s15, s15, 0
	v_fmac_f64_e32 v[12:13], v[14:15], v[40:41]
	v_add_f64 v[14:15], v[52:53], v[36:37]
	v_mov_b64_e32 v[36:37], s[14:15]
	v_fmac_f64_e32 v[22:23], v[38:39], v[40:41]
	v_cmp_gt_i64_e32 vcc, s[8:9], v[36:37]
	v_add_f64 v[20:21], v[56:57], v[20:21]
	v_add_f64 v[22:23], v[22:23], v[58:59]
	;; [unrolled: 1-line block ×4, first 2 shown]
	s_barrier
	s_cbranch_vccz .LBB571_18
.LBB571_8:                              ; =>This Inner Loop Header: Depth=1
	s_mov_b64 s[24:25], s[2:3]
	s_mov_b64 s[18:19], 0
	s_and_saveexec_b64 s[20:21], s[0:1]
	s_cbranch_execnz .LBB571_16
; %bb.9:                                ;   in Loop: Header=BB571_8 Depth=1
	s_or_b64 exec, exec, s[20:21]
	s_and_saveexec_b64 s[20:21], s[24:25]
	s_xor_b64 s[20:21], exec, s[20:21]
	s_cbranch_execnz .LBB571_17
.LBB571_10:                             ;   in Loop: Header=BB571_8 Depth=1
	s_or_b64 exec, exec, s[20:21]
	s_and_saveexec_b64 s[20:21], s[18:19]
	s_cbranch_execz .LBB571_12
.LBB571_11:                             ;   in Loop: Header=BB571_8 Depth=1
	v_lshl_add_u64 v[36:37], v[10:11], 4, v[4:5]
	flat_load_dwordx4 v[36:39], v[36:37]
	s_waitcnt vmcnt(0) lgkmcnt(0)
	ds_write2_b64 v28, v[36:37], v[38:39] offset1:1
.LBB571_12:                             ;   in Loop: Header=BB571_8 Depth=1
	s_or_b64 exec, exec, s[20:21]
	v_add_u32_e32 v8, s14, v0
	v_cmp_le_u64_e32 vcc, s[8:9], v[8:9]
	s_or_b64 s[18:19], vcc, s[16:17]
	s_and_saveexec_b64 s[20:21], s[18:19]
	s_xor_b64 s[18:19], exec, s[20:21]
; %bb.13:                               ;   in Loop: Header=BB571_8 Depth=1
	ds_write_b128 v29, v[32:35]
; %bb.14:                               ;   in Loop: Header=BB571_8 Depth=1
	s_andn2_saveexec_b64 s[18:19], s[18:19]
	s_cbranch_execz .LBB571_7
; %bb.15:                               ;   in Loop: Header=BB571_8 Depth=1
	v_mad_u64_u32 v[36:37], s[20:21], s22, v8, 0
	v_mov_b32_e32 v38, v37
	v_mad_u64_u32 v[38:39], s[20:21], s23, v8, v[38:39]
	v_mov_b32_e32 v37, v38
	v_lshl_add_u64 v[36:37], v[36:37], 4, v[6:7]
	flat_load_dwordx4 v[36:39], v[36:37]
	s_waitcnt vmcnt(0) lgkmcnt(0)
	ds_write2_b64 v29, v[36:37], v[38:39] offset1:1
	s_branch .LBB571_7
.LBB571_16:                             ;   in Loop: Header=BB571_8 Depth=1
	v_add_u32_e32 v8, s14, v2
	v_cmp_le_u64_e32 vcc, s[8:9], v[8:9]
	s_andn2_b64 s[24:25], s[2:3], exec
	s_and_b64 s[34:35], vcc, exec
	s_mov_b64 s[18:19], exec
	s_or_b64 s[24:25], s[24:25], s[34:35]
	v_mov_b64_e32 v[10:11], v[8:9]
	s_or_b64 exec, exec, s[20:21]
	s_and_saveexec_b64 s[20:21], s[24:25]
	s_xor_b64 s[20:21], exec, s[20:21]
	s_cbranch_execz .LBB571_10
.LBB571_17:                             ;   in Loop: Header=BB571_8 Depth=1
	ds_write_b128 v28, v[32:35]
	s_andn2_b64 s[18:19], s[18:19], exec
	s_or_b64 exec, exec, s[20:21]
	s_and_saveexec_b64 s[20:21], s[18:19]
	s_cbranch_execnz .LBB571_11
	s_branch .LBB571_12
.LBB571_18:
	s_waitcnt lgkmcnt(0)
	s_lshl_b64 s[0:1], s[38:39], 4
	v_add_u32_e32 v10, s31, v3
	s_add_u32 s8, s4, s0
	v_ashrrev_i32_e32 v0, 31, v10
	s_addc_u32 s9, s5, s1
	v_add_u32_e32 v4, s30, v1
	v_cmp_neq_f64_e64 s[0:1], s[26:27], 0
	s_xor_b64 s[4:5], s[6:7], -1
	v_mul_lo_u32 v2, s36, v0
	v_mul_lo_u32 v3, s37, v10
	v_mad_u64_u32 v[0:1], s[2:3], s36, v10, 0
	v_add3_u32 v1, v1, v2, v3
	s_or_b64 s[0:1], s[0:1], s[4:5]
	v_lshl_add_u64 v[8:9], v[0:1], 4, s[8:9]
	v_cmp_le_i32_e32 vcc, v10, v4
	v_cmp_gt_i32_e64 s[2:3], s33, v4
	v_cndmask_b32_e64 v0, 0, 1, s[0:1]
	s_and_b64 s[6:7], vcc, s[2:3]
	v_ashrrev_i32_e32 v5, 31, v4
	v_cmp_ne_u32_e64 s[0:1], 1, v0
	s_and_saveexec_b64 s[4:5], s[6:7]
	s_cbranch_execz .LBB571_22
; %bb.19:
	v_mul_f64 v[0:1], s[12:13], v[26:27]
	v_mul_f64 v[2:3], s[10:11], v[26:27]
	v_fma_f64 v[0:1], s[10:11], v[24:25], -v[0:1]
	v_fmac_f64_e32 v[2:3], s[12:13], v[24:25]
	s_and_b64 vcc, exec, s[0:1]
	v_lshl_add_u64 v[6:7], v[4:5], 4, v[8:9]
	s_cbranch_vccnz .LBB571_21
; %bb.20:
	flat_load_dwordx4 v[24:27], v[6:7]
	s_waitcnt vmcnt(0) lgkmcnt(0)
	v_mul_f64 v[28:29], s[28:29], v[26:27]
	v_mul_f64 v[26:27], s[26:27], v[26:27]
	v_fma_f64 v[28:29], s[26:27], v[24:25], -v[28:29]
	v_fmac_f64_e32 v[26:27], s[28:29], v[24:25]
	v_add_f64 v[0:1], v[0:1], v[28:29]
	v_add_f64 v[2:3], v[2:3], v[26:27]
.LBB571_21:
	flat_store_dwordx4 v[6:7], v[0:3]
.LBB571_22:
	s_or_b64 exec, exec, s[4:5]
	v_add_u32_e32 v6, 16, v4
	v_cmp_le_i32_e32 vcc, v10, v6
	v_cmp_gt_i32_e64 s[4:5], s33, v6
	s_and_b64 s[14:15], vcc, s[4:5]
	v_ashrrev_i32_e32 v7, 31, v6
	s_and_saveexec_b64 s[6:7], s[14:15]
	s_cbranch_execz .LBB571_26
; %bb.23:
	v_mul_f64 v[0:1], s[12:13], v[22:23]
	v_mul_f64 v[2:3], s[10:11], v[22:23]
	v_fma_f64 v[0:1], s[10:11], v[20:21], -v[0:1]
	v_fmac_f64_e32 v[2:3], s[12:13], v[20:21]
	s_and_b64 vcc, exec, s[0:1]
	v_lshl_add_u64 v[8:9], v[6:7], 4, v[8:9]
	s_cbranch_vccnz .LBB571_25
; %bb.24:
	flat_load_dwordx4 v[20:23], v[8:9]
	s_waitcnt vmcnt(0) lgkmcnt(0)
	v_mul_f64 v[24:25], s[28:29], v[22:23]
	v_mul_f64 v[22:23], s[26:27], v[22:23]
	v_fma_f64 v[24:25], s[26:27], v[20:21], -v[24:25]
	v_fmac_f64_e32 v[22:23], s[28:29], v[20:21]
	v_add_f64 v[0:1], v[0:1], v[24:25]
	v_add_f64 v[2:3], v[2:3], v[22:23]
.LBB571_25:
	flat_store_dwordx4 v[8:9], v[0:3]
.LBB571_26:
	s_or_b64 exec, exec, s[6:7]
	v_add_u32_e32 v10, 16, v10
	v_ashrrev_i32_e32 v0, 31, v10
	v_mul_lo_u32 v2, s36, v0
	v_mul_lo_u32 v3, s37, v10
	v_mad_u64_u32 v[0:1], s[6:7], s36, v10, 0
	v_add3_u32 v1, v1, v2, v3
	v_cmp_le_i32_e32 vcc, v10, v4
	v_lshl_add_u64 v[8:9], v[0:1], 4, s[8:9]
	s_and_b64 s[6:7], vcc, s[2:3]
	s_and_saveexec_b64 s[2:3], s[6:7]
	s_cbranch_execz .LBB571_30
; %bb.27:
	v_mul_f64 v[0:1], s[12:13], v[18:19]
	v_mul_f64 v[2:3], s[10:11], v[18:19]
	v_fma_f64 v[0:1], s[10:11], v[16:17], -v[0:1]
	v_fmac_f64_e32 v[2:3], s[12:13], v[16:17]
	s_and_b64 vcc, exec, s[0:1]
	v_lshl_add_u64 v[4:5], v[4:5], 4, v[8:9]
	s_cbranch_vccnz .LBB571_29
; %bb.28:
	flat_load_dwordx4 v[16:19], v[4:5]
	s_waitcnt vmcnt(0) lgkmcnt(0)
	v_mul_f64 v[20:21], s[28:29], v[18:19]
	v_mul_f64 v[18:19], s[26:27], v[18:19]
	v_fma_f64 v[20:21], s[26:27], v[16:17], -v[20:21]
	v_fmac_f64_e32 v[18:19], s[28:29], v[16:17]
	v_add_f64 v[0:1], v[0:1], v[20:21]
	v_add_f64 v[2:3], v[2:3], v[18:19]
.LBB571_29:
	flat_store_dwordx4 v[4:5], v[0:3]
.LBB571_30:
	s_or_b64 exec, exec, s[2:3]
	v_cmp_le_i32_e32 vcc, v10, v6
	s_and_b64 s[2:3], vcc, s[4:5]
	s_and_saveexec_b64 s[4:5], s[2:3]
	s_cbranch_execz .LBB571_34
; %bb.31:
	v_mul_f64 v[0:1], s[12:13], v[12:13]
	v_mul_f64 v[2:3], s[10:11], v[12:13]
	v_fma_f64 v[0:1], s[10:11], v[14:15], -v[0:1]
	v_fmac_f64_e32 v[2:3], s[12:13], v[14:15]
	s_and_b64 vcc, exec, s[0:1]
	v_lshl_add_u64 v[4:5], v[6:7], 4, v[8:9]
	s_cbranch_vccnz .LBB571_33
; %bb.32:
	flat_load_dwordx4 v[6:9], v[4:5]
	s_waitcnt vmcnt(0) lgkmcnt(0)
	v_mul_f64 v[10:11], s[28:29], v[8:9]
	v_mul_f64 v[8:9], s[26:27], v[8:9]
	v_fma_f64 v[10:11], s[26:27], v[6:7], -v[10:11]
	v_fmac_f64_e32 v[8:9], s[28:29], v[6:7]
	v_add_f64 v[0:1], v[0:1], v[10:11]
	v_add_f64 v[2:3], v[2:3], v[8:9]
.LBB571_33:
	flat_store_dwordx4 v[4:5], v[0:3]
.LBB571_34:
	s_endpgm
	.section	.rodata,"a",@progbits
	.p2align	6, 0x0
	.amdhsa_kernel _ZL29rocblas_internal_gemmt_kernelIlLi16ELi32ELi8ELc84ELc84ELc76ELb0ELb0E19rocblas_complex_numIdES1_PKPKS1_PKPS1_EviT_T9_T10_S9_lSB_S9_lSA_T11_S9_li
		.amdhsa_group_segment_fixed_size 8192
		.amdhsa_private_segment_fixed_size 0
		.amdhsa_kernarg_size 124
		.amdhsa_user_sgpr_count 2
		.amdhsa_user_sgpr_dispatch_ptr 0
		.amdhsa_user_sgpr_queue_ptr 0
		.amdhsa_user_sgpr_kernarg_segment_ptr 1
		.amdhsa_user_sgpr_dispatch_id 0
		.amdhsa_user_sgpr_kernarg_preload_length 0
		.amdhsa_user_sgpr_kernarg_preload_offset 0
		.amdhsa_user_sgpr_private_segment_size 0
		.amdhsa_uses_dynamic_stack 0
		.amdhsa_enable_private_segment 0
		.amdhsa_system_sgpr_workgroup_id_x 1
		.amdhsa_system_sgpr_workgroup_id_y 1
		.amdhsa_system_sgpr_workgroup_id_z 1
		.amdhsa_system_sgpr_workgroup_info 0
		.amdhsa_system_vgpr_workitem_id 1
		.amdhsa_next_free_vgpr 66
		.amdhsa_next_free_sgpr 40
		.amdhsa_accum_offset 68
		.amdhsa_reserve_vcc 1
		.amdhsa_float_round_mode_32 0
		.amdhsa_float_round_mode_16_64 0
		.amdhsa_float_denorm_mode_32 3
		.amdhsa_float_denorm_mode_16_64 3
		.amdhsa_dx10_clamp 1
		.amdhsa_ieee_mode 1
		.amdhsa_fp16_overflow 0
		.amdhsa_tg_split 0
		.amdhsa_exception_fp_ieee_invalid_op 0
		.amdhsa_exception_fp_denorm_src 0
		.amdhsa_exception_fp_ieee_div_zero 0
		.amdhsa_exception_fp_ieee_overflow 0
		.amdhsa_exception_fp_ieee_underflow 0
		.amdhsa_exception_fp_ieee_inexact 0
		.amdhsa_exception_int_div_zero 0
	.end_amdhsa_kernel
	.section	.text._ZL29rocblas_internal_gemmt_kernelIlLi16ELi32ELi8ELc84ELc84ELc76ELb0ELb0E19rocblas_complex_numIdES1_PKPKS1_PKPS1_EviT_T9_T10_S9_lSB_S9_lSA_T11_S9_li,"axG",@progbits,_ZL29rocblas_internal_gemmt_kernelIlLi16ELi32ELi8ELc84ELc84ELc76ELb0ELb0E19rocblas_complex_numIdES1_PKPKS1_PKPS1_EviT_T9_T10_S9_lSB_S9_lSA_T11_S9_li,comdat
.Lfunc_end571:
	.size	_ZL29rocblas_internal_gemmt_kernelIlLi16ELi32ELi8ELc84ELc84ELc76ELb0ELb0E19rocblas_complex_numIdES1_PKPKS1_PKPS1_EviT_T9_T10_S9_lSB_S9_lSA_T11_S9_li, .Lfunc_end571-_ZL29rocblas_internal_gemmt_kernelIlLi16ELi32ELi8ELc84ELc84ELc76ELb0ELb0E19rocblas_complex_numIdES1_PKPKS1_PKPS1_EviT_T9_T10_S9_lSB_S9_lSA_T11_S9_li
                                        ; -- End function
	.set _ZL29rocblas_internal_gemmt_kernelIlLi16ELi32ELi8ELc84ELc84ELc76ELb0ELb0E19rocblas_complex_numIdES1_PKPKS1_PKPS1_EviT_T9_T10_S9_lSB_S9_lSA_T11_S9_li.num_vgpr, 66
	.set _ZL29rocblas_internal_gemmt_kernelIlLi16ELi32ELi8ELc84ELc84ELc76ELb0ELb0E19rocblas_complex_numIdES1_PKPKS1_PKPS1_EviT_T9_T10_S9_lSB_S9_lSA_T11_S9_li.num_agpr, 0
	.set _ZL29rocblas_internal_gemmt_kernelIlLi16ELi32ELi8ELc84ELc84ELc76ELb0ELb0E19rocblas_complex_numIdES1_PKPKS1_PKPS1_EviT_T9_T10_S9_lSB_S9_lSA_T11_S9_li.numbered_sgpr, 40
	.set _ZL29rocblas_internal_gemmt_kernelIlLi16ELi32ELi8ELc84ELc84ELc76ELb0ELb0E19rocblas_complex_numIdES1_PKPKS1_PKPS1_EviT_T9_T10_S9_lSB_S9_lSA_T11_S9_li.num_named_barrier, 0
	.set _ZL29rocblas_internal_gemmt_kernelIlLi16ELi32ELi8ELc84ELc84ELc76ELb0ELb0E19rocblas_complex_numIdES1_PKPKS1_PKPS1_EviT_T9_T10_S9_lSB_S9_lSA_T11_S9_li.private_seg_size, 0
	.set _ZL29rocblas_internal_gemmt_kernelIlLi16ELi32ELi8ELc84ELc84ELc76ELb0ELb0E19rocblas_complex_numIdES1_PKPKS1_PKPS1_EviT_T9_T10_S9_lSB_S9_lSA_T11_S9_li.uses_vcc, 1
	.set _ZL29rocblas_internal_gemmt_kernelIlLi16ELi32ELi8ELc84ELc84ELc76ELb0ELb0E19rocblas_complex_numIdES1_PKPKS1_PKPS1_EviT_T9_T10_S9_lSB_S9_lSA_T11_S9_li.uses_flat_scratch, 0
	.set _ZL29rocblas_internal_gemmt_kernelIlLi16ELi32ELi8ELc84ELc84ELc76ELb0ELb0E19rocblas_complex_numIdES1_PKPKS1_PKPS1_EviT_T9_T10_S9_lSB_S9_lSA_T11_S9_li.has_dyn_sized_stack, 0
	.set _ZL29rocblas_internal_gemmt_kernelIlLi16ELi32ELi8ELc84ELc84ELc76ELb0ELb0E19rocblas_complex_numIdES1_PKPKS1_PKPS1_EviT_T9_T10_S9_lSB_S9_lSA_T11_S9_li.has_recursion, 0
	.set _ZL29rocblas_internal_gemmt_kernelIlLi16ELi32ELi8ELc84ELc84ELc76ELb0ELb0E19rocblas_complex_numIdES1_PKPKS1_PKPS1_EviT_T9_T10_S9_lSB_S9_lSA_T11_S9_li.has_indirect_call, 0
	.section	.AMDGPU.csdata,"",@progbits
; Kernel info:
; codeLenInByte = 3224
; TotalNumSgprs: 46
; NumVgprs: 66
; NumAgprs: 0
; TotalNumVgprs: 66
; ScratchSize: 0
; MemoryBound: 0
; FloatMode: 240
; IeeeMode: 1
; LDSByteSize: 8192 bytes/workgroup (compile time only)
; SGPRBlocks: 5
; VGPRBlocks: 8
; NumSGPRsForWavesPerEU: 46
; NumVGPRsForWavesPerEU: 66
; AccumOffset: 68
; Occupancy: 7
; WaveLimiterHint : 1
; COMPUTE_PGM_RSRC2:SCRATCH_EN: 0
; COMPUTE_PGM_RSRC2:USER_SGPR: 2
; COMPUTE_PGM_RSRC2:TRAP_HANDLER: 0
; COMPUTE_PGM_RSRC2:TGID_X_EN: 1
; COMPUTE_PGM_RSRC2:TGID_Y_EN: 1
; COMPUTE_PGM_RSRC2:TGID_Z_EN: 1
; COMPUTE_PGM_RSRC2:TIDIG_COMP_CNT: 1
; COMPUTE_PGM_RSRC3_GFX90A:ACCUM_OFFSET: 16
; COMPUTE_PGM_RSRC3_GFX90A:TG_SPLIT: 0
	.section	.text._ZL29rocblas_internal_gemmt_kernelIlLi16ELi32ELi8ELc84ELc67ELc76ELb0ELb1E19rocblas_complex_numIdES1_PKPKS1_PKPS1_EviT_T9_T10_S9_lSB_S9_lSA_T11_S9_li,"axG",@progbits,_ZL29rocblas_internal_gemmt_kernelIlLi16ELi32ELi8ELc84ELc67ELc76ELb0ELb1E19rocblas_complex_numIdES1_PKPKS1_PKPS1_EviT_T9_T10_S9_lSB_S9_lSA_T11_S9_li,comdat
	.globl	_ZL29rocblas_internal_gemmt_kernelIlLi16ELi32ELi8ELc84ELc67ELc76ELb0ELb1E19rocblas_complex_numIdES1_PKPKS1_PKPS1_EviT_T9_T10_S9_lSB_S9_lSA_T11_S9_li ; -- Begin function _ZL29rocblas_internal_gemmt_kernelIlLi16ELi32ELi8ELc84ELc67ELc76ELb0ELb1E19rocblas_complex_numIdES1_PKPKS1_PKPS1_EviT_T9_T10_S9_lSB_S9_lSA_T11_S9_li
	.p2align	8
	.type	_ZL29rocblas_internal_gemmt_kernelIlLi16ELi32ELi8ELc84ELc67ELc76ELb0ELb1E19rocblas_complex_numIdES1_PKPKS1_PKPS1_EviT_T9_T10_S9_lSB_S9_lSA_T11_S9_li,@function
_ZL29rocblas_internal_gemmt_kernelIlLi16ELi32ELi8ELc84ELc67ELc76ELb0ELb1E19rocblas_complex_numIdES1_PKPKS1_PKPS1_EviT_T9_T10_S9_lSB_S9_lSA_T11_S9_li: ; @_ZL29rocblas_internal_gemmt_kernelIlLi16ELi32ELi8ELc84ELc67ELc76ELb0ELb1E19rocblas_complex_numIdES1_PKPKS1_PKPS1_EviT_T9_T10_S9_lSB_S9_lSA_T11_S9_li
; %bb.0:
	s_load_dwordx8 s[24:31], s[0:1], 0x48
	s_load_dwordx16 s[8:23], s[0:1], 0x8
	s_mov_b64 s[34:35], 0
	s_waitcnt lgkmcnt(0)
	v_cmp_eq_f64_e64 s[36:37], s[26:27], 1.0
	v_cmp_eq_f64_e64 s[6:7], s[28:29], 0
	s_and_b64 s[36:37], s[36:37], s[6:7]
	s_andn2_b64 vcc, exec, s[36:37]
	s_mov_b64 s[36:37], -1
	s_cbranch_vccnz .LBB572_4
; %bb.1:
	s_cmp_lg_u64 s[8:9], 0
	s_cbranch_scc0 .LBB572_3
; %bb.2:
	v_cmp_neq_f64_e64 s[34:35], s[10:11], 0
	v_cmp_neq_f64_e64 s[36:37], s[12:13], 0
	s_or_b64 s[34:35], s[34:35], s[36:37]
.LBB572_3:
	s_mov_b64 s[36:37], s[34:35]
.LBB572_4:
	s_and_b64 vcc, exec, s[36:37]
	s_cbranch_vccz .LBB572_32
; %bb.5:
	s_mov_b32 s5, 0
	s_load_dwordx4 s[36:39], s[0:1], 0x68
	s_load_dword s33, s[0:1], 0x0
	s_lshl_b64 s[0:1], s[4:5], 3
	s_add_u32 s4, s30, s0
	s_addc_u32 s5, s31, s1
	s_load_dwordx2 s[4:5], s[4:5], 0x0
	s_lshl_b32 s30, s2, 5
	s_lshl_b32 s31, s3, 5
	v_cmp_eq_f64_e64 s[2:3], s[10:11], 0
	v_cmp_eq_f64_e64 s[34:35], s[12:13], 0
	s_and_b64 s[2:3], s[2:3], s[34:35]
	v_cmp_lt_i64_e64 s[34:35], s[8:9], 1
	s_or_b64 s[2:3], s[2:3], s[34:35]
	v_and_b32_e32 v5, 0x3ff, v0
	v_bfe_u32 v7, v0, 10, 10
	v_mov_b64_e32 v[28:29], 0
	s_and_b64 vcc, exec, s[2:3]
	v_mov_b64_e32 v[30:31], 0
	v_mov_b64_e32 v[24:25], 0
	;; [unrolled: 1-line block ×7, first 2 shown]
	s_cbranch_vccnz .LBB572_16
; %bb.6:
	s_add_u32 s2, s20, s0
	s_addc_u32 s3, s21, s1
	s_load_dwordx2 s[2:3], s[2:3], 0x0
	s_lshl_b64 s[20:21], s[24:25], 4
	v_lshl_add_u32 v1, v7, 4, v5
	v_lshrrev_b32_e32 v6, 5, v1
	v_lshrrev_b32_e32 v10, 3, v1
	s_waitcnt lgkmcnt(0)
	s_add_u32 s20, s2, s20
	s_addc_u32 s21, s3, s21
	s_add_u32 s0, s14, s0
	s_addc_u32 s1, s15, s1
	s_load_dwordx2 s[0:1], s[0:1], 0x0
	s_lshl_b64 s[2:3], s[18:19], 4
	v_and_b32_e32 v1, 31, v1
	v_or_b32_e32 v2, s30, v1
	v_lshlrev_b32_e32 v1, 4, v1
	s_waitcnt lgkmcnt(0)
	s_add_u32 s2, s0, s2
	s_addc_u32 s3, s1, s3
	s_ashr_i32 s24, s30, 31
	v_and_b32_e32 v4, 7, v5
	v_cmp_gt_i32_e64 s[0:1], s33, v2
	v_cmp_le_i32_e64 s[14:15], s33, v2
	v_lshl_or_b32 v32, v6, 9, v1
	v_mul_lo_u32 v1, s17, v2
	v_mad_u64_u32 v[2:3], s[18:19], s16, v2, 0
	s_mul_i32 s16, s16, s24
	v_add3_u32 v3, v3, s16, v1
	v_lshlrev_b32_e32 v1, 4, v4
	v_add_u32_e32 v0, s31, v10
	v_lshl_or_b32 v1, v10, 7, v1
	v_add_u32_e32 v33, 0x1000, v1
	v_ashrrev_i32_e32 v1, 31, v0
	v_lshl_add_u64 v[8:9], v[2:3], 4, s[2:3]
	v_cmp_gt_i32_e64 s[2:3], s33, v0
	v_lshl_add_u64 v[10:11], v[0:1], 4, s[20:21]
	v_mov_b32_e32 v0, 0x1000
	v_mov_b32_e32 v13, 0
	v_lshlrev_b32_e32 v34, 4, v5
	v_lshl_add_u32 v35, v7, 7, v0
	v_mov_b64_e32 v[16:17], 0
	s_mov_b64 s[16:17], 0
	v_mov_b32_e32 v36, v13
	v_mov_b32_e32 v37, v13
	;; [unrolled: 1-line block ×4, first 2 shown]
	v_mov_b64_e32 v[18:19], 0
	v_mov_b64_e32 v[22:23], 0
	;; [unrolled: 1-line block ×7, first 2 shown]
                                        ; implicit-def: $vgpr14_vgpr15
	s_branch .LBB572_8
.LBB572_7:                              ;   in Loop: Header=BB572_8 Depth=1
	s_or_b64 exec, exec, s[18:19]
	ds_write_b128 v33, v[0:3]
	s_waitcnt lgkmcnt(0)
	s_barrier
	ds_read_b128 v[0:3], v34
	ds_read_b128 v[40:43], v35
	ds_read_b128 v[44:47], v35 offset:16
	ds_read_b128 v[48:51], v35 offset:32
	;; [unrolled: 1-line block ×4, first 2 shown]
	s_waitcnt lgkmcnt(4)
	v_mul_f64 v[60:61], v[42:43], v[2:3]
	v_fma_f64 v[60:61], v[40:41], v[0:1], -v[60:61]
	v_mul_f64 v[62:63], v[40:41], v[2:3]
	v_fmac_f64_e32 v[62:63], v[42:43], v[0:1]
	v_add_f64 v[60:61], v[28:29], v[60:61]
	s_waitcnt lgkmcnt(0)
	v_mul_f64 v[28:29], v[42:43], v[58:59]
	v_add_f64 v[62:63], v[62:63], v[30:31]
	v_fma_f64 v[64:65], v[40:41], v[56:57], -v[28:29]
	ds_read_b128 v[28:31], v35 offset:2048
	v_mul_f64 v[40:41], v[40:41], v[58:59]
	v_fmac_f64_e32 v[40:41], v[42:43], v[56:57]
	v_add_f64 v[42:43], v[24:25], v[64:65]
	v_add_f64 v[40:41], v[40:41], v[26:27]
	ds_read_b128 v[24:27], v35 offset:2064
	s_waitcnt lgkmcnt(1)
	v_mul_f64 v[64:65], v[30:31], v[2:3]
	v_mul_f64 v[2:3], v[28:29], v[2:3]
	v_fma_f64 v[64:65], v[28:29], v[0:1], -v[64:65]
	v_fmac_f64_e32 v[2:3], v[30:31], v[0:1]
	v_mul_f64 v[0:1], v[30:31], v[58:59]
	v_add_f64 v[20:21], v[20:21], v[64:65]
	v_add_f64 v[22:23], v[2:3], v[22:23]
	v_fma_f64 v[64:65], v[28:29], v[56:57], -v[0:1]
	v_mul_f64 v[28:29], v[28:29], v[58:59]
	ds_read_b128 v[0:3], v34 offset:512
	v_fmac_f64_e32 v[28:29], v[30:31], v[56:57]
	v_add_f64 v[30:31], v[18:19], v[64:65]
	v_add_f64 v[28:29], v[28:29], v[16:17]
	ds_read_b128 v[16:19], v34 offset:768
	s_waitcnt lgkmcnt(1)
	v_mul_f64 v[56:57], v[46:47], v[2:3]
	v_fma_f64 v[56:57], v[44:45], v[0:1], -v[56:57]
	v_add_f64 v[56:57], v[60:61], v[56:57]
	v_mul_f64 v[58:59], v[44:45], v[2:3]
	s_waitcnt lgkmcnt(0)
	v_mul_f64 v[60:61], v[46:47], v[18:19]
	v_fma_f64 v[60:61], v[44:45], v[16:17], -v[60:61]
	v_mul_f64 v[44:45], v[44:45], v[18:19]
	v_fmac_f64_e32 v[44:45], v[46:47], v[16:17]
	v_add_f64 v[40:41], v[44:45], v[40:41]
	v_mul_f64 v[44:45], v[26:27], v[2:3]
	v_mul_f64 v[2:3], v[24:25], v[2:3]
	v_fmac_f64_e32 v[58:59], v[46:47], v[0:1]
	v_fma_f64 v[44:45], v[24:25], v[0:1], -v[44:45]
	v_fmac_f64_e32 v[2:3], v[26:27], v[0:1]
	v_mul_f64 v[0:1], v[26:27], v[18:19]
	v_add_f64 v[44:45], v[20:21], v[44:45]
	v_add_f64 v[46:47], v[2:3], v[22:23]
	v_fma_f64 v[20:21], v[24:25], v[16:17], -v[0:1]
	v_mul_f64 v[18:19], v[24:25], v[18:19]
	ds_read_b128 v[0:3], v34 offset:1024
	v_fmac_f64_e32 v[18:19], v[26:27], v[16:17]
	v_add_f64 v[28:29], v[18:19], v[28:29]
	ds_read_b128 v[16:19], v34 offset:1280
	v_add_f64 v[30:31], v[30:31], v[20:21]
	s_waitcnt lgkmcnt(1)
	v_mul_f64 v[20:21], v[50:51], v[2:3]
	v_fma_f64 v[20:21], v[48:49], v[0:1], -v[20:21]
	v_mul_f64 v[22:23], v[48:49], v[2:3]
	v_add_f64 v[58:59], v[58:59], v[62:63]
	v_fmac_f64_e32 v[22:23], v[50:51], v[0:1]
	v_add_f64 v[56:57], v[56:57], v[20:21]
	s_waitcnt lgkmcnt(0)
	v_mul_f64 v[20:21], v[50:51], v[18:19]
	v_add_f64 v[58:59], v[22:23], v[58:59]
	v_fma_f64 v[24:25], v[48:49], v[16:17], -v[20:21]
	ds_read_b128 v[20:23], v35 offset:2080
	v_mul_f64 v[26:27], v[48:49], v[18:19]
	v_add_f64 v[42:43], v[42:43], v[60:61]
	v_fmac_f64_e32 v[26:27], v[50:51], v[16:17]
	v_add_f64 v[42:43], v[42:43], v[24:25]
	v_add_f64 v[40:41], v[26:27], v[40:41]
	ds_read_b128 v[24:27], v35 offset:2096
	s_waitcnt lgkmcnt(1)
	v_mul_f64 v[48:49], v[22:23], v[2:3]
	v_mul_f64 v[2:3], v[20:21], v[2:3]
	v_fma_f64 v[48:49], v[20:21], v[0:1], -v[48:49]
	v_fmac_f64_e32 v[2:3], v[22:23], v[0:1]
	v_mul_f64 v[0:1], v[22:23], v[18:19]
	v_mul_f64 v[18:19], v[20:21], v[18:19]
	v_fmac_f64_e32 v[18:19], v[22:23], v[16:17]
	v_add_f64 v[44:45], v[44:45], v[48:49]
	v_add_f64 v[46:47], v[2:3], v[46:47]
	v_fma_f64 v[48:49], v[20:21], v[16:17], -v[0:1]
	ds_read_b128 v[0:3], v34 offset:1536
	v_add_f64 v[22:23], v[18:19], v[28:29]
	ds_read_b128 v[16:19], v34 offset:1792
	v_add_f64 v[20:21], v[30:31], v[48:49]
	s_add_u32 s16, s16, 8
	s_waitcnt lgkmcnt(1)
	v_mul_f64 v[28:29], v[54:55], v[2:3]
	v_mul_f64 v[30:31], v[52:53], v[2:3]
	s_waitcnt lgkmcnt(0)
	v_mul_f64 v[48:49], v[54:55], v[18:19]
	v_fma_f64 v[48:49], v[52:53], v[16:17], -v[48:49]
	v_add_f64 v[42:43], v[42:43], v[48:49]
	v_mul_f64 v[48:49], v[26:27], v[2:3]
	v_mul_f64 v[2:3], v[24:25], v[2:3]
	v_fma_f64 v[28:29], v[52:53], v[0:1], -v[28:29]
	v_fmac_f64_e32 v[30:31], v[54:55], v[0:1]
	v_fma_f64 v[48:49], v[24:25], v[0:1], -v[48:49]
	v_fmac_f64_e32 v[2:3], v[26:27], v[0:1]
	v_mul_f64 v[0:1], v[26:27], v[18:19]
	v_mul_f64 v[50:51], v[52:53], v[18:19]
	v_add_f64 v[44:45], v[44:45], v[48:49]
	v_fma_f64 v[48:49], v[24:25], v[16:17], -v[0:1]
	v_mul_f64 v[24:25], v[24:25], v[18:19]
	v_fmac_f64_e32 v[50:51], v[54:55], v[16:17]
	v_add_f64 v[46:47], v[2:3], v[46:47]
	v_fmac_f64_e32 v[24:25], v[26:27], v[16:17]
	ds_read_b128 v[0:3], v35 offset:64
	ds_read_b128 v[16:19], v34 offset:2048
	v_add_f64 v[40:41], v[50:51], v[40:41]
	v_add_f64 v[48:49], v[20:21], v[48:49]
	;; [unrolled: 1-line block ×3, first 2 shown]
	ds_read_b128 v[20:23], v34 offset:2304
	ds_read_b128 v[24:27], v35 offset:80
	s_waitcnt lgkmcnt(2)
	v_mul_f64 v[52:53], v[2:3], v[18:19]
	v_add_f64 v[28:29], v[56:57], v[28:29]
	v_fma_f64 v[52:53], v[0:1], v[16:17], -v[52:53]
	v_mul_f64 v[54:55], v[0:1], v[18:19]
	v_add_f64 v[30:31], v[30:31], v[58:59]
	v_fmac_f64_e32 v[54:55], v[2:3], v[16:17]
	v_add_f64 v[52:53], v[28:29], v[52:53]
	s_waitcnt lgkmcnt(1)
	v_mul_f64 v[28:29], v[2:3], v[22:23]
	v_add_f64 v[54:55], v[54:55], v[30:31]
	v_fma_f64 v[56:57], v[0:1], v[20:21], -v[28:29]
	ds_read_b128 v[28:31], v35 offset:2112
	v_mul_f64 v[0:1], v[0:1], v[22:23]
	v_fmac_f64_e32 v[0:1], v[2:3], v[20:21]
	v_add_f64 v[42:43], v[42:43], v[56:57]
	v_add_f64 v[40:41], v[0:1], v[40:41]
	ds_read_b128 v[0:3], v35 offset:2128
	s_waitcnt lgkmcnt(1)
	v_mul_f64 v[56:57], v[30:31], v[18:19]
	v_mul_f64 v[18:19], v[28:29], v[18:19]
	v_fma_f64 v[56:57], v[28:29], v[16:17], -v[56:57]
	v_fmac_f64_e32 v[18:19], v[30:31], v[16:17]
	v_mul_f64 v[16:17], v[30:31], v[22:23]
	v_add_f64 v[44:45], v[44:45], v[56:57]
	v_add_f64 v[46:47], v[18:19], v[46:47]
	v_fma_f64 v[56:57], v[28:29], v[20:21], -v[16:17]
	v_mul_f64 v[22:23], v[28:29], v[22:23]
	ds_read_b128 v[16:19], v34 offset:2560
	v_fmac_f64_e32 v[22:23], v[30:31], v[20:21]
	v_add_f64 v[30:31], v[22:23], v[50:51]
	ds_read_b128 v[20:23], v34 offset:2816
	v_add_f64 v[28:29], v[48:49], v[56:57]
	s_waitcnt lgkmcnt(1)
	v_mul_f64 v[48:49], v[26:27], v[18:19]
	v_fma_f64 v[48:49], v[24:25], v[16:17], -v[48:49]
	v_add_f64 v[48:49], v[52:53], v[48:49]
	s_waitcnt lgkmcnt(0)
	v_mul_f64 v[52:53], v[26:27], v[22:23]
	v_mul_f64 v[50:51], v[24:25], v[18:19]
	v_fma_f64 v[52:53], v[24:25], v[20:21], -v[52:53]
	v_mul_f64 v[24:25], v[24:25], v[22:23]
	v_fmac_f64_e32 v[24:25], v[26:27], v[20:21]
	v_add_f64 v[40:41], v[24:25], v[40:41]
	v_mul_f64 v[24:25], v[2:3], v[18:19]
	v_mul_f64 v[18:19], v[0:1], v[18:19]
	v_fmac_f64_e32 v[50:51], v[26:27], v[16:17]
	v_fma_f64 v[24:25], v[0:1], v[16:17], -v[24:25]
	v_fmac_f64_e32 v[18:19], v[2:3], v[16:17]
	v_mul_f64 v[16:17], v[2:3], v[22:23]
	v_mul_f64 v[22:23], v[0:1], v[22:23]
	v_add_f64 v[44:45], v[44:45], v[24:25]
	v_add_f64 v[46:47], v[18:19], v[46:47]
	v_fma_f64 v[24:25], v[0:1], v[20:21], -v[16:17]
	v_fmac_f64_e32 v[22:23], v[2:3], v[20:21]
	ds_read_b128 v[0:3], v35 offset:96
	ds_read_b128 v[16:19], v34 offset:3072
	v_add_f64 v[50:51], v[50:51], v[54:55]
	v_add_f64 v[42:43], v[42:43], v[52:53]
	;; [unrolled: 1-line block ×4, first 2 shown]
	ds_read_b128 v[20:23], v34 offset:3328
	ds_read_b128 v[24:27], v35 offset:112
	s_waitcnt lgkmcnt(2)
	v_mul_f64 v[28:29], v[2:3], v[18:19]
	v_fma_f64 v[28:29], v[0:1], v[16:17], -v[28:29]
	v_mul_f64 v[30:31], v[0:1], v[18:19]
	v_fmac_f64_e32 v[30:31], v[2:3], v[16:17]
	v_add_f64 v[48:49], v[48:49], v[28:29]
	s_waitcnt lgkmcnt(1)
	v_mul_f64 v[28:29], v[2:3], v[22:23]
	v_add_f64 v[50:51], v[30:31], v[50:51]
	v_fma_f64 v[56:57], v[0:1], v[20:21], -v[28:29]
	ds_read_b128 v[28:31], v35 offset:2144
	v_mul_f64 v[0:1], v[0:1], v[22:23]
	v_fmac_f64_e32 v[0:1], v[2:3], v[20:21]
	v_add_f64 v[58:59], v[0:1], v[40:41]
	ds_read_b128 v[0:3], v35 offset:2160
	s_waitcnt lgkmcnt(1)
	v_mul_f64 v[40:41], v[30:31], v[18:19]
	v_mul_f64 v[18:19], v[28:29], v[18:19]
	v_fma_f64 v[40:41], v[28:29], v[16:17], -v[40:41]
	v_fmac_f64_e32 v[18:19], v[30:31], v[16:17]
	v_mul_f64 v[16:17], v[30:31], v[22:23]
	v_add_f64 v[44:45], v[44:45], v[40:41]
	v_add_f64 v[46:47], v[18:19], v[46:47]
	v_fma_f64 v[40:41], v[28:29], v[20:21], -v[16:17]
	ds_read_b128 v[16:19], v34 offset:3584
	v_add_f64 v[56:57], v[42:43], v[56:57]
	v_add_f64 v[52:53], v[52:53], v[40:41]
	ds_read_b128 v[40:43], v34 offset:3840
	v_mul_f64 v[22:23], v[28:29], v[22:23]
	v_fmac_f64_e32 v[22:23], v[30:31], v[20:21]
	s_waitcnt lgkmcnt(1)
	v_mul_f64 v[20:21], v[26:27], v[18:19]
	v_fma_f64 v[20:21], v[24:25], v[16:17], -v[20:21]
	v_add_f64 v[54:55], v[22:23], v[54:55]
	v_mul_f64 v[22:23], v[24:25], v[18:19]
	v_add_f64 v[28:29], v[48:49], v[20:21]
	s_waitcnt lgkmcnt(0)
	v_mul_f64 v[20:21], v[26:27], v[42:43]
	v_fmac_f64_e32 v[22:23], v[26:27], v[16:17]
	v_fma_f64 v[20:21], v[24:25], v[40:41], -v[20:21]
	v_add_f64 v[30:31], v[22:23], v[50:51]
	v_mul_f64 v[22:23], v[24:25], v[42:43]
	v_add_f64 v[24:25], v[56:57], v[20:21]
	v_mul_f64 v[20:21], v[2:3], v[18:19]
	v_mul_f64 v[18:19], v[0:1], v[18:19]
	v_fma_f64 v[20:21], v[0:1], v[16:17], -v[20:21]
	v_fmac_f64_e32 v[18:19], v[2:3], v[16:17]
	v_mul_f64 v[16:17], v[2:3], v[42:43]
	v_fma_f64 v[16:17], v[0:1], v[40:41], -v[16:17]
	v_mul_f64 v[0:1], v[0:1], v[42:43]
	v_fmac_f64_e32 v[22:23], v[26:27], v[40:41]
	v_fmac_f64_e32 v[0:1], v[2:3], v[40:41]
	s_addc_u32 s17, s17, 0
	v_add_f64 v[26:27], v[22:23], v[58:59]
	v_add_f64 v[22:23], v[18:19], v[46:47]
	;; [unrolled: 1-line block ×4, first 2 shown]
	v_mov_b64_e32 v[0:1], s[16:17]
	v_cmp_gt_i64_e32 vcc, s[8:9], v[0:1]
	v_add_f64 v[20:21], v[44:45], v[20:21]
	s_barrier
	s_cbranch_vccz .LBB572_16
.LBB572_8:                              ; =>This Inner Loop Header: Depth=1
	s_mov_b64 s[24:25], s[14:15]
	s_mov_b64 s[18:19], 0
	s_and_saveexec_b64 s[20:21], s[0:1]
	s_cbranch_execnz .LBB572_14
; %bb.9:                                ;   in Loop: Header=BB572_8 Depth=1
	s_or_b64 exec, exec, s[20:21]
	s_and_saveexec_b64 s[20:21], s[24:25]
	s_xor_b64 s[20:21], exec, s[20:21]
	s_cbranch_execnz .LBB572_15
.LBB572_10:                             ;   in Loop: Header=BB572_8 Depth=1
	s_or_b64 exec, exec, s[20:21]
	s_and_saveexec_b64 s[20:21], s[18:19]
	s_cbranch_execz .LBB572_12
.LBB572_11:                             ;   in Loop: Header=BB572_8 Depth=1
	v_lshl_add_u64 v[0:1], v[14:15], 4, v[8:9]
	flat_load_dwordx4 v[0:3], v[0:1]
	s_waitcnt vmcnt(0) lgkmcnt(0)
	ds_write2_b64 v32, v[0:1], v[2:3] offset1:1
.LBB572_12:                             ;   in Loop: Header=BB572_8 Depth=1
	s_or_b64 exec, exec, s[20:21]
	v_add_u32_e32 v12, s16, v4
	v_cmp_gt_u64_e32 vcc, s[8:9], v[12:13]
	s_and_b64 s[20:21], vcc, s[2:3]
	v_mov_b64_e32 v[0:1], 0
	v_mov_b64_e32 v[2:3], 0
	s_and_saveexec_b64 s[18:19], s[20:21]
	s_cbranch_execz .LBB572_7
; %bb.13:                               ;   in Loop: Header=BB572_8 Depth=1
	v_mad_u64_u32 v[0:1], s[20:21], s22, v12, 0
	v_mov_b32_e32 v2, v1
	v_mad_u64_u32 v[2:3], s[20:21], s23, v12, v[2:3]
	v_mov_b32_e32 v1, v2
	v_lshl_add_u64 v[0:1], v[0:1], 4, v[10:11]
	flat_load_dwordx4 v[0:3], v[0:1]
	s_waitcnt vmcnt(0) lgkmcnt(0)
	v_xor_b32_e32 v3, 0x80000000, v3
	s_branch .LBB572_7
.LBB572_14:                             ;   in Loop: Header=BB572_8 Depth=1
	v_add_u32_e32 v12, s16, v6
	v_cmp_le_u64_e32 vcc, s[8:9], v[12:13]
	s_andn2_b64 s[24:25], s[14:15], exec
	s_and_b64 s[34:35], vcc, exec
	s_mov_b64 s[18:19], exec
	s_or_b64 s[24:25], s[24:25], s[34:35]
	v_mov_b64_e32 v[14:15], v[12:13]
	s_or_b64 exec, exec, s[20:21]
	s_and_saveexec_b64 s[20:21], s[24:25]
	s_xor_b64 s[20:21], exec, s[20:21]
	s_cbranch_execz .LBB572_10
.LBB572_15:                             ;   in Loop: Header=BB572_8 Depth=1
	ds_write_b128 v32, v[36:39]
	s_andn2_b64 s[18:19], s[18:19], exec
	s_or_b64 exec, exec, s[20:21]
	s_and_saveexec_b64 s[20:21], s[18:19]
	s_cbranch_execnz .LBB572_11
	s_branch .LBB572_12
.LBB572_16:
	s_waitcnt lgkmcnt(0)
	s_lshl_b64 s[0:1], s[38:39], 4
	v_add_u32_e32 v10, s31, v7
	s_add_u32 s8, s4, s0
	v_ashrrev_i32_e32 v0, 31, v10
	s_addc_u32 s9, s5, s1
	v_cmp_neq_f64_e64 s[0:1], s[26:27], 0
	s_xor_b64 s[4:5], s[6:7], -1
	v_mul_lo_u32 v2, s36, v0
	v_mul_lo_u32 v3, s37, v10
	v_mad_u64_u32 v[0:1], s[2:3], s36, v10, 0
	v_add_u32_e32 v4, s30, v5
	v_add3_u32 v1, v1, v2, v3
	s_or_b64 s[0:1], s[0:1], s[4:5]
	v_lshl_add_u64 v[8:9], v[0:1], 4, s[8:9]
	v_cmp_le_i32_e32 vcc, v10, v4
	v_cmp_gt_i32_e64 s[2:3], s33, v4
	v_cndmask_b32_e64 v0, 0, 1, s[0:1]
	s_and_b64 s[6:7], vcc, s[2:3]
	v_ashrrev_i32_e32 v5, 31, v4
	v_cmp_ne_u32_e64 s[0:1], 1, v0
	s_and_saveexec_b64 s[4:5], s[6:7]
	s_cbranch_execz .LBB572_20
; %bb.17:
	v_mul_f64 v[0:1], s[12:13], v[30:31]
	v_mul_f64 v[2:3], s[10:11], v[30:31]
	v_fma_f64 v[0:1], s[10:11], v[28:29], -v[0:1]
	v_fmac_f64_e32 v[2:3], s[12:13], v[28:29]
	s_and_b64 vcc, exec, s[0:1]
	v_lshl_add_u64 v[6:7], v[4:5], 4, v[8:9]
	s_cbranch_vccnz .LBB572_19
; %bb.18:
	flat_load_dwordx4 v[12:15], v[6:7]
	s_waitcnt vmcnt(0) lgkmcnt(0)
	v_mul_f64 v[28:29], s[28:29], v[14:15]
	v_mul_f64 v[14:15], s[26:27], v[14:15]
	v_fma_f64 v[28:29], s[26:27], v[12:13], -v[28:29]
	v_fmac_f64_e32 v[14:15], s[28:29], v[12:13]
	v_add_f64 v[0:1], v[0:1], v[28:29]
	v_add_f64 v[2:3], v[2:3], v[14:15]
.LBB572_19:
	flat_store_dwordx4 v[6:7], v[0:3]
.LBB572_20:
	s_or_b64 exec, exec, s[4:5]
	v_add_u32_e32 v6, 16, v4
	v_cmp_le_i32_e32 vcc, v10, v6
	v_cmp_gt_i32_e64 s[4:5], s33, v6
	s_and_b64 s[14:15], vcc, s[4:5]
	v_ashrrev_i32_e32 v7, 31, v6
	s_and_saveexec_b64 s[6:7], s[14:15]
	s_cbranch_execz .LBB572_24
; %bb.21:
	v_mul_f64 v[0:1], s[12:13], v[26:27]
	v_mul_f64 v[2:3], s[10:11], v[26:27]
	v_fma_f64 v[0:1], s[10:11], v[24:25], -v[0:1]
	v_fmac_f64_e32 v[2:3], s[12:13], v[24:25]
	s_and_b64 vcc, exec, s[0:1]
	v_lshl_add_u64 v[8:9], v[6:7], 4, v[8:9]
	s_cbranch_vccnz .LBB572_23
; %bb.22:
	flat_load_dwordx4 v[12:15], v[8:9]
	s_waitcnt vmcnt(0) lgkmcnt(0)
	v_mul_f64 v[24:25], s[28:29], v[14:15]
	v_mul_f64 v[14:15], s[26:27], v[14:15]
	v_fma_f64 v[24:25], s[26:27], v[12:13], -v[24:25]
	v_fmac_f64_e32 v[14:15], s[28:29], v[12:13]
	v_add_f64 v[0:1], v[0:1], v[24:25]
	v_add_f64 v[2:3], v[2:3], v[14:15]
.LBB572_23:
	flat_store_dwordx4 v[8:9], v[0:3]
.LBB572_24:
	s_or_b64 exec, exec, s[6:7]
	v_add_u32_e32 v10, 16, v10
	v_ashrrev_i32_e32 v0, 31, v10
	v_mul_lo_u32 v2, s36, v0
	v_mul_lo_u32 v3, s37, v10
	v_mad_u64_u32 v[0:1], s[6:7], s36, v10, 0
	v_add3_u32 v1, v1, v2, v3
	v_cmp_le_i32_e32 vcc, v10, v4
	v_lshl_add_u64 v[8:9], v[0:1], 4, s[8:9]
	s_and_b64 s[6:7], vcc, s[2:3]
	s_and_saveexec_b64 s[2:3], s[6:7]
	s_cbranch_execz .LBB572_28
; %bb.25:
	v_mul_f64 v[0:1], s[12:13], v[22:23]
	v_mul_f64 v[2:3], s[10:11], v[22:23]
	v_fma_f64 v[0:1], s[10:11], v[20:21], -v[0:1]
	v_fmac_f64_e32 v[2:3], s[12:13], v[20:21]
	s_and_b64 vcc, exec, s[0:1]
	v_lshl_add_u64 v[4:5], v[4:5], 4, v[8:9]
	s_cbranch_vccnz .LBB572_27
; %bb.26:
	flat_load_dwordx4 v[12:15], v[4:5]
	s_waitcnt vmcnt(0) lgkmcnt(0)
	v_mul_f64 v[20:21], s[28:29], v[14:15]
	v_mul_f64 v[14:15], s[26:27], v[14:15]
	v_fma_f64 v[20:21], s[26:27], v[12:13], -v[20:21]
	v_fmac_f64_e32 v[14:15], s[28:29], v[12:13]
	v_add_f64 v[0:1], v[0:1], v[20:21]
	v_add_f64 v[2:3], v[2:3], v[14:15]
.LBB572_27:
	flat_store_dwordx4 v[4:5], v[0:3]
.LBB572_28:
	s_or_b64 exec, exec, s[2:3]
	v_cmp_le_i32_e32 vcc, v10, v6
	s_and_b64 s[2:3], vcc, s[4:5]
	s_and_saveexec_b64 s[4:5], s[2:3]
	s_cbranch_execz .LBB572_32
; %bb.29:
	v_mul_f64 v[0:1], s[12:13], v[16:17]
	v_mul_f64 v[2:3], s[10:11], v[16:17]
	v_fma_f64 v[0:1], s[10:11], v[18:19], -v[0:1]
	v_fmac_f64_e32 v[2:3], s[12:13], v[18:19]
	s_and_b64 vcc, exec, s[0:1]
	v_lshl_add_u64 v[4:5], v[6:7], 4, v[8:9]
	s_cbranch_vccnz .LBB572_31
; %bb.30:
	flat_load_dwordx4 v[6:9], v[4:5]
	s_waitcnt vmcnt(0) lgkmcnt(0)
	v_mul_f64 v[10:11], s[28:29], v[8:9]
	v_mul_f64 v[8:9], s[26:27], v[8:9]
	v_fma_f64 v[10:11], s[26:27], v[6:7], -v[10:11]
	v_fmac_f64_e32 v[8:9], s[28:29], v[6:7]
	v_add_f64 v[0:1], v[0:1], v[10:11]
	v_add_f64 v[2:3], v[2:3], v[8:9]
.LBB572_31:
	flat_store_dwordx4 v[4:5], v[0:3]
.LBB572_32:
	s_endpgm
	.section	.rodata,"a",@progbits
	.p2align	6, 0x0
	.amdhsa_kernel _ZL29rocblas_internal_gemmt_kernelIlLi16ELi32ELi8ELc84ELc67ELc76ELb0ELb1E19rocblas_complex_numIdES1_PKPKS1_PKPS1_EviT_T9_T10_S9_lSB_S9_lSA_T11_S9_li
		.amdhsa_group_segment_fixed_size 8192
		.amdhsa_private_segment_fixed_size 0
		.amdhsa_kernarg_size 124
		.amdhsa_user_sgpr_count 2
		.amdhsa_user_sgpr_dispatch_ptr 0
		.amdhsa_user_sgpr_queue_ptr 0
		.amdhsa_user_sgpr_kernarg_segment_ptr 1
		.amdhsa_user_sgpr_dispatch_id 0
		.amdhsa_user_sgpr_kernarg_preload_length 0
		.amdhsa_user_sgpr_kernarg_preload_offset 0
		.amdhsa_user_sgpr_private_segment_size 0
		.amdhsa_uses_dynamic_stack 0
		.amdhsa_enable_private_segment 0
		.amdhsa_system_sgpr_workgroup_id_x 1
		.amdhsa_system_sgpr_workgroup_id_y 1
		.amdhsa_system_sgpr_workgroup_id_z 1
		.amdhsa_system_sgpr_workgroup_info 0
		.amdhsa_system_vgpr_workitem_id 1
		.amdhsa_next_free_vgpr 66
		.amdhsa_next_free_sgpr 40
		.amdhsa_accum_offset 68
		.amdhsa_reserve_vcc 1
		.amdhsa_float_round_mode_32 0
		.amdhsa_float_round_mode_16_64 0
		.amdhsa_float_denorm_mode_32 3
		.amdhsa_float_denorm_mode_16_64 3
		.amdhsa_dx10_clamp 1
		.amdhsa_ieee_mode 1
		.amdhsa_fp16_overflow 0
		.amdhsa_tg_split 0
		.amdhsa_exception_fp_ieee_invalid_op 0
		.amdhsa_exception_fp_denorm_src 0
		.amdhsa_exception_fp_ieee_div_zero 0
		.amdhsa_exception_fp_ieee_overflow 0
		.amdhsa_exception_fp_ieee_underflow 0
		.amdhsa_exception_fp_ieee_inexact 0
		.amdhsa_exception_int_div_zero 0
	.end_amdhsa_kernel
	.section	.text._ZL29rocblas_internal_gemmt_kernelIlLi16ELi32ELi8ELc84ELc67ELc76ELb0ELb1E19rocblas_complex_numIdES1_PKPKS1_PKPS1_EviT_T9_T10_S9_lSB_S9_lSA_T11_S9_li,"axG",@progbits,_ZL29rocblas_internal_gemmt_kernelIlLi16ELi32ELi8ELc84ELc67ELc76ELb0ELb1E19rocblas_complex_numIdES1_PKPKS1_PKPS1_EviT_T9_T10_S9_lSB_S9_lSA_T11_S9_li,comdat
.Lfunc_end572:
	.size	_ZL29rocblas_internal_gemmt_kernelIlLi16ELi32ELi8ELc84ELc67ELc76ELb0ELb1E19rocblas_complex_numIdES1_PKPKS1_PKPS1_EviT_T9_T10_S9_lSB_S9_lSA_T11_S9_li, .Lfunc_end572-_ZL29rocblas_internal_gemmt_kernelIlLi16ELi32ELi8ELc84ELc67ELc76ELb0ELb1E19rocblas_complex_numIdES1_PKPKS1_PKPS1_EviT_T9_T10_S9_lSB_S9_lSA_T11_S9_li
                                        ; -- End function
	.set _ZL29rocblas_internal_gemmt_kernelIlLi16ELi32ELi8ELc84ELc67ELc76ELb0ELb1E19rocblas_complex_numIdES1_PKPKS1_PKPS1_EviT_T9_T10_S9_lSB_S9_lSA_T11_S9_li.num_vgpr, 66
	.set _ZL29rocblas_internal_gemmt_kernelIlLi16ELi32ELi8ELc84ELc67ELc76ELb0ELb1E19rocblas_complex_numIdES1_PKPKS1_PKPS1_EviT_T9_T10_S9_lSB_S9_lSA_T11_S9_li.num_agpr, 0
	.set _ZL29rocblas_internal_gemmt_kernelIlLi16ELi32ELi8ELc84ELc67ELc76ELb0ELb1E19rocblas_complex_numIdES1_PKPKS1_PKPS1_EviT_T9_T10_S9_lSB_S9_lSA_T11_S9_li.numbered_sgpr, 40
	.set _ZL29rocblas_internal_gemmt_kernelIlLi16ELi32ELi8ELc84ELc67ELc76ELb0ELb1E19rocblas_complex_numIdES1_PKPKS1_PKPS1_EviT_T9_T10_S9_lSB_S9_lSA_T11_S9_li.num_named_barrier, 0
	.set _ZL29rocblas_internal_gemmt_kernelIlLi16ELi32ELi8ELc84ELc67ELc76ELb0ELb1E19rocblas_complex_numIdES1_PKPKS1_PKPS1_EviT_T9_T10_S9_lSB_S9_lSA_T11_S9_li.private_seg_size, 0
	.set _ZL29rocblas_internal_gemmt_kernelIlLi16ELi32ELi8ELc84ELc67ELc76ELb0ELb1E19rocblas_complex_numIdES1_PKPKS1_PKPS1_EviT_T9_T10_S9_lSB_S9_lSA_T11_S9_li.uses_vcc, 1
	.set _ZL29rocblas_internal_gemmt_kernelIlLi16ELi32ELi8ELc84ELc67ELc76ELb0ELb1E19rocblas_complex_numIdES1_PKPKS1_PKPS1_EviT_T9_T10_S9_lSB_S9_lSA_T11_S9_li.uses_flat_scratch, 0
	.set _ZL29rocblas_internal_gemmt_kernelIlLi16ELi32ELi8ELc84ELc67ELc76ELb0ELb1E19rocblas_complex_numIdES1_PKPKS1_PKPS1_EviT_T9_T10_S9_lSB_S9_lSA_T11_S9_li.has_dyn_sized_stack, 0
	.set _ZL29rocblas_internal_gemmt_kernelIlLi16ELi32ELi8ELc84ELc67ELc76ELb0ELb1E19rocblas_complex_numIdES1_PKPKS1_PKPS1_EviT_T9_T10_S9_lSB_S9_lSA_T11_S9_li.has_recursion, 0
	.set _ZL29rocblas_internal_gemmt_kernelIlLi16ELi32ELi8ELc84ELc67ELc76ELb0ELb1E19rocblas_complex_numIdES1_PKPKS1_PKPS1_EviT_T9_T10_S9_lSB_S9_lSA_T11_S9_li.has_indirect_call, 0
	.section	.AMDGPU.csdata,"",@progbits
; Kernel info:
; codeLenInByte = 3224
; TotalNumSgprs: 46
; NumVgprs: 66
; NumAgprs: 0
; TotalNumVgprs: 66
; ScratchSize: 0
; MemoryBound: 1
; FloatMode: 240
; IeeeMode: 1
; LDSByteSize: 8192 bytes/workgroup (compile time only)
; SGPRBlocks: 5
; VGPRBlocks: 8
; NumSGPRsForWavesPerEU: 46
; NumVGPRsForWavesPerEU: 66
; AccumOffset: 68
; Occupancy: 7
; WaveLimiterHint : 1
; COMPUTE_PGM_RSRC2:SCRATCH_EN: 0
; COMPUTE_PGM_RSRC2:USER_SGPR: 2
; COMPUTE_PGM_RSRC2:TRAP_HANDLER: 0
; COMPUTE_PGM_RSRC2:TGID_X_EN: 1
; COMPUTE_PGM_RSRC2:TGID_Y_EN: 1
; COMPUTE_PGM_RSRC2:TGID_Z_EN: 1
; COMPUTE_PGM_RSRC2:TIDIG_COMP_CNT: 1
; COMPUTE_PGM_RSRC3_GFX90A:ACCUM_OFFSET: 16
; COMPUTE_PGM_RSRC3_GFX90A:TG_SPLIT: 0
	.section	.text._ZL29rocblas_internal_gemmt_kernelIlLi16ELi32ELi8ELc67ELc78ELc76ELb1ELb0E19rocblas_complex_numIdES1_PKPKS1_PKPS1_EviT_T9_T10_S9_lSB_S9_lSA_T11_S9_li,"axG",@progbits,_ZL29rocblas_internal_gemmt_kernelIlLi16ELi32ELi8ELc67ELc78ELc76ELb1ELb0E19rocblas_complex_numIdES1_PKPKS1_PKPS1_EviT_T9_T10_S9_lSB_S9_lSA_T11_S9_li,comdat
	.globl	_ZL29rocblas_internal_gemmt_kernelIlLi16ELi32ELi8ELc67ELc78ELc76ELb1ELb0E19rocblas_complex_numIdES1_PKPKS1_PKPS1_EviT_T9_T10_S9_lSB_S9_lSA_T11_S9_li ; -- Begin function _ZL29rocblas_internal_gemmt_kernelIlLi16ELi32ELi8ELc67ELc78ELc76ELb1ELb0E19rocblas_complex_numIdES1_PKPKS1_PKPS1_EviT_T9_T10_S9_lSB_S9_lSA_T11_S9_li
	.p2align	8
	.type	_ZL29rocblas_internal_gemmt_kernelIlLi16ELi32ELi8ELc67ELc78ELc76ELb1ELb0E19rocblas_complex_numIdES1_PKPKS1_PKPS1_EviT_T9_T10_S9_lSB_S9_lSA_T11_S9_li,@function
_ZL29rocblas_internal_gemmt_kernelIlLi16ELi32ELi8ELc67ELc78ELc76ELb1ELb0E19rocblas_complex_numIdES1_PKPKS1_PKPS1_EviT_T9_T10_S9_lSB_S9_lSA_T11_S9_li: ; @_ZL29rocblas_internal_gemmt_kernelIlLi16ELi32ELi8ELc67ELc78ELc76ELb1ELb0E19rocblas_complex_numIdES1_PKPKS1_PKPS1_EviT_T9_T10_S9_lSB_S9_lSA_T11_S9_li
; %bb.0:
	s_load_dwordx8 s[24:31], s[0:1], 0x48
	s_load_dwordx16 s[8:23], s[0:1], 0x8
	s_mov_b64 s[34:35], 0
	s_waitcnt lgkmcnt(0)
	v_cmp_eq_f64_e64 s[36:37], s[26:27], 1.0
	v_cmp_eq_f64_e64 s[6:7], s[28:29], 0
	s_and_b64 s[36:37], s[36:37], s[6:7]
	s_andn2_b64 vcc, exec, s[36:37]
	s_mov_b64 s[36:37], -1
	s_cbranch_vccnz .LBB573_4
; %bb.1:
	s_cmp_lg_u64 s[8:9], 0
	s_cbranch_scc0 .LBB573_3
; %bb.2:
	v_cmp_neq_f64_e64 s[34:35], s[10:11], 0
	v_cmp_neq_f64_e64 s[36:37], s[12:13], 0
	s_or_b64 s[34:35], s[34:35], s[36:37]
.LBB573_3:
	s_mov_b64 s[36:37], s[34:35]
.LBB573_4:
	s_and_b64 vcc, exec, s[36:37]
	s_cbranch_vccz .LBB573_32
; %bb.5:
	s_mov_b32 s5, 0
	s_load_dwordx4 s[36:39], s[0:1], 0x68
	s_load_dword s33, s[0:1], 0x0
	s_lshl_b64 s[0:1], s[4:5], 3
	s_add_u32 s4, s30, s0
	s_addc_u32 s5, s31, s1
	s_load_dwordx2 s[4:5], s[4:5], 0x0
	s_lshl_b32 s30, s2, 5
	s_lshl_b32 s31, s3, 5
	v_cmp_eq_f64_e64 s[2:3], s[10:11], 0
	v_cmp_eq_f64_e64 s[34:35], s[12:13], 0
	s_and_b64 s[2:3], s[2:3], s[34:35]
	v_cmp_lt_i64_e64 s[34:35], s[8:9], 1
	s_or_b64 s[2:3], s[2:3], s[34:35]
	v_and_b32_e32 v5, 0x3ff, v0
	v_bfe_u32 v7, v0, 10, 10
	v_mov_b64_e32 v[26:27], 0
	s_and_b64 vcc, exec, s[2:3]
	v_mov_b64_e32 v[28:29], 0
	v_mov_b64_e32 v[22:23], 0
	;; [unrolled: 1-line block ×7, first 2 shown]
	s_cbranch_vccnz .LBB573_16
; %bb.6:
	s_add_u32 s2, s20, s0
	s_addc_u32 s3, s21, s1
	s_load_dwordx2 s[2:3], s[2:3], 0x0
	s_lshl_b64 s[20:21], s[24:25], 4
	v_lshl_add_u32 v0, v7, 4, v5
	v_lshrrev_b32_e32 v6, 5, v0
	v_lshrrev_b32_e32 v2, 3, v0
	s_waitcnt lgkmcnt(0)
	s_add_u32 s2, s2, s20
	s_addc_u32 s3, s3, s21
	s_add_u32 s0, s14, s0
	s_addc_u32 s1, s15, s1
	s_load_dwordx2 s[0:1], s[0:1], 0x0
	s_lshl_b64 s[14:15], s[18:19], 4
	v_and_b32_e32 v0, 31, v0
	v_or_b32_e32 v1, s30, v0
	v_lshlrev_b32_e32 v0, 4, v0
	s_waitcnt lgkmcnt(0)
	s_add_u32 s14, s0, s14
	s_addc_u32 s15, s1, s15
	s_ashr_i32 s20, s30, 31
	v_cmp_gt_i32_e64 s[0:1], s33, v1
	v_lshl_or_b32 v30, v6, 9, v0
	v_mul_lo_u32 v8, s17, v1
	v_mad_u64_u32 v[0:1], s[18:19], s16, v1, 0
	s_mul_i32 s16, s16, s20
	v_and_b32_e32 v4, 7, v5
	v_add3_u32 v1, v1, s16, v8
	v_lshl_add_u64 v[8:9], v[0:1], 4, s[14:15]
	v_lshlrev_b32_e32 v0, 4, v4
	v_add_u32_e32 v3, s31, v2
	v_lshl_or_b32 v0, v2, 7, v0
	v_add_u32_e32 v31, 0x1000, v0
	v_ashrrev_i32_e32 v0, 31, v3
	v_mul_lo_u32 v2, s22, v0
	v_mul_lo_u32 v10, s23, v3
	v_mad_u64_u32 v[0:1], s[14:15], s22, v3, 0
	v_add3_u32 v1, v1, v2, v10
	v_cmp_gt_i32_e32 vcc, s33, v3
	v_lshl_add_u64 v[10:11], v[0:1], 4, s[2:3]
	v_mov_b32_e32 v0, 0x1000
	v_mov_b32_e32 v13, 0
	v_lshlrev_b32_e32 v32, 4, v5
	v_lshl_add_u32 v33, v7, 7, v0
	v_mov_b64_e32 v[14:15], 0
	s_mov_b64 s[2:3], 0
	s_xor_b64 s[14:15], vcc, -1
	v_mov_b32_e32 v34, v13
	v_mov_b32_e32 v35, v13
	;; [unrolled: 1-line block ×4, first 2 shown]
	v_mov_b64_e32 v[16:17], 0
	v_mov_b64_e32 v[20:21], 0
	v_mov_b64_e32 v[18:19], 0
	v_mov_b64_e32 v[24:25], 0
	v_mov_b64_e32 v[22:23], 0
	v_mov_b64_e32 v[28:29], 0
	v_mov_b64_e32 v[26:27], 0
	s_branch .LBB573_8
.LBB573_7:                              ;   in Loop: Header=BB573_8 Depth=1
	s_or_b64 exec, exec, s[16:17]
	s_waitcnt lgkmcnt(0)
	s_barrier
	ds_read_b128 v[0:3], v32
	ds_read_b128 v[38:41], v33
	ds_read_b128 v[42:45], v33 offset:16
	ds_read_b128 v[46:49], v33 offset:32
	;; [unrolled: 1-line block ×4, first 2 shown]
	s_waitcnt lgkmcnt(4)
	v_mul_f64 v[58:59], v[40:41], v[2:3]
	v_fma_f64 v[58:59], v[38:39], v[0:1], -v[58:59]
	v_mul_f64 v[60:61], v[38:39], v[2:3]
	v_fmac_f64_e32 v[60:61], v[40:41], v[0:1]
	v_add_f64 v[58:59], v[26:27], v[58:59]
	s_waitcnt lgkmcnt(0)
	v_mul_f64 v[26:27], v[40:41], v[56:57]
	v_add_f64 v[60:61], v[60:61], v[28:29]
	v_fma_f64 v[62:63], v[38:39], v[54:55], -v[26:27]
	ds_read_b128 v[26:29], v33 offset:2048
	v_mul_f64 v[38:39], v[38:39], v[56:57]
	v_fmac_f64_e32 v[38:39], v[40:41], v[54:55]
	v_add_f64 v[40:41], v[22:23], v[62:63]
	v_add_f64 v[38:39], v[38:39], v[24:25]
	ds_read_b128 v[22:25], v33 offset:2064
	s_waitcnt lgkmcnt(1)
	v_mul_f64 v[62:63], v[28:29], v[2:3]
	v_mul_f64 v[2:3], v[26:27], v[2:3]
	v_fma_f64 v[62:63], v[26:27], v[0:1], -v[62:63]
	v_fmac_f64_e32 v[2:3], v[28:29], v[0:1]
	v_mul_f64 v[0:1], v[28:29], v[56:57]
	v_add_f64 v[18:19], v[18:19], v[62:63]
	v_add_f64 v[20:21], v[2:3], v[20:21]
	v_fma_f64 v[62:63], v[26:27], v[54:55], -v[0:1]
	v_mul_f64 v[26:27], v[26:27], v[56:57]
	ds_read_b128 v[0:3], v32 offset:512
	v_fmac_f64_e32 v[26:27], v[28:29], v[54:55]
	v_add_f64 v[28:29], v[16:17], v[62:63]
	v_add_f64 v[26:27], v[26:27], v[14:15]
	ds_read_b128 v[14:17], v32 offset:768
	s_waitcnt lgkmcnt(1)
	v_mul_f64 v[54:55], v[44:45], v[2:3]
	v_fma_f64 v[54:55], v[42:43], v[0:1], -v[54:55]
	v_add_f64 v[54:55], v[58:59], v[54:55]
	v_mul_f64 v[56:57], v[42:43], v[2:3]
	s_waitcnt lgkmcnt(0)
	v_mul_f64 v[58:59], v[44:45], v[16:17]
	v_fma_f64 v[58:59], v[42:43], v[14:15], -v[58:59]
	v_mul_f64 v[42:43], v[42:43], v[16:17]
	v_fmac_f64_e32 v[42:43], v[44:45], v[14:15]
	v_add_f64 v[38:39], v[42:43], v[38:39]
	v_mul_f64 v[42:43], v[24:25], v[2:3]
	v_mul_f64 v[2:3], v[22:23], v[2:3]
	v_fmac_f64_e32 v[56:57], v[44:45], v[0:1]
	v_fma_f64 v[42:43], v[22:23], v[0:1], -v[42:43]
	v_fmac_f64_e32 v[2:3], v[24:25], v[0:1]
	v_mul_f64 v[0:1], v[24:25], v[16:17]
	v_add_f64 v[42:43], v[18:19], v[42:43]
	v_add_f64 v[44:45], v[2:3], v[20:21]
	v_fma_f64 v[18:19], v[22:23], v[14:15], -v[0:1]
	v_mul_f64 v[16:17], v[22:23], v[16:17]
	ds_read_b128 v[0:3], v32 offset:1024
	v_fmac_f64_e32 v[16:17], v[24:25], v[14:15]
	v_add_f64 v[26:27], v[16:17], v[26:27]
	ds_read_b128 v[14:17], v32 offset:1280
	v_add_f64 v[28:29], v[28:29], v[18:19]
	s_waitcnt lgkmcnt(1)
	v_mul_f64 v[18:19], v[48:49], v[2:3]
	v_fma_f64 v[18:19], v[46:47], v[0:1], -v[18:19]
	v_mul_f64 v[20:21], v[46:47], v[2:3]
	v_add_f64 v[56:57], v[56:57], v[60:61]
	v_fmac_f64_e32 v[20:21], v[48:49], v[0:1]
	v_add_f64 v[54:55], v[54:55], v[18:19]
	s_waitcnt lgkmcnt(0)
	v_mul_f64 v[18:19], v[48:49], v[16:17]
	v_add_f64 v[56:57], v[20:21], v[56:57]
	v_fma_f64 v[22:23], v[46:47], v[14:15], -v[18:19]
	ds_read_b128 v[18:21], v33 offset:2080
	v_mul_f64 v[24:25], v[46:47], v[16:17]
	v_add_f64 v[40:41], v[40:41], v[58:59]
	v_fmac_f64_e32 v[24:25], v[48:49], v[14:15]
	v_add_f64 v[40:41], v[40:41], v[22:23]
	v_add_f64 v[38:39], v[24:25], v[38:39]
	ds_read_b128 v[22:25], v33 offset:2096
	s_waitcnt lgkmcnt(1)
	v_mul_f64 v[46:47], v[20:21], v[2:3]
	v_mul_f64 v[2:3], v[18:19], v[2:3]
	v_fma_f64 v[46:47], v[18:19], v[0:1], -v[46:47]
	v_fmac_f64_e32 v[2:3], v[20:21], v[0:1]
	v_mul_f64 v[0:1], v[20:21], v[16:17]
	v_mul_f64 v[16:17], v[18:19], v[16:17]
	v_fmac_f64_e32 v[16:17], v[20:21], v[14:15]
	v_add_f64 v[42:43], v[42:43], v[46:47]
	v_add_f64 v[44:45], v[2:3], v[44:45]
	v_fma_f64 v[46:47], v[18:19], v[14:15], -v[0:1]
	ds_read_b128 v[0:3], v32 offset:1536
	v_add_f64 v[20:21], v[16:17], v[26:27]
	ds_read_b128 v[14:17], v32 offset:1792
	v_add_f64 v[18:19], v[28:29], v[46:47]
	s_add_u32 s2, s2, 8
	s_waitcnt lgkmcnt(1)
	v_mul_f64 v[26:27], v[52:53], v[2:3]
	v_mul_f64 v[28:29], v[50:51], v[2:3]
	s_waitcnt lgkmcnt(0)
	v_mul_f64 v[46:47], v[52:53], v[16:17]
	v_fma_f64 v[46:47], v[50:51], v[14:15], -v[46:47]
	v_add_f64 v[40:41], v[40:41], v[46:47]
	v_mul_f64 v[46:47], v[24:25], v[2:3]
	v_mul_f64 v[2:3], v[22:23], v[2:3]
	v_fma_f64 v[26:27], v[50:51], v[0:1], -v[26:27]
	v_fmac_f64_e32 v[28:29], v[52:53], v[0:1]
	v_fma_f64 v[46:47], v[22:23], v[0:1], -v[46:47]
	v_fmac_f64_e32 v[2:3], v[24:25], v[0:1]
	v_mul_f64 v[0:1], v[24:25], v[16:17]
	v_mul_f64 v[48:49], v[50:51], v[16:17]
	v_add_f64 v[42:43], v[42:43], v[46:47]
	v_fma_f64 v[46:47], v[22:23], v[14:15], -v[0:1]
	v_mul_f64 v[22:23], v[22:23], v[16:17]
	v_fmac_f64_e32 v[48:49], v[52:53], v[14:15]
	v_add_f64 v[44:45], v[2:3], v[44:45]
	v_fmac_f64_e32 v[22:23], v[24:25], v[14:15]
	ds_read_b128 v[0:3], v33 offset:64
	ds_read_b128 v[14:17], v32 offset:2048
	v_add_f64 v[38:39], v[48:49], v[38:39]
	v_add_f64 v[46:47], v[18:19], v[46:47]
	v_add_f64 v[48:49], v[22:23], v[20:21]
	ds_read_b128 v[18:21], v32 offset:2304
	ds_read_b128 v[22:25], v33 offset:80
	s_waitcnt lgkmcnt(2)
	v_mul_f64 v[50:51], v[2:3], v[16:17]
	v_add_f64 v[26:27], v[54:55], v[26:27]
	v_fma_f64 v[50:51], v[0:1], v[14:15], -v[50:51]
	v_mul_f64 v[52:53], v[0:1], v[16:17]
	v_add_f64 v[28:29], v[28:29], v[56:57]
	v_fmac_f64_e32 v[52:53], v[2:3], v[14:15]
	v_add_f64 v[50:51], v[26:27], v[50:51]
	s_waitcnt lgkmcnt(1)
	v_mul_f64 v[26:27], v[2:3], v[20:21]
	v_add_f64 v[52:53], v[52:53], v[28:29]
	v_fma_f64 v[54:55], v[0:1], v[18:19], -v[26:27]
	ds_read_b128 v[26:29], v33 offset:2112
	v_mul_f64 v[0:1], v[0:1], v[20:21]
	v_fmac_f64_e32 v[0:1], v[2:3], v[18:19]
	v_add_f64 v[40:41], v[40:41], v[54:55]
	v_add_f64 v[38:39], v[0:1], v[38:39]
	ds_read_b128 v[0:3], v33 offset:2128
	s_waitcnt lgkmcnt(1)
	v_mul_f64 v[54:55], v[28:29], v[16:17]
	v_mul_f64 v[16:17], v[26:27], v[16:17]
	v_fma_f64 v[54:55], v[26:27], v[14:15], -v[54:55]
	v_fmac_f64_e32 v[16:17], v[28:29], v[14:15]
	v_mul_f64 v[14:15], v[28:29], v[20:21]
	v_add_f64 v[42:43], v[42:43], v[54:55]
	v_add_f64 v[44:45], v[16:17], v[44:45]
	v_fma_f64 v[54:55], v[26:27], v[18:19], -v[14:15]
	v_mul_f64 v[20:21], v[26:27], v[20:21]
	ds_read_b128 v[14:17], v32 offset:2560
	v_fmac_f64_e32 v[20:21], v[28:29], v[18:19]
	v_add_f64 v[28:29], v[20:21], v[48:49]
	ds_read_b128 v[18:21], v32 offset:2816
	v_add_f64 v[26:27], v[46:47], v[54:55]
	s_waitcnt lgkmcnt(1)
	v_mul_f64 v[46:47], v[24:25], v[16:17]
	v_fma_f64 v[46:47], v[22:23], v[14:15], -v[46:47]
	v_add_f64 v[46:47], v[50:51], v[46:47]
	s_waitcnt lgkmcnt(0)
	v_mul_f64 v[50:51], v[24:25], v[20:21]
	v_mul_f64 v[48:49], v[22:23], v[16:17]
	v_fma_f64 v[50:51], v[22:23], v[18:19], -v[50:51]
	v_mul_f64 v[22:23], v[22:23], v[20:21]
	v_fmac_f64_e32 v[22:23], v[24:25], v[18:19]
	v_add_f64 v[38:39], v[22:23], v[38:39]
	v_mul_f64 v[22:23], v[2:3], v[16:17]
	v_mul_f64 v[16:17], v[0:1], v[16:17]
	v_fmac_f64_e32 v[48:49], v[24:25], v[14:15]
	v_fma_f64 v[22:23], v[0:1], v[14:15], -v[22:23]
	v_fmac_f64_e32 v[16:17], v[2:3], v[14:15]
	v_mul_f64 v[14:15], v[2:3], v[20:21]
	v_mul_f64 v[20:21], v[0:1], v[20:21]
	v_add_f64 v[42:43], v[42:43], v[22:23]
	v_add_f64 v[44:45], v[16:17], v[44:45]
	v_fma_f64 v[22:23], v[0:1], v[18:19], -v[14:15]
	v_fmac_f64_e32 v[20:21], v[2:3], v[18:19]
	ds_read_b128 v[0:3], v33 offset:96
	ds_read_b128 v[14:17], v32 offset:3072
	v_add_f64 v[48:49], v[48:49], v[52:53]
	v_add_f64 v[40:41], v[40:41], v[50:51]
	;; [unrolled: 1-line block ×4, first 2 shown]
	ds_read_b128 v[18:21], v32 offset:3328
	ds_read_b128 v[22:25], v33 offset:112
	s_waitcnt lgkmcnt(2)
	v_mul_f64 v[26:27], v[2:3], v[16:17]
	v_fma_f64 v[26:27], v[0:1], v[14:15], -v[26:27]
	v_mul_f64 v[28:29], v[0:1], v[16:17]
	v_fmac_f64_e32 v[28:29], v[2:3], v[14:15]
	v_add_f64 v[46:47], v[46:47], v[26:27]
	s_waitcnt lgkmcnt(1)
	v_mul_f64 v[26:27], v[2:3], v[20:21]
	v_add_f64 v[48:49], v[28:29], v[48:49]
	v_fma_f64 v[54:55], v[0:1], v[18:19], -v[26:27]
	ds_read_b128 v[26:29], v33 offset:2144
	v_mul_f64 v[0:1], v[0:1], v[20:21]
	v_fmac_f64_e32 v[0:1], v[2:3], v[18:19]
	v_add_f64 v[56:57], v[0:1], v[38:39]
	ds_read_b128 v[0:3], v33 offset:2160
	s_waitcnt lgkmcnt(1)
	v_mul_f64 v[38:39], v[28:29], v[16:17]
	v_mul_f64 v[16:17], v[26:27], v[16:17]
	v_fma_f64 v[38:39], v[26:27], v[14:15], -v[38:39]
	v_fmac_f64_e32 v[16:17], v[28:29], v[14:15]
	v_mul_f64 v[14:15], v[28:29], v[20:21]
	v_add_f64 v[42:43], v[42:43], v[38:39]
	v_add_f64 v[44:45], v[16:17], v[44:45]
	v_fma_f64 v[38:39], v[26:27], v[18:19], -v[14:15]
	ds_read_b128 v[14:17], v32 offset:3584
	v_add_f64 v[54:55], v[40:41], v[54:55]
	v_add_f64 v[50:51], v[50:51], v[38:39]
	ds_read_b128 v[38:41], v32 offset:3840
	v_mul_f64 v[20:21], v[26:27], v[20:21]
	v_fmac_f64_e32 v[20:21], v[28:29], v[18:19]
	s_waitcnt lgkmcnt(1)
	v_mul_f64 v[18:19], v[24:25], v[16:17]
	v_fma_f64 v[18:19], v[22:23], v[14:15], -v[18:19]
	v_add_f64 v[52:53], v[20:21], v[52:53]
	v_mul_f64 v[20:21], v[22:23], v[16:17]
	v_add_f64 v[26:27], v[46:47], v[18:19]
	s_waitcnt lgkmcnt(0)
	v_mul_f64 v[18:19], v[24:25], v[40:41]
	v_fmac_f64_e32 v[20:21], v[24:25], v[14:15]
	v_fma_f64 v[18:19], v[22:23], v[38:39], -v[18:19]
	v_add_f64 v[28:29], v[20:21], v[48:49]
	v_mul_f64 v[20:21], v[22:23], v[40:41]
	v_add_f64 v[22:23], v[54:55], v[18:19]
	v_mul_f64 v[18:19], v[2:3], v[16:17]
	v_mul_f64 v[16:17], v[0:1], v[16:17]
	v_fma_f64 v[18:19], v[0:1], v[14:15], -v[18:19]
	v_fmac_f64_e32 v[16:17], v[2:3], v[14:15]
	v_mul_f64 v[14:15], v[2:3], v[40:41]
	v_fma_f64 v[14:15], v[0:1], v[38:39], -v[14:15]
	v_mul_f64 v[0:1], v[0:1], v[40:41]
	v_fmac_f64_e32 v[20:21], v[24:25], v[38:39]
	v_fmac_f64_e32 v[0:1], v[2:3], v[38:39]
	s_addc_u32 s3, s3, 0
	v_add_f64 v[24:25], v[20:21], v[56:57]
	v_add_f64 v[20:21], v[16:17], v[44:45]
	;; [unrolled: 1-line block ×4, first 2 shown]
	v_mov_b64_e32 v[0:1], s[2:3]
	v_cmp_gt_i64_e32 vcc, s[8:9], v[0:1]
	v_add_f64 v[18:19], v[42:43], v[18:19]
	s_barrier
	s_cbranch_vccz .LBB573_16
.LBB573_8:                              ; =>This Inner Loop Header: Depth=1
	v_mov_b64_e32 v[0:1], 0
	v_mov_b64_e32 v[2:3], 0
	s_and_saveexec_b64 s[16:17], s[0:1]
	s_cbranch_execz .LBB573_12
; %bb.9:                                ;   in Loop: Header=BB573_8 Depth=1
	v_add_u32_e32 v12, s2, v6
	v_cmp_gt_u64_e32 vcc, s[8:9], v[12:13]
	v_mov_b64_e32 v[2:3], 0
	v_mov_b64_e32 v[0:1], 0
	s_and_saveexec_b64 s[18:19], vcc
	s_cbranch_execz .LBB573_11
; %bb.10:                               ;   in Loop: Header=BB573_8 Depth=1
	v_lshl_add_u64 v[0:1], v[12:13], 4, v[8:9]
	flat_load_dwordx4 v[0:3], v[0:1]
	s_waitcnt vmcnt(0) lgkmcnt(0)
	v_xor_b32_e32 v3, 0x80000000, v3
.LBB573_11:                             ;   in Loop: Header=BB573_8 Depth=1
	s_or_b64 exec, exec, s[18:19]
.LBB573_12:                             ;   in Loop: Header=BB573_8 Depth=1
	s_or_b64 exec, exec, s[16:17]
	v_add_u32_e32 v12, s2, v4
	v_cmp_le_u64_e32 vcc, s[8:9], v[12:13]
	s_or_b64 s[16:17], vcc, s[14:15]
	ds_write_b128 v30, v[0:3]
	s_and_saveexec_b64 s[18:19], s[16:17]
	s_xor_b64 s[16:17], exec, s[18:19]
; %bb.13:                               ;   in Loop: Header=BB573_8 Depth=1
	ds_write_b128 v31, v[34:37]
; %bb.14:                               ;   in Loop: Header=BB573_8 Depth=1
	s_andn2_saveexec_b64 s[16:17], s[16:17]
	s_cbranch_execz .LBB573_7
; %bb.15:                               ;   in Loop: Header=BB573_8 Depth=1
	v_lshl_add_u64 v[0:1], v[12:13], 4, v[10:11]
	flat_load_dwordx4 v[0:3], v[0:1]
	s_waitcnt vmcnt(0) lgkmcnt(0)
	ds_write2_b64 v31, v[0:1], v[2:3] offset1:1
	s_branch .LBB573_7
.LBB573_16:
	s_waitcnt lgkmcnt(0)
	s_lshl_b64 s[0:1], s[38:39], 4
	v_add_u32_e32 v10, s31, v7
	s_add_u32 s8, s4, s0
	v_ashrrev_i32_e32 v0, 31, v10
	s_addc_u32 s9, s5, s1
	v_cmp_neq_f64_e64 s[0:1], s[26:27], 0
	s_xor_b64 s[4:5], s[6:7], -1
	v_mul_lo_u32 v2, s36, v0
	v_mul_lo_u32 v3, s37, v10
	v_mad_u64_u32 v[0:1], s[2:3], s36, v10, 0
	v_add_u32_e32 v4, s30, v5
	v_add3_u32 v1, v1, v2, v3
	s_or_b64 s[0:1], s[0:1], s[4:5]
	v_lshl_add_u64 v[8:9], v[0:1], 4, s[8:9]
	v_cmp_le_i32_e32 vcc, v10, v4
	v_cmp_gt_i32_e64 s[2:3], s33, v4
	v_cndmask_b32_e64 v0, 0, 1, s[0:1]
	s_and_b64 s[6:7], vcc, s[2:3]
	v_ashrrev_i32_e32 v5, 31, v4
	v_cmp_ne_u32_e64 s[0:1], 1, v0
	s_and_saveexec_b64 s[4:5], s[6:7]
	s_cbranch_execz .LBB573_20
; %bb.17:
	v_mul_f64 v[0:1], s[12:13], v[28:29]
	v_mul_f64 v[2:3], s[10:11], v[28:29]
	v_fma_f64 v[0:1], s[10:11], v[26:27], -v[0:1]
	v_fmac_f64_e32 v[2:3], s[12:13], v[26:27]
	s_and_b64 vcc, exec, s[0:1]
	v_lshl_add_u64 v[6:7], v[4:5], 4, v[8:9]
	s_cbranch_vccnz .LBB573_19
; %bb.18:
	flat_load_dwordx4 v[26:29], v[6:7]
	s_waitcnt vmcnt(0) lgkmcnt(0)
	v_mul_f64 v[12:13], s[28:29], v[28:29]
	v_mul_f64 v[28:29], s[26:27], v[28:29]
	v_fma_f64 v[12:13], s[26:27], v[26:27], -v[12:13]
	v_fmac_f64_e32 v[28:29], s[28:29], v[26:27]
	v_add_f64 v[0:1], v[0:1], v[12:13]
	v_add_f64 v[2:3], v[2:3], v[28:29]
.LBB573_19:
	flat_store_dwordx4 v[6:7], v[0:3]
.LBB573_20:
	s_or_b64 exec, exec, s[4:5]
	v_add_u32_e32 v6, 16, v4
	v_cmp_le_i32_e32 vcc, v10, v6
	v_cmp_gt_i32_e64 s[4:5], s33, v6
	s_and_b64 s[14:15], vcc, s[4:5]
	v_ashrrev_i32_e32 v7, 31, v6
	s_and_saveexec_b64 s[6:7], s[14:15]
	s_cbranch_execz .LBB573_24
; %bb.21:
	v_mul_f64 v[0:1], s[12:13], v[24:25]
	v_mul_f64 v[2:3], s[10:11], v[24:25]
	v_fma_f64 v[0:1], s[10:11], v[22:23], -v[0:1]
	v_fmac_f64_e32 v[2:3], s[12:13], v[22:23]
	s_and_b64 vcc, exec, s[0:1]
	v_lshl_add_u64 v[8:9], v[6:7], 4, v[8:9]
	s_cbranch_vccnz .LBB573_23
; %bb.22:
	flat_load_dwordx4 v[22:25], v[8:9]
	s_waitcnt vmcnt(0) lgkmcnt(0)
	v_mul_f64 v[12:13], s[28:29], v[24:25]
	v_mul_f64 v[24:25], s[26:27], v[24:25]
	v_fma_f64 v[12:13], s[26:27], v[22:23], -v[12:13]
	v_fmac_f64_e32 v[24:25], s[28:29], v[22:23]
	v_add_f64 v[0:1], v[0:1], v[12:13]
	v_add_f64 v[2:3], v[2:3], v[24:25]
.LBB573_23:
	flat_store_dwordx4 v[8:9], v[0:3]
.LBB573_24:
	s_or_b64 exec, exec, s[6:7]
	v_add_u32_e32 v10, 16, v10
	v_ashrrev_i32_e32 v0, 31, v10
	v_mul_lo_u32 v2, s36, v0
	v_mul_lo_u32 v3, s37, v10
	v_mad_u64_u32 v[0:1], s[6:7], s36, v10, 0
	v_add3_u32 v1, v1, v2, v3
	v_cmp_le_i32_e32 vcc, v10, v4
	v_lshl_add_u64 v[8:9], v[0:1], 4, s[8:9]
	s_and_b64 s[6:7], vcc, s[2:3]
	s_and_saveexec_b64 s[2:3], s[6:7]
	s_cbranch_execz .LBB573_28
; %bb.25:
	v_mul_f64 v[0:1], s[12:13], v[20:21]
	v_mul_f64 v[2:3], s[10:11], v[20:21]
	v_fma_f64 v[0:1], s[10:11], v[18:19], -v[0:1]
	v_fmac_f64_e32 v[2:3], s[12:13], v[18:19]
	s_and_b64 vcc, exec, s[0:1]
	v_lshl_add_u64 v[4:5], v[4:5], 4, v[8:9]
	s_cbranch_vccnz .LBB573_27
; %bb.26:
	flat_load_dwordx4 v[18:21], v[4:5]
	s_waitcnt vmcnt(0) lgkmcnt(0)
	v_mul_f64 v[12:13], s[28:29], v[20:21]
	v_mul_f64 v[20:21], s[26:27], v[20:21]
	v_fma_f64 v[12:13], s[26:27], v[18:19], -v[12:13]
	v_fmac_f64_e32 v[20:21], s[28:29], v[18:19]
	v_add_f64 v[0:1], v[0:1], v[12:13]
	v_add_f64 v[2:3], v[2:3], v[20:21]
.LBB573_27:
	flat_store_dwordx4 v[4:5], v[0:3]
.LBB573_28:
	s_or_b64 exec, exec, s[2:3]
	v_cmp_le_i32_e32 vcc, v10, v6
	s_and_b64 s[2:3], vcc, s[4:5]
	s_and_saveexec_b64 s[4:5], s[2:3]
	s_cbranch_execz .LBB573_32
; %bb.29:
	v_mul_f64 v[0:1], s[12:13], v[14:15]
	v_mul_f64 v[2:3], s[10:11], v[14:15]
	v_fma_f64 v[0:1], s[10:11], v[16:17], -v[0:1]
	v_fmac_f64_e32 v[2:3], s[12:13], v[16:17]
	s_and_b64 vcc, exec, s[0:1]
	v_lshl_add_u64 v[4:5], v[6:7], 4, v[8:9]
	s_cbranch_vccnz .LBB573_31
; %bb.30:
	flat_load_dwordx4 v[6:9], v[4:5]
	s_waitcnt vmcnt(0) lgkmcnt(0)
	v_mul_f64 v[10:11], s[28:29], v[8:9]
	v_mul_f64 v[8:9], s[26:27], v[8:9]
	v_fma_f64 v[10:11], s[26:27], v[6:7], -v[10:11]
	v_fmac_f64_e32 v[8:9], s[28:29], v[6:7]
	v_add_f64 v[0:1], v[0:1], v[10:11]
	v_add_f64 v[2:3], v[2:3], v[8:9]
.LBB573_31:
	flat_store_dwordx4 v[4:5], v[0:3]
.LBB573_32:
	s_endpgm
	.section	.rodata,"a",@progbits
	.p2align	6, 0x0
	.amdhsa_kernel _ZL29rocblas_internal_gemmt_kernelIlLi16ELi32ELi8ELc67ELc78ELc76ELb1ELb0E19rocblas_complex_numIdES1_PKPKS1_PKPS1_EviT_T9_T10_S9_lSB_S9_lSA_T11_S9_li
		.amdhsa_group_segment_fixed_size 8192
		.amdhsa_private_segment_fixed_size 0
		.amdhsa_kernarg_size 124
		.amdhsa_user_sgpr_count 2
		.amdhsa_user_sgpr_dispatch_ptr 0
		.amdhsa_user_sgpr_queue_ptr 0
		.amdhsa_user_sgpr_kernarg_segment_ptr 1
		.amdhsa_user_sgpr_dispatch_id 0
		.amdhsa_user_sgpr_kernarg_preload_length 0
		.amdhsa_user_sgpr_kernarg_preload_offset 0
		.amdhsa_user_sgpr_private_segment_size 0
		.amdhsa_uses_dynamic_stack 0
		.amdhsa_enable_private_segment 0
		.amdhsa_system_sgpr_workgroup_id_x 1
		.amdhsa_system_sgpr_workgroup_id_y 1
		.amdhsa_system_sgpr_workgroup_id_z 1
		.amdhsa_system_sgpr_workgroup_info 0
		.amdhsa_system_vgpr_workitem_id 1
		.amdhsa_next_free_vgpr 64
		.amdhsa_next_free_sgpr 40
		.amdhsa_accum_offset 64
		.amdhsa_reserve_vcc 1
		.amdhsa_float_round_mode_32 0
		.amdhsa_float_round_mode_16_64 0
		.amdhsa_float_denorm_mode_32 3
		.amdhsa_float_denorm_mode_16_64 3
		.amdhsa_dx10_clamp 1
		.amdhsa_ieee_mode 1
		.amdhsa_fp16_overflow 0
		.amdhsa_tg_split 0
		.amdhsa_exception_fp_ieee_invalid_op 0
		.amdhsa_exception_fp_denorm_src 0
		.amdhsa_exception_fp_ieee_div_zero 0
		.amdhsa_exception_fp_ieee_overflow 0
		.amdhsa_exception_fp_ieee_underflow 0
		.amdhsa_exception_fp_ieee_inexact 0
		.amdhsa_exception_int_div_zero 0
	.end_amdhsa_kernel
	.section	.text._ZL29rocblas_internal_gemmt_kernelIlLi16ELi32ELi8ELc67ELc78ELc76ELb1ELb0E19rocblas_complex_numIdES1_PKPKS1_PKPS1_EviT_T9_T10_S9_lSB_S9_lSA_T11_S9_li,"axG",@progbits,_ZL29rocblas_internal_gemmt_kernelIlLi16ELi32ELi8ELc67ELc78ELc76ELb1ELb0E19rocblas_complex_numIdES1_PKPKS1_PKPS1_EviT_T9_T10_S9_lSB_S9_lSA_T11_S9_li,comdat
.Lfunc_end573:
	.size	_ZL29rocblas_internal_gemmt_kernelIlLi16ELi32ELi8ELc67ELc78ELc76ELb1ELb0E19rocblas_complex_numIdES1_PKPKS1_PKPS1_EviT_T9_T10_S9_lSB_S9_lSA_T11_S9_li, .Lfunc_end573-_ZL29rocblas_internal_gemmt_kernelIlLi16ELi32ELi8ELc67ELc78ELc76ELb1ELb0E19rocblas_complex_numIdES1_PKPKS1_PKPS1_EviT_T9_T10_S9_lSB_S9_lSA_T11_S9_li
                                        ; -- End function
	.set _ZL29rocblas_internal_gemmt_kernelIlLi16ELi32ELi8ELc67ELc78ELc76ELb1ELb0E19rocblas_complex_numIdES1_PKPKS1_PKPS1_EviT_T9_T10_S9_lSB_S9_lSA_T11_S9_li.num_vgpr, 64
	.set _ZL29rocblas_internal_gemmt_kernelIlLi16ELi32ELi8ELc67ELc78ELc76ELb1ELb0E19rocblas_complex_numIdES1_PKPKS1_PKPS1_EviT_T9_T10_S9_lSB_S9_lSA_T11_S9_li.num_agpr, 0
	.set _ZL29rocblas_internal_gemmt_kernelIlLi16ELi32ELi8ELc67ELc78ELc76ELb1ELb0E19rocblas_complex_numIdES1_PKPKS1_PKPS1_EviT_T9_T10_S9_lSB_S9_lSA_T11_S9_li.numbered_sgpr, 40
	.set _ZL29rocblas_internal_gemmt_kernelIlLi16ELi32ELi8ELc67ELc78ELc76ELb1ELb0E19rocblas_complex_numIdES1_PKPKS1_PKPS1_EviT_T9_T10_S9_lSB_S9_lSA_T11_S9_li.num_named_barrier, 0
	.set _ZL29rocblas_internal_gemmt_kernelIlLi16ELi32ELi8ELc67ELc78ELc76ELb1ELb0E19rocblas_complex_numIdES1_PKPKS1_PKPS1_EviT_T9_T10_S9_lSB_S9_lSA_T11_S9_li.private_seg_size, 0
	.set _ZL29rocblas_internal_gemmt_kernelIlLi16ELi32ELi8ELc67ELc78ELc76ELb1ELb0E19rocblas_complex_numIdES1_PKPKS1_PKPS1_EviT_T9_T10_S9_lSB_S9_lSA_T11_S9_li.uses_vcc, 1
	.set _ZL29rocblas_internal_gemmt_kernelIlLi16ELi32ELi8ELc67ELc78ELc76ELb1ELb0E19rocblas_complex_numIdES1_PKPKS1_PKPS1_EviT_T9_T10_S9_lSB_S9_lSA_T11_S9_li.uses_flat_scratch, 0
	.set _ZL29rocblas_internal_gemmt_kernelIlLi16ELi32ELi8ELc67ELc78ELc76ELb1ELb0E19rocblas_complex_numIdES1_PKPKS1_PKPS1_EviT_T9_T10_S9_lSB_S9_lSA_T11_S9_li.has_dyn_sized_stack, 0
	.set _ZL29rocblas_internal_gemmt_kernelIlLi16ELi32ELi8ELc67ELc78ELc76ELb1ELb0E19rocblas_complex_numIdES1_PKPKS1_PKPS1_EviT_T9_T10_S9_lSB_S9_lSA_T11_S9_li.has_recursion, 0
	.set _ZL29rocblas_internal_gemmt_kernelIlLi16ELi32ELi8ELc67ELc78ELc76ELb1ELb0E19rocblas_complex_numIdES1_PKPKS1_PKPS1_EviT_T9_T10_S9_lSB_S9_lSA_T11_S9_li.has_indirect_call, 0
	.section	.AMDGPU.csdata,"",@progbits
; Kernel info:
; codeLenInByte = 3160
; TotalNumSgprs: 46
; NumVgprs: 64
; NumAgprs: 0
; TotalNumVgprs: 64
; ScratchSize: 0
; MemoryBound: 1
; FloatMode: 240
; IeeeMode: 1
; LDSByteSize: 8192 bytes/workgroup (compile time only)
; SGPRBlocks: 5
; VGPRBlocks: 7
; NumSGPRsForWavesPerEU: 46
; NumVGPRsForWavesPerEU: 64
; AccumOffset: 64
; Occupancy: 8
; WaveLimiterHint : 1
; COMPUTE_PGM_RSRC2:SCRATCH_EN: 0
; COMPUTE_PGM_RSRC2:USER_SGPR: 2
; COMPUTE_PGM_RSRC2:TRAP_HANDLER: 0
; COMPUTE_PGM_RSRC2:TGID_X_EN: 1
; COMPUTE_PGM_RSRC2:TGID_Y_EN: 1
; COMPUTE_PGM_RSRC2:TGID_Z_EN: 1
; COMPUTE_PGM_RSRC2:TIDIG_COMP_CNT: 1
; COMPUTE_PGM_RSRC3_GFX90A:ACCUM_OFFSET: 15
; COMPUTE_PGM_RSRC3_GFX90A:TG_SPLIT: 0
	.section	.text._ZL29rocblas_internal_gemmt_kernelIlLi16ELi32ELi8ELc67ELc84ELc76ELb1ELb0E19rocblas_complex_numIdES1_PKPKS1_PKPS1_EviT_T9_T10_S9_lSB_S9_lSA_T11_S9_li,"axG",@progbits,_ZL29rocblas_internal_gemmt_kernelIlLi16ELi32ELi8ELc67ELc84ELc76ELb1ELb0E19rocblas_complex_numIdES1_PKPKS1_PKPS1_EviT_T9_T10_S9_lSB_S9_lSA_T11_S9_li,comdat
	.globl	_ZL29rocblas_internal_gemmt_kernelIlLi16ELi32ELi8ELc67ELc84ELc76ELb1ELb0E19rocblas_complex_numIdES1_PKPKS1_PKPS1_EviT_T9_T10_S9_lSB_S9_lSA_T11_S9_li ; -- Begin function _ZL29rocblas_internal_gemmt_kernelIlLi16ELi32ELi8ELc67ELc84ELc76ELb1ELb0E19rocblas_complex_numIdES1_PKPKS1_PKPS1_EviT_T9_T10_S9_lSB_S9_lSA_T11_S9_li
	.p2align	8
	.type	_ZL29rocblas_internal_gemmt_kernelIlLi16ELi32ELi8ELc67ELc84ELc76ELb1ELb0E19rocblas_complex_numIdES1_PKPKS1_PKPS1_EviT_T9_T10_S9_lSB_S9_lSA_T11_S9_li,@function
_ZL29rocblas_internal_gemmt_kernelIlLi16ELi32ELi8ELc67ELc84ELc76ELb1ELb0E19rocblas_complex_numIdES1_PKPKS1_PKPS1_EviT_T9_T10_S9_lSB_S9_lSA_T11_S9_li: ; @_ZL29rocblas_internal_gemmt_kernelIlLi16ELi32ELi8ELc67ELc84ELc76ELb1ELb0E19rocblas_complex_numIdES1_PKPKS1_PKPS1_EviT_T9_T10_S9_lSB_S9_lSA_T11_S9_li
; %bb.0:
	s_load_dwordx8 s[24:31], s[0:1], 0x48
	s_load_dwordx16 s[8:23], s[0:1], 0x8
	s_mov_b64 s[34:35], 0
	s_waitcnt lgkmcnt(0)
	v_cmp_eq_f64_e64 s[36:37], s[26:27], 1.0
	v_cmp_eq_f64_e64 s[6:7], s[28:29], 0
	s_and_b64 s[36:37], s[36:37], s[6:7]
	s_andn2_b64 vcc, exec, s[36:37]
	s_mov_b64 s[36:37], -1
	s_cbranch_vccnz .LBB574_4
; %bb.1:
	s_cmp_lg_u64 s[8:9], 0
	s_cbranch_scc0 .LBB574_3
; %bb.2:
	v_cmp_neq_f64_e64 s[34:35], s[10:11], 0
	v_cmp_neq_f64_e64 s[36:37], s[12:13], 0
	s_or_b64 s[34:35], s[34:35], s[36:37]
.LBB574_3:
	s_mov_b64 s[36:37], s[34:35]
.LBB574_4:
	s_and_b64 vcc, exec, s[36:37]
	s_cbranch_vccz .LBB574_32
; %bb.5:
	s_mov_b32 s5, 0
	s_load_dwordx4 s[36:39], s[0:1], 0x68
	s_load_dword s33, s[0:1], 0x0
	s_lshl_b64 s[0:1], s[4:5], 3
	s_add_u32 s4, s30, s0
	s_addc_u32 s5, s31, s1
	s_load_dwordx2 s[4:5], s[4:5], 0x0
	s_lshl_b32 s30, s2, 5
	s_lshl_b32 s31, s3, 5
	v_cmp_eq_f64_e64 s[2:3], s[10:11], 0
	v_cmp_eq_f64_e64 s[34:35], s[12:13], 0
	s_and_b64 s[2:3], s[2:3], s[34:35]
	v_cmp_lt_i64_e64 s[34:35], s[8:9], 1
	s_or_b64 s[2:3], s[2:3], s[34:35]
	v_and_b32_e32 v5, 0x3ff, v0
	v_bfe_u32 v7, v0, 10, 10
	v_mov_b64_e32 v[26:27], 0
	s_and_b64 vcc, exec, s[2:3]
	v_mov_b64_e32 v[28:29], 0
	v_mov_b64_e32 v[22:23], 0
	v_mov_b64_e32 v[24:25], 0
	v_mov_b64_e32 v[18:19], 0
	v_mov_b64_e32 v[20:21], 0
	v_mov_b64_e32 v[16:17], 0
	v_mov_b64_e32 v[14:15], 0
	s_cbranch_vccnz .LBB574_16
; %bb.6:
	s_add_u32 s2, s20, s0
	s_addc_u32 s3, s21, s1
	s_load_dwordx2 s[2:3], s[2:3], 0x0
	s_lshl_b64 s[20:21], s[24:25], 4
	v_lshl_add_u32 v1, v7, 4, v5
	v_lshrrev_b32_e32 v6, 5, v1
	v_lshrrev_b32_e32 v10, 3, v1
	s_waitcnt lgkmcnt(0)
	s_add_u32 s2, s2, s20
	s_addc_u32 s3, s3, s21
	s_add_u32 s0, s14, s0
	s_addc_u32 s1, s15, s1
	s_load_dwordx2 s[0:1], s[0:1], 0x0
	s_lshl_b64 s[14:15], s[18:19], 4
	v_and_b32_e32 v1, 31, v1
	v_or_b32_e32 v2, s30, v1
	v_lshlrev_b32_e32 v1, 4, v1
	s_waitcnt lgkmcnt(0)
	s_add_u32 s14, s0, s14
	s_addc_u32 s15, s1, s15
	s_ashr_i32 s20, s30, 31
	v_and_b32_e32 v4, 7, v5
	v_cmp_gt_i32_e64 s[0:1], s33, v2
	v_lshl_or_b32 v30, v6, 9, v1
	v_mul_lo_u32 v1, s17, v2
	v_mad_u64_u32 v[2:3], s[18:19], s16, v2, 0
	s_mul_i32 s16, s16, s20
	v_add3_u32 v3, v3, s16, v1
	v_lshlrev_b32_e32 v1, 4, v4
	v_add_u32_e32 v0, s31, v10
	v_lshl_or_b32 v1, v10, 7, v1
	v_add_u32_e32 v31, 0x1000, v1
	v_ashrrev_i32_e32 v1, 31, v0
	v_cmp_gt_i32_e32 vcc, s33, v0
	v_lshl_add_u64 v[10:11], v[0:1], 4, s[2:3]
	v_mov_b32_e32 v0, 0x1000
	v_mov_b32_e32 v13, 0
	v_lshl_add_u64 v[8:9], v[2:3], 4, s[14:15]
	v_lshlrev_b32_e32 v32, 4, v5
	v_lshl_add_u32 v33, v7, 7, v0
	v_mov_b64_e32 v[14:15], 0
	s_mov_b64 s[2:3], 0
	s_xor_b64 s[14:15], vcc, -1
	v_mov_b32_e32 v34, v13
	v_mov_b32_e32 v35, v13
	;; [unrolled: 1-line block ×4, first 2 shown]
	v_mov_b64_e32 v[16:17], 0
	v_mov_b64_e32 v[20:21], 0
	;; [unrolled: 1-line block ×7, first 2 shown]
	s_branch .LBB574_8
.LBB574_7:                              ;   in Loop: Header=BB574_8 Depth=1
	s_or_b64 exec, exec, s[16:17]
	s_waitcnt lgkmcnt(0)
	s_barrier
	ds_read_b128 v[0:3], v32
	ds_read_b128 v[38:41], v33
	ds_read_b128 v[42:45], v33 offset:16
	ds_read_b128 v[46:49], v33 offset:32
	;; [unrolled: 1-line block ×4, first 2 shown]
	s_waitcnt lgkmcnt(4)
	v_mul_f64 v[58:59], v[40:41], v[2:3]
	v_fma_f64 v[58:59], v[38:39], v[0:1], -v[58:59]
	v_mul_f64 v[60:61], v[38:39], v[2:3]
	v_fmac_f64_e32 v[60:61], v[40:41], v[0:1]
	v_add_f64 v[58:59], v[26:27], v[58:59]
	s_waitcnt lgkmcnt(0)
	v_mul_f64 v[26:27], v[40:41], v[56:57]
	v_add_f64 v[60:61], v[60:61], v[28:29]
	v_fma_f64 v[62:63], v[38:39], v[54:55], -v[26:27]
	ds_read_b128 v[26:29], v33 offset:2048
	v_mul_f64 v[38:39], v[38:39], v[56:57]
	v_fmac_f64_e32 v[38:39], v[40:41], v[54:55]
	v_add_f64 v[40:41], v[22:23], v[62:63]
	v_add_f64 v[38:39], v[38:39], v[24:25]
	ds_read_b128 v[22:25], v33 offset:2064
	s_waitcnt lgkmcnt(1)
	v_mul_f64 v[62:63], v[28:29], v[2:3]
	v_mul_f64 v[2:3], v[26:27], v[2:3]
	v_fma_f64 v[62:63], v[26:27], v[0:1], -v[62:63]
	v_fmac_f64_e32 v[2:3], v[28:29], v[0:1]
	v_mul_f64 v[0:1], v[28:29], v[56:57]
	v_add_f64 v[18:19], v[18:19], v[62:63]
	v_add_f64 v[20:21], v[2:3], v[20:21]
	v_fma_f64 v[62:63], v[26:27], v[54:55], -v[0:1]
	v_mul_f64 v[26:27], v[26:27], v[56:57]
	ds_read_b128 v[0:3], v32 offset:512
	v_fmac_f64_e32 v[26:27], v[28:29], v[54:55]
	v_add_f64 v[28:29], v[16:17], v[62:63]
	v_add_f64 v[26:27], v[26:27], v[14:15]
	ds_read_b128 v[14:17], v32 offset:768
	s_waitcnt lgkmcnt(1)
	v_mul_f64 v[54:55], v[44:45], v[2:3]
	v_fma_f64 v[54:55], v[42:43], v[0:1], -v[54:55]
	v_add_f64 v[54:55], v[58:59], v[54:55]
	v_mul_f64 v[56:57], v[42:43], v[2:3]
	s_waitcnt lgkmcnt(0)
	v_mul_f64 v[58:59], v[44:45], v[16:17]
	v_fma_f64 v[58:59], v[42:43], v[14:15], -v[58:59]
	v_mul_f64 v[42:43], v[42:43], v[16:17]
	v_fmac_f64_e32 v[42:43], v[44:45], v[14:15]
	v_add_f64 v[38:39], v[42:43], v[38:39]
	v_mul_f64 v[42:43], v[24:25], v[2:3]
	v_mul_f64 v[2:3], v[22:23], v[2:3]
	v_fmac_f64_e32 v[56:57], v[44:45], v[0:1]
	v_fma_f64 v[42:43], v[22:23], v[0:1], -v[42:43]
	v_fmac_f64_e32 v[2:3], v[24:25], v[0:1]
	v_mul_f64 v[0:1], v[24:25], v[16:17]
	v_add_f64 v[42:43], v[18:19], v[42:43]
	v_add_f64 v[44:45], v[2:3], v[20:21]
	v_fma_f64 v[18:19], v[22:23], v[14:15], -v[0:1]
	v_mul_f64 v[16:17], v[22:23], v[16:17]
	ds_read_b128 v[0:3], v32 offset:1024
	v_fmac_f64_e32 v[16:17], v[24:25], v[14:15]
	v_add_f64 v[26:27], v[16:17], v[26:27]
	ds_read_b128 v[14:17], v32 offset:1280
	v_add_f64 v[28:29], v[28:29], v[18:19]
	s_waitcnt lgkmcnt(1)
	v_mul_f64 v[18:19], v[48:49], v[2:3]
	v_fma_f64 v[18:19], v[46:47], v[0:1], -v[18:19]
	v_mul_f64 v[20:21], v[46:47], v[2:3]
	v_add_f64 v[56:57], v[56:57], v[60:61]
	v_fmac_f64_e32 v[20:21], v[48:49], v[0:1]
	v_add_f64 v[54:55], v[54:55], v[18:19]
	s_waitcnt lgkmcnt(0)
	v_mul_f64 v[18:19], v[48:49], v[16:17]
	v_add_f64 v[56:57], v[20:21], v[56:57]
	v_fma_f64 v[22:23], v[46:47], v[14:15], -v[18:19]
	ds_read_b128 v[18:21], v33 offset:2080
	v_mul_f64 v[24:25], v[46:47], v[16:17]
	v_add_f64 v[40:41], v[40:41], v[58:59]
	v_fmac_f64_e32 v[24:25], v[48:49], v[14:15]
	v_add_f64 v[40:41], v[40:41], v[22:23]
	v_add_f64 v[38:39], v[24:25], v[38:39]
	ds_read_b128 v[22:25], v33 offset:2096
	s_waitcnt lgkmcnt(1)
	v_mul_f64 v[46:47], v[20:21], v[2:3]
	v_mul_f64 v[2:3], v[18:19], v[2:3]
	v_fma_f64 v[46:47], v[18:19], v[0:1], -v[46:47]
	v_fmac_f64_e32 v[2:3], v[20:21], v[0:1]
	v_mul_f64 v[0:1], v[20:21], v[16:17]
	v_mul_f64 v[16:17], v[18:19], v[16:17]
	v_fmac_f64_e32 v[16:17], v[20:21], v[14:15]
	v_add_f64 v[42:43], v[42:43], v[46:47]
	v_add_f64 v[44:45], v[2:3], v[44:45]
	v_fma_f64 v[46:47], v[18:19], v[14:15], -v[0:1]
	ds_read_b128 v[0:3], v32 offset:1536
	v_add_f64 v[20:21], v[16:17], v[26:27]
	ds_read_b128 v[14:17], v32 offset:1792
	v_add_f64 v[18:19], v[28:29], v[46:47]
	s_add_u32 s2, s2, 8
	s_waitcnt lgkmcnt(1)
	v_mul_f64 v[26:27], v[52:53], v[2:3]
	v_mul_f64 v[28:29], v[50:51], v[2:3]
	s_waitcnt lgkmcnt(0)
	v_mul_f64 v[46:47], v[52:53], v[16:17]
	v_fma_f64 v[46:47], v[50:51], v[14:15], -v[46:47]
	v_add_f64 v[40:41], v[40:41], v[46:47]
	v_mul_f64 v[46:47], v[24:25], v[2:3]
	v_mul_f64 v[2:3], v[22:23], v[2:3]
	v_fma_f64 v[26:27], v[50:51], v[0:1], -v[26:27]
	v_fmac_f64_e32 v[28:29], v[52:53], v[0:1]
	v_fma_f64 v[46:47], v[22:23], v[0:1], -v[46:47]
	v_fmac_f64_e32 v[2:3], v[24:25], v[0:1]
	v_mul_f64 v[0:1], v[24:25], v[16:17]
	v_mul_f64 v[48:49], v[50:51], v[16:17]
	v_add_f64 v[42:43], v[42:43], v[46:47]
	v_fma_f64 v[46:47], v[22:23], v[14:15], -v[0:1]
	v_mul_f64 v[22:23], v[22:23], v[16:17]
	v_fmac_f64_e32 v[48:49], v[52:53], v[14:15]
	v_add_f64 v[44:45], v[2:3], v[44:45]
	v_fmac_f64_e32 v[22:23], v[24:25], v[14:15]
	ds_read_b128 v[0:3], v33 offset:64
	ds_read_b128 v[14:17], v32 offset:2048
	v_add_f64 v[38:39], v[48:49], v[38:39]
	v_add_f64 v[46:47], v[18:19], v[46:47]
	;; [unrolled: 1-line block ×3, first 2 shown]
	ds_read_b128 v[18:21], v32 offset:2304
	ds_read_b128 v[22:25], v33 offset:80
	s_waitcnt lgkmcnt(2)
	v_mul_f64 v[50:51], v[2:3], v[16:17]
	v_add_f64 v[26:27], v[54:55], v[26:27]
	v_fma_f64 v[50:51], v[0:1], v[14:15], -v[50:51]
	v_mul_f64 v[52:53], v[0:1], v[16:17]
	v_add_f64 v[28:29], v[28:29], v[56:57]
	v_fmac_f64_e32 v[52:53], v[2:3], v[14:15]
	v_add_f64 v[50:51], v[26:27], v[50:51]
	s_waitcnt lgkmcnt(1)
	v_mul_f64 v[26:27], v[2:3], v[20:21]
	v_add_f64 v[52:53], v[52:53], v[28:29]
	v_fma_f64 v[54:55], v[0:1], v[18:19], -v[26:27]
	ds_read_b128 v[26:29], v33 offset:2112
	v_mul_f64 v[0:1], v[0:1], v[20:21]
	v_fmac_f64_e32 v[0:1], v[2:3], v[18:19]
	v_add_f64 v[40:41], v[40:41], v[54:55]
	v_add_f64 v[38:39], v[0:1], v[38:39]
	ds_read_b128 v[0:3], v33 offset:2128
	s_waitcnt lgkmcnt(1)
	v_mul_f64 v[54:55], v[28:29], v[16:17]
	v_mul_f64 v[16:17], v[26:27], v[16:17]
	v_fma_f64 v[54:55], v[26:27], v[14:15], -v[54:55]
	v_fmac_f64_e32 v[16:17], v[28:29], v[14:15]
	v_mul_f64 v[14:15], v[28:29], v[20:21]
	v_add_f64 v[42:43], v[42:43], v[54:55]
	v_add_f64 v[44:45], v[16:17], v[44:45]
	v_fma_f64 v[54:55], v[26:27], v[18:19], -v[14:15]
	v_mul_f64 v[20:21], v[26:27], v[20:21]
	ds_read_b128 v[14:17], v32 offset:2560
	v_fmac_f64_e32 v[20:21], v[28:29], v[18:19]
	v_add_f64 v[28:29], v[20:21], v[48:49]
	ds_read_b128 v[18:21], v32 offset:2816
	v_add_f64 v[26:27], v[46:47], v[54:55]
	s_waitcnt lgkmcnt(1)
	v_mul_f64 v[46:47], v[24:25], v[16:17]
	v_fma_f64 v[46:47], v[22:23], v[14:15], -v[46:47]
	v_add_f64 v[46:47], v[50:51], v[46:47]
	s_waitcnt lgkmcnt(0)
	v_mul_f64 v[50:51], v[24:25], v[20:21]
	v_mul_f64 v[48:49], v[22:23], v[16:17]
	v_fma_f64 v[50:51], v[22:23], v[18:19], -v[50:51]
	v_mul_f64 v[22:23], v[22:23], v[20:21]
	v_fmac_f64_e32 v[22:23], v[24:25], v[18:19]
	v_add_f64 v[38:39], v[22:23], v[38:39]
	v_mul_f64 v[22:23], v[2:3], v[16:17]
	v_mul_f64 v[16:17], v[0:1], v[16:17]
	v_fmac_f64_e32 v[48:49], v[24:25], v[14:15]
	v_fma_f64 v[22:23], v[0:1], v[14:15], -v[22:23]
	v_fmac_f64_e32 v[16:17], v[2:3], v[14:15]
	v_mul_f64 v[14:15], v[2:3], v[20:21]
	v_mul_f64 v[20:21], v[0:1], v[20:21]
	v_add_f64 v[42:43], v[42:43], v[22:23]
	v_add_f64 v[44:45], v[16:17], v[44:45]
	v_fma_f64 v[22:23], v[0:1], v[18:19], -v[14:15]
	v_fmac_f64_e32 v[20:21], v[2:3], v[18:19]
	ds_read_b128 v[0:3], v33 offset:96
	ds_read_b128 v[14:17], v32 offset:3072
	v_add_f64 v[48:49], v[48:49], v[52:53]
	v_add_f64 v[40:41], v[40:41], v[50:51]
	;; [unrolled: 1-line block ×4, first 2 shown]
	ds_read_b128 v[18:21], v32 offset:3328
	ds_read_b128 v[22:25], v33 offset:112
	s_waitcnt lgkmcnt(2)
	v_mul_f64 v[26:27], v[2:3], v[16:17]
	v_fma_f64 v[26:27], v[0:1], v[14:15], -v[26:27]
	v_mul_f64 v[28:29], v[0:1], v[16:17]
	v_fmac_f64_e32 v[28:29], v[2:3], v[14:15]
	v_add_f64 v[46:47], v[46:47], v[26:27]
	s_waitcnt lgkmcnt(1)
	v_mul_f64 v[26:27], v[2:3], v[20:21]
	v_add_f64 v[48:49], v[28:29], v[48:49]
	v_fma_f64 v[54:55], v[0:1], v[18:19], -v[26:27]
	ds_read_b128 v[26:29], v33 offset:2144
	v_mul_f64 v[0:1], v[0:1], v[20:21]
	v_fmac_f64_e32 v[0:1], v[2:3], v[18:19]
	v_add_f64 v[56:57], v[0:1], v[38:39]
	ds_read_b128 v[0:3], v33 offset:2160
	s_waitcnt lgkmcnt(1)
	v_mul_f64 v[38:39], v[28:29], v[16:17]
	v_mul_f64 v[16:17], v[26:27], v[16:17]
	v_fma_f64 v[38:39], v[26:27], v[14:15], -v[38:39]
	v_fmac_f64_e32 v[16:17], v[28:29], v[14:15]
	v_mul_f64 v[14:15], v[28:29], v[20:21]
	v_add_f64 v[42:43], v[42:43], v[38:39]
	v_add_f64 v[44:45], v[16:17], v[44:45]
	v_fma_f64 v[38:39], v[26:27], v[18:19], -v[14:15]
	ds_read_b128 v[14:17], v32 offset:3584
	v_add_f64 v[54:55], v[40:41], v[54:55]
	v_add_f64 v[50:51], v[50:51], v[38:39]
	ds_read_b128 v[38:41], v32 offset:3840
	v_mul_f64 v[20:21], v[26:27], v[20:21]
	v_fmac_f64_e32 v[20:21], v[28:29], v[18:19]
	s_waitcnt lgkmcnt(1)
	v_mul_f64 v[18:19], v[24:25], v[16:17]
	v_fma_f64 v[18:19], v[22:23], v[14:15], -v[18:19]
	v_add_f64 v[52:53], v[20:21], v[52:53]
	v_mul_f64 v[20:21], v[22:23], v[16:17]
	v_add_f64 v[26:27], v[46:47], v[18:19]
	s_waitcnt lgkmcnt(0)
	v_mul_f64 v[18:19], v[24:25], v[40:41]
	v_fmac_f64_e32 v[20:21], v[24:25], v[14:15]
	v_fma_f64 v[18:19], v[22:23], v[38:39], -v[18:19]
	v_add_f64 v[28:29], v[20:21], v[48:49]
	v_mul_f64 v[20:21], v[22:23], v[40:41]
	v_add_f64 v[22:23], v[54:55], v[18:19]
	v_mul_f64 v[18:19], v[2:3], v[16:17]
	v_mul_f64 v[16:17], v[0:1], v[16:17]
	v_fma_f64 v[18:19], v[0:1], v[14:15], -v[18:19]
	v_fmac_f64_e32 v[16:17], v[2:3], v[14:15]
	v_mul_f64 v[14:15], v[2:3], v[40:41]
	v_fma_f64 v[14:15], v[0:1], v[38:39], -v[14:15]
	v_mul_f64 v[0:1], v[0:1], v[40:41]
	v_fmac_f64_e32 v[20:21], v[24:25], v[38:39]
	v_fmac_f64_e32 v[0:1], v[2:3], v[38:39]
	s_addc_u32 s3, s3, 0
	v_add_f64 v[24:25], v[20:21], v[56:57]
	v_add_f64 v[20:21], v[16:17], v[44:45]
	;; [unrolled: 1-line block ×4, first 2 shown]
	v_mov_b64_e32 v[0:1], s[2:3]
	v_cmp_gt_i64_e32 vcc, s[8:9], v[0:1]
	v_add_f64 v[18:19], v[42:43], v[18:19]
	s_barrier
	s_cbranch_vccz .LBB574_16
.LBB574_8:                              ; =>This Inner Loop Header: Depth=1
	v_mov_b64_e32 v[0:1], 0
	v_mov_b64_e32 v[2:3], 0
	s_and_saveexec_b64 s[16:17], s[0:1]
	s_cbranch_execz .LBB574_12
; %bb.9:                                ;   in Loop: Header=BB574_8 Depth=1
	v_add_u32_e32 v12, s2, v6
	v_cmp_gt_u64_e32 vcc, s[8:9], v[12:13]
	v_mov_b64_e32 v[2:3], 0
	v_mov_b64_e32 v[0:1], 0
	s_and_saveexec_b64 s[18:19], vcc
	s_cbranch_execz .LBB574_11
; %bb.10:                               ;   in Loop: Header=BB574_8 Depth=1
	v_lshl_add_u64 v[0:1], v[12:13], 4, v[8:9]
	flat_load_dwordx4 v[0:3], v[0:1]
	s_waitcnt vmcnt(0) lgkmcnt(0)
	v_xor_b32_e32 v3, 0x80000000, v3
.LBB574_11:                             ;   in Loop: Header=BB574_8 Depth=1
	s_or_b64 exec, exec, s[18:19]
.LBB574_12:                             ;   in Loop: Header=BB574_8 Depth=1
	s_or_b64 exec, exec, s[16:17]
	v_add_u32_e32 v12, s2, v4
	v_cmp_le_u64_e32 vcc, s[8:9], v[12:13]
	s_or_b64 s[16:17], vcc, s[14:15]
	ds_write_b128 v30, v[0:3]
	s_and_saveexec_b64 s[18:19], s[16:17]
	s_xor_b64 s[16:17], exec, s[18:19]
; %bb.13:                               ;   in Loop: Header=BB574_8 Depth=1
	ds_write_b128 v31, v[34:37]
; %bb.14:                               ;   in Loop: Header=BB574_8 Depth=1
	s_andn2_saveexec_b64 s[16:17], s[16:17]
	s_cbranch_execz .LBB574_7
; %bb.15:                               ;   in Loop: Header=BB574_8 Depth=1
	v_mad_u64_u32 v[0:1], s[18:19], s22, v12, 0
	v_mov_b32_e32 v2, v1
	v_mad_u64_u32 v[2:3], s[18:19], s23, v12, v[2:3]
	v_mov_b32_e32 v1, v2
	v_lshl_add_u64 v[0:1], v[0:1], 4, v[10:11]
	flat_load_dwordx4 v[0:3], v[0:1]
	s_waitcnt vmcnt(0) lgkmcnt(0)
	ds_write2_b64 v31, v[0:1], v[2:3] offset1:1
	s_branch .LBB574_7
.LBB574_16:
	s_waitcnt lgkmcnt(0)
	s_lshl_b64 s[0:1], s[38:39], 4
	v_add_u32_e32 v10, s31, v7
	s_add_u32 s8, s4, s0
	v_ashrrev_i32_e32 v0, 31, v10
	s_addc_u32 s9, s5, s1
	v_cmp_neq_f64_e64 s[0:1], s[26:27], 0
	s_xor_b64 s[4:5], s[6:7], -1
	v_mul_lo_u32 v2, s36, v0
	v_mul_lo_u32 v3, s37, v10
	v_mad_u64_u32 v[0:1], s[2:3], s36, v10, 0
	v_add_u32_e32 v4, s30, v5
	v_add3_u32 v1, v1, v2, v3
	s_or_b64 s[0:1], s[0:1], s[4:5]
	v_lshl_add_u64 v[8:9], v[0:1], 4, s[8:9]
	v_cmp_le_i32_e32 vcc, v10, v4
	v_cmp_gt_i32_e64 s[2:3], s33, v4
	v_cndmask_b32_e64 v0, 0, 1, s[0:1]
	s_and_b64 s[6:7], vcc, s[2:3]
	v_ashrrev_i32_e32 v5, 31, v4
	v_cmp_ne_u32_e64 s[0:1], 1, v0
	s_and_saveexec_b64 s[4:5], s[6:7]
	s_cbranch_execz .LBB574_20
; %bb.17:
	v_mul_f64 v[0:1], s[12:13], v[28:29]
	v_mul_f64 v[2:3], s[10:11], v[28:29]
	v_fma_f64 v[0:1], s[10:11], v[26:27], -v[0:1]
	v_fmac_f64_e32 v[2:3], s[12:13], v[26:27]
	s_and_b64 vcc, exec, s[0:1]
	v_lshl_add_u64 v[6:7], v[4:5], 4, v[8:9]
	s_cbranch_vccnz .LBB574_19
; %bb.18:
	flat_load_dwordx4 v[26:29], v[6:7]
	s_waitcnt vmcnt(0) lgkmcnt(0)
	v_mul_f64 v[12:13], s[28:29], v[28:29]
	v_mul_f64 v[28:29], s[26:27], v[28:29]
	v_fma_f64 v[12:13], s[26:27], v[26:27], -v[12:13]
	v_fmac_f64_e32 v[28:29], s[28:29], v[26:27]
	v_add_f64 v[0:1], v[0:1], v[12:13]
	v_add_f64 v[2:3], v[2:3], v[28:29]
.LBB574_19:
	flat_store_dwordx4 v[6:7], v[0:3]
.LBB574_20:
	s_or_b64 exec, exec, s[4:5]
	v_add_u32_e32 v6, 16, v4
	v_cmp_le_i32_e32 vcc, v10, v6
	v_cmp_gt_i32_e64 s[4:5], s33, v6
	s_and_b64 s[14:15], vcc, s[4:5]
	v_ashrrev_i32_e32 v7, 31, v6
	s_and_saveexec_b64 s[6:7], s[14:15]
	s_cbranch_execz .LBB574_24
; %bb.21:
	v_mul_f64 v[0:1], s[12:13], v[24:25]
	v_mul_f64 v[2:3], s[10:11], v[24:25]
	v_fma_f64 v[0:1], s[10:11], v[22:23], -v[0:1]
	v_fmac_f64_e32 v[2:3], s[12:13], v[22:23]
	s_and_b64 vcc, exec, s[0:1]
	v_lshl_add_u64 v[8:9], v[6:7], 4, v[8:9]
	s_cbranch_vccnz .LBB574_23
; %bb.22:
	flat_load_dwordx4 v[22:25], v[8:9]
	s_waitcnt vmcnt(0) lgkmcnt(0)
	v_mul_f64 v[12:13], s[28:29], v[24:25]
	v_mul_f64 v[24:25], s[26:27], v[24:25]
	v_fma_f64 v[12:13], s[26:27], v[22:23], -v[12:13]
	v_fmac_f64_e32 v[24:25], s[28:29], v[22:23]
	v_add_f64 v[0:1], v[0:1], v[12:13]
	v_add_f64 v[2:3], v[2:3], v[24:25]
.LBB574_23:
	flat_store_dwordx4 v[8:9], v[0:3]
.LBB574_24:
	s_or_b64 exec, exec, s[6:7]
	v_add_u32_e32 v10, 16, v10
	v_ashrrev_i32_e32 v0, 31, v10
	v_mul_lo_u32 v2, s36, v0
	v_mul_lo_u32 v3, s37, v10
	v_mad_u64_u32 v[0:1], s[6:7], s36, v10, 0
	v_add3_u32 v1, v1, v2, v3
	v_cmp_le_i32_e32 vcc, v10, v4
	v_lshl_add_u64 v[8:9], v[0:1], 4, s[8:9]
	s_and_b64 s[6:7], vcc, s[2:3]
	s_and_saveexec_b64 s[2:3], s[6:7]
	s_cbranch_execz .LBB574_28
; %bb.25:
	v_mul_f64 v[0:1], s[12:13], v[20:21]
	v_mul_f64 v[2:3], s[10:11], v[20:21]
	v_fma_f64 v[0:1], s[10:11], v[18:19], -v[0:1]
	v_fmac_f64_e32 v[2:3], s[12:13], v[18:19]
	s_and_b64 vcc, exec, s[0:1]
	v_lshl_add_u64 v[4:5], v[4:5], 4, v[8:9]
	s_cbranch_vccnz .LBB574_27
; %bb.26:
	flat_load_dwordx4 v[18:21], v[4:5]
	s_waitcnt vmcnt(0) lgkmcnt(0)
	v_mul_f64 v[12:13], s[28:29], v[20:21]
	v_mul_f64 v[20:21], s[26:27], v[20:21]
	v_fma_f64 v[12:13], s[26:27], v[18:19], -v[12:13]
	v_fmac_f64_e32 v[20:21], s[28:29], v[18:19]
	v_add_f64 v[0:1], v[0:1], v[12:13]
	v_add_f64 v[2:3], v[2:3], v[20:21]
.LBB574_27:
	flat_store_dwordx4 v[4:5], v[0:3]
.LBB574_28:
	s_or_b64 exec, exec, s[2:3]
	v_cmp_le_i32_e32 vcc, v10, v6
	s_and_b64 s[2:3], vcc, s[4:5]
	s_and_saveexec_b64 s[4:5], s[2:3]
	s_cbranch_execz .LBB574_32
; %bb.29:
	v_mul_f64 v[0:1], s[12:13], v[14:15]
	v_mul_f64 v[2:3], s[10:11], v[14:15]
	v_fma_f64 v[0:1], s[10:11], v[16:17], -v[0:1]
	v_fmac_f64_e32 v[2:3], s[12:13], v[16:17]
	s_and_b64 vcc, exec, s[0:1]
	v_lshl_add_u64 v[4:5], v[6:7], 4, v[8:9]
	s_cbranch_vccnz .LBB574_31
; %bb.30:
	flat_load_dwordx4 v[6:9], v[4:5]
	s_waitcnt vmcnt(0) lgkmcnt(0)
	v_mul_f64 v[10:11], s[28:29], v[8:9]
	v_mul_f64 v[8:9], s[26:27], v[8:9]
	v_fma_f64 v[10:11], s[26:27], v[6:7], -v[10:11]
	v_fmac_f64_e32 v[8:9], s[28:29], v[6:7]
	v_add_f64 v[0:1], v[0:1], v[10:11]
	v_add_f64 v[2:3], v[2:3], v[8:9]
.LBB574_31:
	flat_store_dwordx4 v[4:5], v[0:3]
.LBB574_32:
	s_endpgm
	.section	.rodata,"a",@progbits
	.p2align	6, 0x0
	.amdhsa_kernel _ZL29rocblas_internal_gemmt_kernelIlLi16ELi32ELi8ELc67ELc84ELc76ELb1ELb0E19rocblas_complex_numIdES1_PKPKS1_PKPS1_EviT_T9_T10_S9_lSB_S9_lSA_T11_S9_li
		.amdhsa_group_segment_fixed_size 8192
		.amdhsa_private_segment_fixed_size 0
		.amdhsa_kernarg_size 124
		.amdhsa_user_sgpr_count 2
		.amdhsa_user_sgpr_dispatch_ptr 0
		.amdhsa_user_sgpr_queue_ptr 0
		.amdhsa_user_sgpr_kernarg_segment_ptr 1
		.amdhsa_user_sgpr_dispatch_id 0
		.amdhsa_user_sgpr_kernarg_preload_length 0
		.amdhsa_user_sgpr_kernarg_preload_offset 0
		.amdhsa_user_sgpr_private_segment_size 0
		.amdhsa_uses_dynamic_stack 0
		.amdhsa_enable_private_segment 0
		.amdhsa_system_sgpr_workgroup_id_x 1
		.amdhsa_system_sgpr_workgroup_id_y 1
		.amdhsa_system_sgpr_workgroup_id_z 1
		.amdhsa_system_sgpr_workgroup_info 0
		.amdhsa_system_vgpr_workitem_id 1
		.amdhsa_next_free_vgpr 64
		.amdhsa_next_free_sgpr 40
		.amdhsa_accum_offset 64
		.amdhsa_reserve_vcc 1
		.amdhsa_float_round_mode_32 0
		.amdhsa_float_round_mode_16_64 0
		.amdhsa_float_denorm_mode_32 3
		.amdhsa_float_denorm_mode_16_64 3
		.amdhsa_dx10_clamp 1
		.amdhsa_ieee_mode 1
		.amdhsa_fp16_overflow 0
		.amdhsa_tg_split 0
		.amdhsa_exception_fp_ieee_invalid_op 0
		.amdhsa_exception_fp_denorm_src 0
		.amdhsa_exception_fp_ieee_div_zero 0
		.amdhsa_exception_fp_ieee_overflow 0
		.amdhsa_exception_fp_ieee_underflow 0
		.amdhsa_exception_fp_ieee_inexact 0
		.amdhsa_exception_int_div_zero 0
	.end_amdhsa_kernel
	.section	.text._ZL29rocblas_internal_gemmt_kernelIlLi16ELi32ELi8ELc67ELc84ELc76ELb1ELb0E19rocblas_complex_numIdES1_PKPKS1_PKPS1_EviT_T9_T10_S9_lSB_S9_lSA_T11_S9_li,"axG",@progbits,_ZL29rocblas_internal_gemmt_kernelIlLi16ELi32ELi8ELc67ELc84ELc76ELb1ELb0E19rocblas_complex_numIdES1_PKPKS1_PKPS1_EviT_T9_T10_S9_lSB_S9_lSA_T11_S9_li,comdat
.Lfunc_end574:
	.size	_ZL29rocblas_internal_gemmt_kernelIlLi16ELi32ELi8ELc67ELc84ELc76ELb1ELb0E19rocblas_complex_numIdES1_PKPKS1_PKPS1_EviT_T9_T10_S9_lSB_S9_lSA_T11_S9_li, .Lfunc_end574-_ZL29rocblas_internal_gemmt_kernelIlLi16ELi32ELi8ELc67ELc84ELc76ELb1ELb0E19rocblas_complex_numIdES1_PKPKS1_PKPS1_EviT_T9_T10_S9_lSB_S9_lSA_T11_S9_li
                                        ; -- End function
	.set _ZL29rocblas_internal_gemmt_kernelIlLi16ELi32ELi8ELc67ELc84ELc76ELb1ELb0E19rocblas_complex_numIdES1_PKPKS1_PKPS1_EviT_T9_T10_S9_lSB_S9_lSA_T11_S9_li.num_vgpr, 64
	.set _ZL29rocblas_internal_gemmt_kernelIlLi16ELi32ELi8ELc67ELc84ELc76ELb1ELb0E19rocblas_complex_numIdES1_PKPKS1_PKPS1_EviT_T9_T10_S9_lSB_S9_lSA_T11_S9_li.num_agpr, 0
	.set _ZL29rocblas_internal_gemmt_kernelIlLi16ELi32ELi8ELc67ELc84ELc76ELb1ELb0E19rocblas_complex_numIdES1_PKPKS1_PKPS1_EviT_T9_T10_S9_lSB_S9_lSA_T11_S9_li.numbered_sgpr, 40
	.set _ZL29rocblas_internal_gemmt_kernelIlLi16ELi32ELi8ELc67ELc84ELc76ELb1ELb0E19rocblas_complex_numIdES1_PKPKS1_PKPS1_EviT_T9_T10_S9_lSB_S9_lSA_T11_S9_li.num_named_barrier, 0
	.set _ZL29rocblas_internal_gemmt_kernelIlLi16ELi32ELi8ELc67ELc84ELc76ELb1ELb0E19rocblas_complex_numIdES1_PKPKS1_PKPS1_EviT_T9_T10_S9_lSB_S9_lSA_T11_S9_li.private_seg_size, 0
	.set _ZL29rocblas_internal_gemmt_kernelIlLi16ELi32ELi8ELc67ELc84ELc76ELb1ELb0E19rocblas_complex_numIdES1_PKPKS1_PKPS1_EviT_T9_T10_S9_lSB_S9_lSA_T11_S9_li.uses_vcc, 1
	.set _ZL29rocblas_internal_gemmt_kernelIlLi16ELi32ELi8ELc67ELc84ELc76ELb1ELb0E19rocblas_complex_numIdES1_PKPKS1_PKPS1_EviT_T9_T10_S9_lSB_S9_lSA_T11_S9_li.uses_flat_scratch, 0
	.set _ZL29rocblas_internal_gemmt_kernelIlLi16ELi32ELi8ELc67ELc84ELc76ELb1ELb0E19rocblas_complex_numIdES1_PKPKS1_PKPS1_EviT_T9_T10_S9_lSB_S9_lSA_T11_S9_li.has_dyn_sized_stack, 0
	.set _ZL29rocblas_internal_gemmt_kernelIlLi16ELi32ELi8ELc67ELc84ELc76ELb1ELb0E19rocblas_complex_numIdES1_PKPKS1_PKPS1_EviT_T9_T10_S9_lSB_S9_lSA_T11_S9_li.has_recursion, 0
	.set _ZL29rocblas_internal_gemmt_kernelIlLi16ELi32ELi8ELc67ELc84ELc76ELb1ELb0E19rocblas_complex_numIdES1_PKPKS1_PKPS1_EviT_T9_T10_S9_lSB_S9_lSA_T11_S9_li.has_indirect_call, 0
	.section	.AMDGPU.csdata,"",@progbits
; Kernel info:
; codeLenInByte = 3152
; TotalNumSgprs: 46
; NumVgprs: 64
; NumAgprs: 0
; TotalNumVgprs: 64
; ScratchSize: 0
; MemoryBound: 1
; FloatMode: 240
; IeeeMode: 1
; LDSByteSize: 8192 bytes/workgroup (compile time only)
; SGPRBlocks: 5
; VGPRBlocks: 7
; NumSGPRsForWavesPerEU: 46
; NumVGPRsForWavesPerEU: 64
; AccumOffset: 64
; Occupancy: 8
; WaveLimiterHint : 1
; COMPUTE_PGM_RSRC2:SCRATCH_EN: 0
; COMPUTE_PGM_RSRC2:USER_SGPR: 2
; COMPUTE_PGM_RSRC2:TRAP_HANDLER: 0
; COMPUTE_PGM_RSRC2:TGID_X_EN: 1
; COMPUTE_PGM_RSRC2:TGID_Y_EN: 1
; COMPUTE_PGM_RSRC2:TGID_Z_EN: 1
; COMPUTE_PGM_RSRC2:TIDIG_COMP_CNT: 1
; COMPUTE_PGM_RSRC3_GFX90A:ACCUM_OFFSET: 15
; COMPUTE_PGM_RSRC3_GFX90A:TG_SPLIT: 0
	.section	.text._ZL29rocblas_internal_gemmt_kernelIlLi16ELi32ELi8ELc67ELc67ELc76ELb1ELb1E19rocblas_complex_numIdES1_PKPKS1_PKPS1_EviT_T9_T10_S9_lSB_S9_lSA_T11_S9_li,"axG",@progbits,_ZL29rocblas_internal_gemmt_kernelIlLi16ELi32ELi8ELc67ELc67ELc76ELb1ELb1E19rocblas_complex_numIdES1_PKPKS1_PKPS1_EviT_T9_T10_S9_lSB_S9_lSA_T11_S9_li,comdat
	.globl	_ZL29rocblas_internal_gemmt_kernelIlLi16ELi32ELi8ELc67ELc67ELc76ELb1ELb1E19rocblas_complex_numIdES1_PKPKS1_PKPS1_EviT_T9_T10_S9_lSB_S9_lSA_T11_S9_li ; -- Begin function _ZL29rocblas_internal_gemmt_kernelIlLi16ELi32ELi8ELc67ELc67ELc76ELb1ELb1E19rocblas_complex_numIdES1_PKPKS1_PKPS1_EviT_T9_T10_S9_lSB_S9_lSA_T11_S9_li
	.p2align	8
	.type	_ZL29rocblas_internal_gemmt_kernelIlLi16ELi32ELi8ELc67ELc67ELc76ELb1ELb1E19rocblas_complex_numIdES1_PKPKS1_PKPS1_EviT_T9_T10_S9_lSB_S9_lSA_T11_S9_li,@function
_ZL29rocblas_internal_gemmt_kernelIlLi16ELi32ELi8ELc67ELc67ELc76ELb1ELb1E19rocblas_complex_numIdES1_PKPKS1_PKPS1_EviT_T9_T10_S9_lSB_S9_lSA_T11_S9_li: ; @_ZL29rocblas_internal_gemmt_kernelIlLi16ELi32ELi8ELc67ELc67ELc76ELb1ELb1E19rocblas_complex_numIdES1_PKPKS1_PKPS1_EviT_T9_T10_S9_lSB_S9_lSA_T11_S9_li
; %bb.0:
	s_load_dwordx8 s[24:31], s[0:1], 0x48
	s_load_dwordx16 s[8:23], s[0:1], 0x8
	s_mov_b64 s[34:35], 0
	s_waitcnt lgkmcnt(0)
	v_cmp_eq_f64_e64 s[36:37], s[26:27], 1.0
	v_cmp_eq_f64_e64 s[6:7], s[28:29], 0
	s_and_b64 s[36:37], s[36:37], s[6:7]
	s_andn2_b64 vcc, exec, s[36:37]
	s_mov_b64 s[36:37], -1
	s_cbranch_vccnz .LBB575_4
; %bb.1:
	s_cmp_lg_u64 s[8:9], 0
	s_cbranch_scc0 .LBB575_3
; %bb.2:
	v_cmp_neq_f64_e64 s[34:35], s[10:11], 0
	v_cmp_neq_f64_e64 s[36:37], s[12:13], 0
	s_or_b64 s[34:35], s[34:35], s[36:37]
.LBB575_3:
	s_mov_b64 s[36:37], s[34:35]
.LBB575_4:
	s_and_b64 vcc, exec, s[36:37]
	s_cbranch_vccz .LBB575_30
; %bb.5:
	s_mov_b32 s5, 0
	s_load_dwordx4 s[36:39], s[0:1], 0x68
	s_load_dword s33, s[0:1], 0x0
	s_lshl_b64 s[0:1], s[4:5], 3
	s_add_u32 s4, s30, s0
	s_addc_u32 s5, s31, s1
	s_load_dwordx2 s[4:5], s[4:5], 0x0
	s_lshl_b32 s30, s2, 5
	s_lshl_b32 s31, s3, 5
	v_cmp_eq_f64_e64 s[2:3], s[10:11], 0
	v_cmp_eq_f64_e64 s[34:35], s[12:13], 0
	s_and_b64 s[2:3], s[2:3], s[34:35]
	v_cmp_lt_i64_e64 s[34:35], s[8:9], 1
	s_or_b64 s[2:3], s[2:3], s[34:35]
	v_and_b32_e32 v5, 0x3ff, v0
	v_bfe_u32 v7, v0, 10, 10
	v_mov_b64_e32 v[26:27], 0
	s_and_b64 vcc, exec, s[2:3]
	v_mov_b64_e32 v[28:29], 0
	v_mov_b64_e32 v[22:23], 0
	v_mov_b64_e32 v[24:25], 0
	v_mov_b64_e32 v[18:19], 0
	v_mov_b64_e32 v[20:21], 0
	v_mov_b64_e32 v[16:17], 0
	v_mov_b64_e32 v[14:15], 0
	s_cbranch_vccnz .LBB575_14
; %bb.6:
	s_add_u32 s2, s20, s0
	s_addc_u32 s3, s21, s1
	s_load_dwordx2 s[2:3], s[2:3], 0x0
	s_lshl_b64 s[20:21], s[24:25], 4
	v_lshl_add_u32 v1, v7, 4, v5
	v_lshrrev_b32_e32 v6, 5, v1
	v_lshrrev_b32_e32 v10, 3, v1
	s_waitcnt lgkmcnt(0)
	s_add_u32 s20, s2, s20
	s_addc_u32 s21, s3, s21
	s_add_u32 s0, s14, s0
	s_addc_u32 s1, s15, s1
	s_load_dwordx2 s[0:1], s[0:1], 0x0
	v_and_b32_e32 v1, 31, v1
	s_lshl_b64 s[2:3], s[18:19], 4
	v_or_b32_e32 v2, s30, v1
	v_lshlrev_b32_e32 v1, 4, v1
	s_waitcnt lgkmcnt(0)
	s_add_u32 s2, s0, s2
	s_addc_u32 s3, s1, s3
	v_cmp_gt_i32_e64 s[0:1], s33, v2
	v_lshl_or_b32 v30, v6, 9, v1
	s_ashr_i32 s18, s30, 31
	v_mul_lo_u32 v1, s17, v2
	v_mad_u64_u32 v[2:3], s[14:15], s16, v2, 0
	v_and_b32_e32 v4, 7, v5
	s_mul_i32 s14, s16, s18
	v_add3_u32 v3, v3, s14, v1
	v_lshlrev_b32_e32 v1, 4, v4
	v_add_u32_e32 v0, s31, v10
	v_lshl_or_b32 v1, v10, 7, v1
	v_add_u32_e32 v31, 0x1000, v1
	v_ashrrev_i32_e32 v1, 31, v0
	v_lshl_add_u64 v[8:9], v[2:3], 4, s[2:3]
	v_cmp_gt_i32_e64 s[2:3], s33, v0
	v_lshl_add_u64 v[10:11], v[0:1], 4, s[20:21]
	v_mov_b32_e32 v0, 0x1000
	v_lshlrev_b32_e32 v32, 4, v5
	v_lshl_add_u32 v33, v7, 7, v0
	v_mov_b32_e32 v13, 0
	v_mov_b64_e32 v[14:15], 0
	s_mov_b64 s[14:15], 0
	v_mov_b64_e32 v[16:17], 0
	v_mov_b64_e32 v[20:21], 0
	;; [unrolled: 1-line block ×7, first 2 shown]
	s_branch .LBB575_8
.LBB575_7:                              ;   in Loop: Header=BB575_8 Depth=1
	s_or_b64 exec, exec, s[16:17]
	ds_write_b128 v31, v[0:3]
	s_waitcnt lgkmcnt(0)
	s_barrier
	ds_read_b128 v[0:3], v32
	ds_read_b128 v[34:37], v33
	ds_read_b128 v[38:41], v33 offset:16
	ds_read_b128 v[42:45], v33 offset:32
	ds_read_b128 v[46:49], v33 offset:48
	ds_read_b128 v[50:53], v32 offset:256
	s_waitcnt lgkmcnt(4)
	v_mul_f64 v[54:55], v[36:37], v[2:3]
	v_fma_f64 v[54:55], v[34:35], v[0:1], -v[54:55]
	v_mul_f64 v[56:57], v[34:35], v[2:3]
	v_fmac_f64_e32 v[56:57], v[36:37], v[0:1]
	v_add_f64 v[54:55], v[26:27], v[54:55]
	s_waitcnt lgkmcnt(0)
	v_mul_f64 v[26:27], v[36:37], v[52:53]
	v_add_f64 v[56:57], v[56:57], v[28:29]
	v_fma_f64 v[58:59], v[34:35], v[50:51], -v[26:27]
	ds_read_b128 v[26:29], v33 offset:2048
	v_mul_f64 v[34:35], v[34:35], v[52:53]
	v_fmac_f64_e32 v[34:35], v[36:37], v[50:51]
	v_add_f64 v[36:37], v[22:23], v[58:59]
	v_add_f64 v[34:35], v[34:35], v[24:25]
	ds_read_b128 v[22:25], v33 offset:2064
	s_waitcnt lgkmcnt(1)
	v_mul_f64 v[58:59], v[28:29], v[2:3]
	v_mul_f64 v[2:3], v[26:27], v[2:3]
	v_fma_f64 v[58:59], v[26:27], v[0:1], -v[58:59]
	v_fmac_f64_e32 v[2:3], v[28:29], v[0:1]
	v_mul_f64 v[0:1], v[28:29], v[52:53]
	v_add_f64 v[18:19], v[18:19], v[58:59]
	v_add_f64 v[20:21], v[2:3], v[20:21]
	v_fma_f64 v[58:59], v[26:27], v[50:51], -v[0:1]
	v_mul_f64 v[26:27], v[26:27], v[52:53]
	ds_read_b128 v[0:3], v32 offset:512
	v_fmac_f64_e32 v[26:27], v[28:29], v[50:51]
	v_add_f64 v[28:29], v[16:17], v[58:59]
	v_add_f64 v[26:27], v[26:27], v[14:15]
	ds_read_b128 v[14:17], v32 offset:768
	s_waitcnt lgkmcnt(1)
	v_mul_f64 v[50:51], v[40:41], v[2:3]
	v_fma_f64 v[50:51], v[38:39], v[0:1], -v[50:51]
	v_add_f64 v[50:51], v[54:55], v[50:51]
	v_mul_f64 v[52:53], v[38:39], v[2:3]
	s_waitcnt lgkmcnt(0)
	v_mul_f64 v[54:55], v[40:41], v[16:17]
	v_fma_f64 v[54:55], v[38:39], v[14:15], -v[54:55]
	v_mul_f64 v[38:39], v[38:39], v[16:17]
	v_fmac_f64_e32 v[38:39], v[40:41], v[14:15]
	v_add_f64 v[34:35], v[38:39], v[34:35]
	v_mul_f64 v[38:39], v[24:25], v[2:3]
	v_mul_f64 v[2:3], v[22:23], v[2:3]
	v_fmac_f64_e32 v[52:53], v[40:41], v[0:1]
	v_fma_f64 v[38:39], v[22:23], v[0:1], -v[38:39]
	v_fmac_f64_e32 v[2:3], v[24:25], v[0:1]
	v_mul_f64 v[0:1], v[24:25], v[16:17]
	v_add_f64 v[38:39], v[18:19], v[38:39]
	v_add_f64 v[40:41], v[2:3], v[20:21]
	v_fma_f64 v[18:19], v[22:23], v[14:15], -v[0:1]
	v_mul_f64 v[16:17], v[22:23], v[16:17]
	ds_read_b128 v[0:3], v32 offset:1024
	v_fmac_f64_e32 v[16:17], v[24:25], v[14:15]
	v_add_f64 v[26:27], v[16:17], v[26:27]
	ds_read_b128 v[14:17], v32 offset:1280
	v_add_f64 v[28:29], v[28:29], v[18:19]
	s_waitcnt lgkmcnt(1)
	v_mul_f64 v[18:19], v[44:45], v[2:3]
	v_fma_f64 v[18:19], v[42:43], v[0:1], -v[18:19]
	v_mul_f64 v[20:21], v[42:43], v[2:3]
	v_add_f64 v[52:53], v[52:53], v[56:57]
	v_fmac_f64_e32 v[20:21], v[44:45], v[0:1]
	v_add_f64 v[50:51], v[50:51], v[18:19]
	s_waitcnt lgkmcnt(0)
	v_mul_f64 v[18:19], v[44:45], v[16:17]
	v_add_f64 v[52:53], v[20:21], v[52:53]
	v_fma_f64 v[22:23], v[42:43], v[14:15], -v[18:19]
	ds_read_b128 v[18:21], v33 offset:2080
	v_mul_f64 v[24:25], v[42:43], v[16:17]
	v_add_f64 v[36:37], v[36:37], v[54:55]
	v_fmac_f64_e32 v[24:25], v[44:45], v[14:15]
	v_add_f64 v[36:37], v[36:37], v[22:23]
	v_add_f64 v[34:35], v[24:25], v[34:35]
	ds_read_b128 v[22:25], v33 offset:2096
	s_waitcnt lgkmcnt(1)
	v_mul_f64 v[42:43], v[20:21], v[2:3]
	v_mul_f64 v[2:3], v[18:19], v[2:3]
	v_fma_f64 v[42:43], v[18:19], v[0:1], -v[42:43]
	v_fmac_f64_e32 v[2:3], v[20:21], v[0:1]
	v_mul_f64 v[0:1], v[20:21], v[16:17]
	v_mul_f64 v[16:17], v[18:19], v[16:17]
	v_fmac_f64_e32 v[16:17], v[20:21], v[14:15]
	v_add_f64 v[38:39], v[38:39], v[42:43]
	v_add_f64 v[40:41], v[2:3], v[40:41]
	v_fma_f64 v[42:43], v[18:19], v[14:15], -v[0:1]
	ds_read_b128 v[0:3], v32 offset:1536
	v_add_f64 v[20:21], v[16:17], v[26:27]
	ds_read_b128 v[14:17], v32 offset:1792
	v_add_f64 v[18:19], v[28:29], v[42:43]
	s_add_u32 s14, s14, 8
	s_waitcnt lgkmcnt(1)
	v_mul_f64 v[26:27], v[48:49], v[2:3]
	v_mul_f64 v[28:29], v[46:47], v[2:3]
	s_waitcnt lgkmcnt(0)
	v_mul_f64 v[42:43], v[48:49], v[16:17]
	v_fma_f64 v[42:43], v[46:47], v[14:15], -v[42:43]
	v_add_f64 v[36:37], v[36:37], v[42:43]
	v_mul_f64 v[42:43], v[24:25], v[2:3]
	v_mul_f64 v[2:3], v[22:23], v[2:3]
	v_fma_f64 v[26:27], v[46:47], v[0:1], -v[26:27]
	v_fmac_f64_e32 v[28:29], v[48:49], v[0:1]
	v_fma_f64 v[42:43], v[22:23], v[0:1], -v[42:43]
	v_fmac_f64_e32 v[2:3], v[24:25], v[0:1]
	v_mul_f64 v[0:1], v[24:25], v[16:17]
	v_mul_f64 v[44:45], v[46:47], v[16:17]
	v_add_f64 v[38:39], v[38:39], v[42:43]
	v_fma_f64 v[42:43], v[22:23], v[14:15], -v[0:1]
	v_mul_f64 v[22:23], v[22:23], v[16:17]
	v_fmac_f64_e32 v[44:45], v[48:49], v[14:15]
	v_add_f64 v[40:41], v[2:3], v[40:41]
	v_fmac_f64_e32 v[22:23], v[24:25], v[14:15]
	ds_read_b128 v[0:3], v33 offset:64
	ds_read_b128 v[14:17], v32 offset:2048
	v_add_f64 v[34:35], v[44:45], v[34:35]
	v_add_f64 v[42:43], v[18:19], v[42:43]
	;; [unrolled: 1-line block ×3, first 2 shown]
	ds_read_b128 v[18:21], v32 offset:2304
	ds_read_b128 v[22:25], v33 offset:80
	s_waitcnt lgkmcnt(2)
	v_mul_f64 v[46:47], v[2:3], v[16:17]
	v_add_f64 v[26:27], v[50:51], v[26:27]
	v_fma_f64 v[46:47], v[0:1], v[14:15], -v[46:47]
	v_mul_f64 v[48:49], v[0:1], v[16:17]
	v_add_f64 v[28:29], v[28:29], v[52:53]
	v_fmac_f64_e32 v[48:49], v[2:3], v[14:15]
	v_add_f64 v[46:47], v[26:27], v[46:47]
	s_waitcnt lgkmcnt(1)
	v_mul_f64 v[26:27], v[2:3], v[20:21]
	v_add_f64 v[48:49], v[48:49], v[28:29]
	v_fma_f64 v[50:51], v[0:1], v[18:19], -v[26:27]
	ds_read_b128 v[26:29], v33 offset:2112
	v_mul_f64 v[0:1], v[0:1], v[20:21]
	v_fmac_f64_e32 v[0:1], v[2:3], v[18:19]
	v_add_f64 v[36:37], v[36:37], v[50:51]
	v_add_f64 v[34:35], v[0:1], v[34:35]
	ds_read_b128 v[0:3], v33 offset:2128
	s_waitcnt lgkmcnt(1)
	v_mul_f64 v[50:51], v[28:29], v[16:17]
	v_mul_f64 v[16:17], v[26:27], v[16:17]
	v_fma_f64 v[50:51], v[26:27], v[14:15], -v[50:51]
	v_fmac_f64_e32 v[16:17], v[28:29], v[14:15]
	v_mul_f64 v[14:15], v[28:29], v[20:21]
	v_add_f64 v[38:39], v[38:39], v[50:51]
	v_add_f64 v[40:41], v[16:17], v[40:41]
	v_fma_f64 v[50:51], v[26:27], v[18:19], -v[14:15]
	v_mul_f64 v[20:21], v[26:27], v[20:21]
	ds_read_b128 v[14:17], v32 offset:2560
	v_fmac_f64_e32 v[20:21], v[28:29], v[18:19]
	v_add_f64 v[28:29], v[20:21], v[44:45]
	ds_read_b128 v[18:21], v32 offset:2816
	v_add_f64 v[26:27], v[42:43], v[50:51]
	s_waitcnt lgkmcnt(1)
	v_mul_f64 v[42:43], v[24:25], v[16:17]
	v_fma_f64 v[42:43], v[22:23], v[14:15], -v[42:43]
	v_add_f64 v[42:43], v[46:47], v[42:43]
	s_waitcnt lgkmcnt(0)
	v_mul_f64 v[46:47], v[24:25], v[20:21]
	v_mul_f64 v[44:45], v[22:23], v[16:17]
	v_fma_f64 v[46:47], v[22:23], v[18:19], -v[46:47]
	v_mul_f64 v[22:23], v[22:23], v[20:21]
	v_fmac_f64_e32 v[22:23], v[24:25], v[18:19]
	v_add_f64 v[34:35], v[22:23], v[34:35]
	v_mul_f64 v[22:23], v[2:3], v[16:17]
	v_mul_f64 v[16:17], v[0:1], v[16:17]
	v_fmac_f64_e32 v[44:45], v[24:25], v[14:15]
	v_fma_f64 v[22:23], v[0:1], v[14:15], -v[22:23]
	v_fmac_f64_e32 v[16:17], v[2:3], v[14:15]
	v_mul_f64 v[14:15], v[2:3], v[20:21]
	v_mul_f64 v[20:21], v[0:1], v[20:21]
	v_add_f64 v[38:39], v[38:39], v[22:23]
	v_add_f64 v[40:41], v[16:17], v[40:41]
	v_fma_f64 v[22:23], v[0:1], v[18:19], -v[14:15]
	v_fmac_f64_e32 v[20:21], v[2:3], v[18:19]
	ds_read_b128 v[0:3], v33 offset:96
	ds_read_b128 v[14:17], v32 offset:3072
	v_add_f64 v[44:45], v[44:45], v[48:49]
	v_add_f64 v[36:37], v[36:37], v[46:47]
	;; [unrolled: 1-line block ×4, first 2 shown]
	ds_read_b128 v[18:21], v32 offset:3328
	ds_read_b128 v[22:25], v33 offset:112
	s_waitcnt lgkmcnt(2)
	v_mul_f64 v[26:27], v[2:3], v[16:17]
	v_fma_f64 v[26:27], v[0:1], v[14:15], -v[26:27]
	v_mul_f64 v[28:29], v[0:1], v[16:17]
	v_fmac_f64_e32 v[28:29], v[2:3], v[14:15]
	v_add_f64 v[42:43], v[42:43], v[26:27]
	s_waitcnt lgkmcnt(1)
	v_mul_f64 v[26:27], v[2:3], v[20:21]
	v_add_f64 v[44:45], v[28:29], v[44:45]
	v_fma_f64 v[50:51], v[0:1], v[18:19], -v[26:27]
	ds_read_b128 v[26:29], v33 offset:2144
	v_mul_f64 v[0:1], v[0:1], v[20:21]
	v_fmac_f64_e32 v[0:1], v[2:3], v[18:19]
	v_add_f64 v[52:53], v[0:1], v[34:35]
	ds_read_b128 v[0:3], v33 offset:2160
	s_waitcnt lgkmcnt(1)
	v_mul_f64 v[34:35], v[28:29], v[16:17]
	v_mul_f64 v[16:17], v[26:27], v[16:17]
	v_fma_f64 v[34:35], v[26:27], v[14:15], -v[34:35]
	v_fmac_f64_e32 v[16:17], v[28:29], v[14:15]
	v_mul_f64 v[14:15], v[28:29], v[20:21]
	v_add_f64 v[38:39], v[38:39], v[34:35]
	v_add_f64 v[40:41], v[16:17], v[40:41]
	v_fma_f64 v[34:35], v[26:27], v[18:19], -v[14:15]
	ds_read_b128 v[14:17], v32 offset:3584
	v_add_f64 v[50:51], v[36:37], v[50:51]
	v_add_f64 v[46:47], v[46:47], v[34:35]
	ds_read_b128 v[34:37], v32 offset:3840
	v_mul_f64 v[20:21], v[26:27], v[20:21]
	v_fmac_f64_e32 v[20:21], v[28:29], v[18:19]
	s_waitcnt lgkmcnt(1)
	v_mul_f64 v[18:19], v[24:25], v[16:17]
	v_fma_f64 v[18:19], v[22:23], v[14:15], -v[18:19]
	v_add_f64 v[48:49], v[20:21], v[48:49]
	v_mul_f64 v[20:21], v[22:23], v[16:17]
	v_add_f64 v[26:27], v[42:43], v[18:19]
	s_waitcnt lgkmcnt(0)
	v_mul_f64 v[18:19], v[24:25], v[36:37]
	v_fmac_f64_e32 v[20:21], v[24:25], v[14:15]
	v_fma_f64 v[18:19], v[22:23], v[34:35], -v[18:19]
	v_add_f64 v[28:29], v[20:21], v[44:45]
	v_mul_f64 v[20:21], v[22:23], v[36:37]
	v_add_f64 v[22:23], v[50:51], v[18:19]
	v_mul_f64 v[18:19], v[2:3], v[16:17]
	v_mul_f64 v[16:17], v[0:1], v[16:17]
	v_fma_f64 v[18:19], v[0:1], v[14:15], -v[18:19]
	v_fmac_f64_e32 v[16:17], v[2:3], v[14:15]
	v_mul_f64 v[14:15], v[2:3], v[36:37]
	v_fma_f64 v[14:15], v[0:1], v[34:35], -v[14:15]
	v_mul_f64 v[0:1], v[0:1], v[36:37]
	v_fmac_f64_e32 v[20:21], v[24:25], v[34:35]
	v_fmac_f64_e32 v[0:1], v[2:3], v[34:35]
	s_addc_u32 s15, s15, 0
	v_add_f64 v[24:25], v[20:21], v[52:53]
	v_add_f64 v[20:21], v[16:17], v[40:41]
	;; [unrolled: 1-line block ×4, first 2 shown]
	v_mov_b64_e32 v[0:1], s[14:15]
	v_cmp_gt_i64_e32 vcc, s[8:9], v[0:1]
	v_add_f64 v[18:19], v[38:39], v[18:19]
	s_barrier
	s_cbranch_vccz .LBB575_14
.LBB575_8:                              ; =>This Inner Loop Header: Depth=1
	v_mov_b64_e32 v[0:1], 0
	v_mov_b64_e32 v[2:3], 0
	s_and_saveexec_b64 s[16:17], s[0:1]
	s_cbranch_execz .LBB575_12
; %bb.9:                                ;   in Loop: Header=BB575_8 Depth=1
	v_add_u32_e32 v12, s14, v6
	v_cmp_gt_u64_e32 vcc, s[8:9], v[12:13]
	v_mov_b64_e32 v[2:3], 0
	v_mov_b64_e32 v[0:1], 0
	s_and_saveexec_b64 s[18:19], vcc
	s_cbranch_execz .LBB575_11
; %bb.10:                               ;   in Loop: Header=BB575_8 Depth=1
	v_lshl_add_u64 v[0:1], v[12:13], 4, v[8:9]
	flat_load_dwordx4 v[0:3], v[0:1]
	s_waitcnt vmcnt(0) lgkmcnt(0)
	v_xor_b32_e32 v3, 0x80000000, v3
.LBB575_11:                             ;   in Loop: Header=BB575_8 Depth=1
	s_or_b64 exec, exec, s[18:19]
.LBB575_12:                             ;   in Loop: Header=BB575_8 Depth=1
	s_or_b64 exec, exec, s[16:17]
	v_add_u32_e32 v12, s14, v4
	v_cmp_gt_u64_e32 vcc, s[8:9], v[12:13]
	ds_write_b128 v30, v[0:3]
	s_and_b64 s[18:19], vcc, s[2:3]
	v_mov_b64_e32 v[0:1], 0
	v_mov_b64_e32 v[2:3], 0
	s_and_saveexec_b64 s[16:17], s[18:19]
	s_cbranch_execz .LBB575_7
; %bb.13:                               ;   in Loop: Header=BB575_8 Depth=1
	v_mad_u64_u32 v[0:1], s[18:19], s22, v12, 0
	v_mov_b32_e32 v2, v1
	v_mad_u64_u32 v[2:3], s[18:19], s23, v12, v[2:3]
	v_mov_b32_e32 v1, v2
	v_lshl_add_u64 v[0:1], v[0:1], 4, v[10:11]
	flat_load_dwordx4 v[0:3], v[0:1]
	s_waitcnt vmcnt(0) lgkmcnt(0)
	v_xor_b32_e32 v3, 0x80000000, v3
	s_branch .LBB575_7
.LBB575_14:
	s_waitcnt lgkmcnt(0)
	s_lshl_b64 s[0:1], s[38:39], 4
	v_add_u32_e32 v10, s31, v7
	s_add_u32 s8, s4, s0
	v_ashrrev_i32_e32 v0, 31, v10
	s_addc_u32 s9, s5, s1
	v_cmp_neq_f64_e64 s[0:1], s[26:27], 0
	s_xor_b64 s[4:5], s[6:7], -1
	v_mul_lo_u32 v2, s36, v0
	v_mul_lo_u32 v3, s37, v10
	v_mad_u64_u32 v[0:1], s[2:3], s36, v10, 0
	v_add_u32_e32 v4, s30, v5
	v_add3_u32 v1, v1, v2, v3
	s_or_b64 s[0:1], s[0:1], s[4:5]
	v_lshl_add_u64 v[8:9], v[0:1], 4, s[8:9]
	v_cmp_le_i32_e32 vcc, v10, v4
	v_cmp_gt_i32_e64 s[2:3], s33, v4
	v_cndmask_b32_e64 v0, 0, 1, s[0:1]
	s_and_b64 s[6:7], vcc, s[2:3]
	v_ashrrev_i32_e32 v5, 31, v4
	v_cmp_ne_u32_e64 s[0:1], 1, v0
	s_and_saveexec_b64 s[4:5], s[6:7]
	s_cbranch_execz .LBB575_18
; %bb.15:
	v_mul_f64 v[0:1], s[12:13], v[28:29]
	v_mul_f64 v[2:3], s[10:11], v[28:29]
	v_fma_f64 v[0:1], s[10:11], v[26:27], -v[0:1]
	v_fmac_f64_e32 v[2:3], s[12:13], v[26:27]
	s_and_b64 vcc, exec, s[0:1]
	v_lshl_add_u64 v[6:7], v[4:5], 4, v[8:9]
	s_cbranch_vccnz .LBB575_17
; %bb.16:
	flat_load_dwordx4 v[26:29], v[6:7]
	s_waitcnt vmcnt(0) lgkmcnt(0)
	v_mul_f64 v[12:13], s[28:29], v[28:29]
	v_mul_f64 v[28:29], s[26:27], v[28:29]
	v_fma_f64 v[12:13], s[26:27], v[26:27], -v[12:13]
	v_fmac_f64_e32 v[28:29], s[28:29], v[26:27]
	v_add_f64 v[0:1], v[0:1], v[12:13]
	v_add_f64 v[2:3], v[2:3], v[28:29]
.LBB575_17:
	flat_store_dwordx4 v[6:7], v[0:3]
.LBB575_18:
	s_or_b64 exec, exec, s[4:5]
	v_add_u32_e32 v6, 16, v4
	v_cmp_le_i32_e32 vcc, v10, v6
	v_cmp_gt_i32_e64 s[4:5], s33, v6
	s_and_b64 s[14:15], vcc, s[4:5]
	v_ashrrev_i32_e32 v7, 31, v6
	s_and_saveexec_b64 s[6:7], s[14:15]
	s_cbranch_execz .LBB575_22
; %bb.19:
	v_mul_f64 v[0:1], s[12:13], v[24:25]
	v_mul_f64 v[2:3], s[10:11], v[24:25]
	v_fma_f64 v[0:1], s[10:11], v[22:23], -v[0:1]
	v_fmac_f64_e32 v[2:3], s[12:13], v[22:23]
	s_and_b64 vcc, exec, s[0:1]
	v_lshl_add_u64 v[8:9], v[6:7], 4, v[8:9]
	s_cbranch_vccnz .LBB575_21
; %bb.20:
	flat_load_dwordx4 v[22:25], v[8:9]
	s_waitcnt vmcnt(0) lgkmcnt(0)
	v_mul_f64 v[12:13], s[28:29], v[24:25]
	v_mul_f64 v[24:25], s[26:27], v[24:25]
	v_fma_f64 v[12:13], s[26:27], v[22:23], -v[12:13]
	v_fmac_f64_e32 v[24:25], s[28:29], v[22:23]
	v_add_f64 v[0:1], v[0:1], v[12:13]
	v_add_f64 v[2:3], v[2:3], v[24:25]
.LBB575_21:
	flat_store_dwordx4 v[8:9], v[0:3]
.LBB575_22:
	s_or_b64 exec, exec, s[6:7]
	v_add_u32_e32 v10, 16, v10
	v_ashrrev_i32_e32 v0, 31, v10
	v_mul_lo_u32 v2, s36, v0
	v_mul_lo_u32 v3, s37, v10
	v_mad_u64_u32 v[0:1], s[6:7], s36, v10, 0
	v_add3_u32 v1, v1, v2, v3
	v_cmp_le_i32_e32 vcc, v10, v4
	v_lshl_add_u64 v[8:9], v[0:1], 4, s[8:9]
	s_and_b64 s[6:7], vcc, s[2:3]
	s_and_saveexec_b64 s[2:3], s[6:7]
	s_cbranch_execz .LBB575_26
; %bb.23:
	v_mul_f64 v[0:1], s[12:13], v[20:21]
	v_mul_f64 v[2:3], s[10:11], v[20:21]
	v_fma_f64 v[0:1], s[10:11], v[18:19], -v[0:1]
	v_fmac_f64_e32 v[2:3], s[12:13], v[18:19]
	s_and_b64 vcc, exec, s[0:1]
	v_lshl_add_u64 v[4:5], v[4:5], 4, v[8:9]
	s_cbranch_vccnz .LBB575_25
; %bb.24:
	flat_load_dwordx4 v[18:21], v[4:5]
	s_waitcnt vmcnt(0) lgkmcnt(0)
	v_mul_f64 v[12:13], s[28:29], v[20:21]
	v_mul_f64 v[20:21], s[26:27], v[20:21]
	v_fma_f64 v[12:13], s[26:27], v[18:19], -v[12:13]
	v_fmac_f64_e32 v[20:21], s[28:29], v[18:19]
	v_add_f64 v[0:1], v[0:1], v[12:13]
	v_add_f64 v[2:3], v[2:3], v[20:21]
.LBB575_25:
	flat_store_dwordx4 v[4:5], v[0:3]
.LBB575_26:
	s_or_b64 exec, exec, s[2:3]
	v_cmp_le_i32_e32 vcc, v10, v6
	s_and_b64 s[2:3], vcc, s[4:5]
	s_and_saveexec_b64 s[4:5], s[2:3]
	s_cbranch_execz .LBB575_30
; %bb.27:
	v_mul_f64 v[0:1], s[12:13], v[14:15]
	v_mul_f64 v[2:3], s[10:11], v[14:15]
	v_fma_f64 v[0:1], s[10:11], v[16:17], -v[0:1]
	v_fmac_f64_e32 v[2:3], s[12:13], v[16:17]
	s_and_b64 vcc, exec, s[0:1]
	v_lshl_add_u64 v[4:5], v[6:7], 4, v[8:9]
	s_cbranch_vccnz .LBB575_29
; %bb.28:
	flat_load_dwordx4 v[6:9], v[4:5]
	s_waitcnt vmcnt(0) lgkmcnt(0)
	v_mul_f64 v[10:11], s[28:29], v[8:9]
	v_mul_f64 v[8:9], s[26:27], v[8:9]
	v_fma_f64 v[10:11], s[26:27], v[6:7], -v[10:11]
	v_fmac_f64_e32 v[8:9], s[28:29], v[6:7]
	v_add_f64 v[0:1], v[0:1], v[10:11]
	v_add_f64 v[2:3], v[2:3], v[8:9]
.LBB575_29:
	flat_store_dwordx4 v[4:5], v[0:3]
.LBB575_30:
	s_endpgm
	.section	.rodata,"a",@progbits
	.p2align	6, 0x0
	.amdhsa_kernel _ZL29rocblas_internal_gemmt_kernelIlLi16ELi32ELi8ELc67ELc67ELc76ELb1ELb1E19rocblas_complex_numIdES1_PKPKS1_PKPS1_EviT_T9_T10_S9_lSB_S9_lSA_T11_S9_li
		.amdhsa_group_segment_fixed_size 8192
		.amdhsa_private_segment_fixed_size 0
		.amdhsa_kernarg_size 124
		.amdhsa_user_sgpr_count 2
		.amdhsa_user_sgpr_dispatch_ptr 0
		.amdhsa_user_sgpr_queue_ptr 0
		.amdhsa_user_sgpr_kernarg_segment_ptr 1
		.amdhsa_user_sgpr_dispatch_id 0
		.amdhsa_user_sgpr_kernarg_preload_length 0
		.amdhsa_user_sgpr_kernarg_preload_offset 0
		.amdhsa_user_sgpr_private_segment_size 0
		.amdhsa_uses_dynamic_stack 0
		.amdhsa_enable_private_segment 0
		.amdhsa_system_sgpr_workgroup_id_x 1
		.amdhsa_system_sgpr_workgroup_id_y 1
		.amdhsa_system_sgpr_workgroup_id_z 1
		.amdhsa_system_sgpr_workgroup_info 0
		.amdhsa_system_vgpr_workitem_id 1
		.amdhsa_next_free_vgpr 60
		.amdhsa_next_free_sgpr 40
		.amdhsa_accum_offset 60
		.amdhsa_reserve_vcc 1
		.amdhsa_float_round_mode_32 0
		.amdhsa_float_round_mode_16_64 0
		.amdhsa_float_denorm_mode_32 3
		.amdhsa_float_denorm_mode_16_64 3
		.amdhsa_dx10_clamp 1
		.amdhsa_ieee_mode 1
		.amdhsa_fp16_overflow 0
		.amdhsa_tg_split 0
		.amdhsa_exception_fp_ieee_invalid_op 0
		.amdhsa_exception_fp_denorm_src 0
		.amdhsa_exception_fp_ieee_div_zero 0
		.amdhsa_exception_fp_ieee_overflow 0
		.amdhsa_exception_fp_ieee_underflow 0
		.amdhsa_exception_fp_ieee_inexact 0
		.amdhsa_exception_int_div_zero 0
	.end_amdhsa_kernel
	.section	.text._ZL29rocblas_internal_gemmt_kernelIlLi16ELi32ELi8ELc67ELc67ELc76ELb1ELb1E19rocblas_complex_numIdES1_PKPKS1_PKPS1_EviT_T9_T10_S9_lSB_S9_lSA_T11_S9_li,"axG",@progbits,_ZL29rocblas_internal_gemmt_kernelIlLi16ELi32ELi8ELc67ELc67ELc76ELb1ELb1E19rocblas_complex_numIdES1_PKPKS1_PKPS1_EviT_T9_T10_S9_lSB_S9_lSA_T11_S9_li,comdat
.Lfunc_end575:
	.size	_ZL29rocblas_internal_gemmt_kernelIlLi16ELi32ELi8ELc67ELc67ELc76ELb1ELb1E19rocblas_complex_numIdES1_PKPKS1_PKPS1_EviT_T9_T10_S9_lSB_S9_lSA_T11_S9_li, .Lfunc_end575-_ZL29rocblas_internal_gemmt_kernelIlLi16ELi32ELi8ELc67ELc67ELc76ELb1ELb1E19rocblas_complex_numIdES1_PKPKS1_PKPS1_EviT_T9_T10_S9_lSB_S9_lSA_T11_S9_li
                                        ; -- End function
	.set _ZL29rocblas_internal_gemmt_kernelIlLi16ELi32ELi8ELc67ELc67ELc76ELb1ELb1E19rocblas_complex_numIdES1_PKPKS1_PKPS1_EviT_T9_T10_S9_lSB_S9_lSA_T11_S9_li.num_vgpr, 60
	.set _ZL29rocblas_internal_gemmt_kernelIlLi16ELi32ELi8ELc67ELc67ELc76ELb1ELb1E19rocblas_complex_numIdES1_PKPKS1_PKPS1_EviT_T9_T10_S9_lSB_S9_lSA_T11_S9_li.num_agpr, 0
	.set _ZL29rocblas_internal_gemmt_kernelIlLi16ELi32ELi8ELc67ELc67ELc76ELb1ELb1E19rocblas_complex_numIdES1_PKPKS1_PKPS1_EviT_T9_T10_S9_lSB_S9_lSA_T11_S9_li.numbered_sgpr, 40
	.set _ZL29rocblas_internal_gemmt_kernelIlLi16ELi32ELi8ELc67ELc67ELc76ELb1ELb1E19rocblas_complex_numIdES1_PKPKS1_PKPS1_EviT_T9_T10_S9_lSB_S9_lSA_T11_S9_li.num_named_barrier, 0
	.set _ZL29rocblas_internal_gemmt_kernelIlLi16ELi32ELi8ELc67ELc67ELc76ELb1ELb1E19rocblas_complex_numIdES1_PKPKS1_PKPS1_EviT_T9_T10_S9_lSB_S9_lSA_T11_S9_li.private_seg_size, 0
	.set _ZL29rocblas_internal_gemmt_kernelIlLi16ELi32ELi8ELc67ELc67ELc76ELb1ELb1E19rocblas_complex_numIdES1_PKPKS1_PKPS1_EviT_T9_T10_S9_lSB_S9_lSA_T11_S9_li.uses_vcc, 1
	.set _ZL29rocblas_internal_gemmt_kernelIlLi16ELi32ELi8ELc67ELc67ELc76ELb1ELb1E19rocblas_complex_numIdES1_PKPKS1_PKPS1_EviT_T9_T10_S9_lSB_S9_lSA_T11_S9_li.uses_flat_scratch, 0
	.set _ZL29rocblas_internal_gemmt_kernelIlLi16ELi32ELi8ELc67ELc67ELc76ELb1ELb1E19rocblas_complex_numIdES1_PKPKS1_PKPS1_EviT_T9_T10_S9_lSB_S9_lSA_T11_S9_li.has_dyn_sized_stack, 0
	.set _ZL29rocblas_internal_gemmt_kernelIlLi16ELi32ELi8ELc67ELc67ELc76ELb1ELb1E19rocblas_complex_numIdES1_PKPKS1_PKPS1_EviT_T9_T10_S9_lSB_S9_lSA_T11_S9_li.has_recursion, 0
	.set _ZL29rocblas_internal_gemmt_kernelIlLi16ELi32ELi8ELc67ELc67ELc76ELb1ELb1E19rocblas_complex_numIdES1_PKPKS1_PKPS1_EviT_T9_T10_S9_lSB_S9_lSA_T11_S9_li.has_indirect_call, 0
	.section	.AMDGPU.csdata,"",@progbits
; Kernel info:
; codeLenInByte = 3136
; TotalNumSgprs: 46
; NumVgprs: 60
; NumAgprs: 0
; TotalNumVgprs: 60
; ScratchSize: 0
; MemoryBound: 1
; FloatMode: 240
; IeeeMode: 1
; LDSByteSize: 8192 bytes/workgroup (compile time only)
; SGPRBlocks: 5
; VGPRBlocks: 7
; NumSGPRsForWavesPerEU: 46
; NumVGPRsForWavesPerEU: 60
; AccumOffset: 60
; Occupancy: 8
; WaveLimiterHint : 1
; COMPUTE_PGM_RSRC2:SCRATCH_EN: 0
; COMPUTE_PGM_RSRC2:USER_SGPR: 2
; COMPUTE_PGM_RSRC2:TRAP_HANDLER: 0
; COMPUTE_PGM_RSRC2:TGID_X_EN: 1
; COMPUTE_PGM_RSRC2:TGID_Y_EN: 1
; COMPUTE_PGM_RSRC2:TGID_Z_EN: 1
; COMPUTE_PGM_RSRC2:TIDIG_COMP_CNT: 1
; COMPUTE_PGM_RSRC3_GFX90A:ACCUM_OFFSET: 14
; COMPUTE_PGM_RSRC3_GFX90A:TG_SPLIT: 0
	.section	.AMDGPU.gpr_maximums,"",@progbits
	.set amdgpu.max_num_vgpr, 0
	.set amdgpu.max_num_agpr, 0
	.set amdgpu.max_num_sgpr, 0
	.section	.AMDGPU.csdata,"",@progbits
	.type	__hip_cuid_7fa62904ac941ac3,@object ; @__hip_cuid_7fa62904ac941ac3
	.section	.bss,"aw",@nobits
	.globl	__hip_cuid_7fa62904ac941ac3
__hip_cuid_7fa62904ac941ac3:
	.byte	0                               ; 0x0
	.size	__hip_cuid_7fa62904ac941ac3, 1

	.ident	"AMD clang version 22.0.0git (https://github.com/RadeonOpenCompute/llvm-project roc-7.2.4 26084 f58b06dce1f9c15707c5f808fd002e18c2accf7e)"
	.section	".note.GNU-stack","",@progbits
	.addrsig
	.addrsig_sym __hip_cuid_7fa62904ac941ac3
	.amdgpu_metadata
---
amdhsa.kernels:
  - .agpr_count:     0
    .args:
      - .offset:         0
        .size:           4
        .value_kind:     by_value
      - .offset:         4
        .size:           4
        .value_kind:     by_value
      - .address_space:  global
        .offset:         8
        .size:           8
        .value_kind:     global_buffer
      - .address_space:  global
        .offset:         16
        .size:           8
        .value_kind:     global_buffer
      - .offset:         24
        .size:           4
        .value_kind:     by_value
      - .offset:         32
        .size:           8
        .value_kind:     by_value
      - .address_space:  global
        .offset:         40
        .size:           8
        .value_kind:     global_buffer
      - .offset:         48
        .size:           4
        .value_kind:     by_value
      - .offset:         56
        .size:           8
        .value_kind:     by_value
      - .address_space:  global
        .offset:         64
        .size:           8
        .value_kind:     global_buffer
      - .address_space:  global
        .offset:         72
        .size:           8
        .value_kind:     global_buffer
      - .offset:         80
        .size:           4
        .value_kind:     by_value
      - .offset:         88
        .size:           8
        .value_kind:     by_value
      - .offset:         96
        .size:           4
        .value_kind:     by_value
    .group_segment_fixed_size: 2048
    .kernarg_segment_align: 8
    .kernarg_segment_size: 100
    .language:       OpenCL C
    .language_version:
      - 2
      - 0
    .max_flat_workgroup_size: 256
    .name:           _ZL29rocblas_internal_gemmt_kernelIiLi16ELi32ELi8ELc78ELc78ELc85ELb0ELb0EfPKfS1_PfEviT_T9_T10_S3_lS5_S3_lS4_T11_S3_li
    .private_segment_fixed_size: 0
    .sgpr_count:     33
    .sgpr_spill_count: 0
    .symbol:         _ZL29rocblas_internal_gemmt_kernelIiLi16ELi32ELi8ELc78ELc78ELc85ELb0ELb0EfPKfS1_PfEviT_T9_T10_S3_lS5_S3_lS4_T11_S3_li.kd
    .uniform_work_group_size: 1
    .uses_dynamic_stack: false
    .vgpr_count:     48
    .vgpr_spill_count: 0
    .wavefront_size: 64
  - .agpr_count:     0
    .args:
      - .offset:         0
        .size:           4
        .value_kind:     by_value
      - .offset:         4
        .size:           4
        .value_kind:     by_value
      - .address_space:  global
        .offset:         8
        .size:           8
        .value_kind:     global_buffer
      - .address_space:  global
        .offset:         16
        .size:           8
        .value_kind:     global_buffer
      - .offset:         24
        .size:           4
        .value_kind:     by_value
      - .offset:         32
        .size:           8
        .value_kind:     by_value
      - .address_space:  global
        .offset:         40
        .size:           8
        .value_kind:     global_buffer
      - .offset:         48
        .size:           4
        .value_kind:     by_value
      - .offset:         56
        .size:           8
        .value_kind:     by_value
      - .address_space:  global
        .offset:         64
        .size:           8
        .value_kind:     global_buffer
      - .address_space:  global
        .offset:         72
        .size:           8
        .value_kind:     global_buffer
      - .offset:         80
        .size:           4
        .value_kind:     by_value
      - .offset:         88
        .size:           8
        .value_kind:     by_value
      - .offset:         96
        .size:           4
        .value_kind:     by_value
    .group_segment_fixed_size: 2048
    .kernarg_segment_align: 8
    .kernarg_segment_size: 100
    .language:       OpenCL C
    .language_version:
      - 2
      - 0
    .max_flat_workgroup_size: 256
    .name:           _ZL29rocblas_internal_gemmt_kernelIiLi16ELi32ELi8ELc78ELc84ELc85ELb0ELb0EfPKfS1_PfEviT_T9_T10_S3_lS5_S3_lS4_T11_S3_li
    .private_segment_fixed_size: 0
    .sgpr_count:     34
    .sgpr_spill_count: 0
    .symbol:         _ZL29rocblas_internal_gemmt_kernelIiLi16ELi32ELi8ELc78ELc84ELc85ELb0ELb0EfPKfS1_PfEviT_T9_T10_S3_lS5_S3_lS4_T11_S3_li.kd
    .uniform_work_group_size: 1
    .uses_dynamic_stack: false
    .vgpr_count:     48
    .vgpr_spill_count: 0
    .wavefront_size: 64
  - .agpr_count:     0
    .args:
      - .offset:         0
        .size:           4
        .value_kind:     by_value
      - .offset:         4
        .size:           4
        .value_kind:     by_value
      - .address_space:  global
        .offset:         8
        .size:           8
        .value_kind:     global_buffer
      - .address_space:  global
        .offset:         16
        .size:           8
        .value_kind:     global_buffer
      - .offset:         24
        .size:           4
        .value_kind:     by_value
      - .offset:         32
        .size:           8
        .value_kind:     by_value
      - .address_space:  global
        .offset:         40
        .size:           8
        .value_kind:     global_buffer
      - .offset:         48
        .size:           4
        .value_kind:     by_value
      - .offset:         56
        .size:           8
        .value_kind:     by_value
      - .address_space:  global
        .offset:         64
        .size:           8
        .value_kind:     global_buffer
      - .address_space:  global
        .offset:         72
        .size:           8
        .value_kind:     global_buffer
      - .offset:         80
        .size:           4
        .value_kind:     by_value
      - .offset:         88
        .size:           8
        .value_kind:     by_value
      - .offset:         96
        .size:           4
        .value_kind:     by_value
    .group_segment_fixed_size: 2048
    .kernarg_segment_align: 8
    .kernarg_segment_size: 100
    .language:       OpenCL C
    .language_version:
      - 2
      - 0
    .max_flat_workgroup_size: 256
    .name:           _ZL29rocblas_internal_gemmt_kernelIiLi16ELi32ELi8ELc78ELc67ELc85ELb0ELb0EfPKfS1_PfEviT_T9_T10_S3_lS5_S3_lS4_T11_S3_li
    .private_segment_fixed_size: 0
    .sgpr_count:     34
    .sgpr_spill_count: 0
    .symbol:         _ZL29rocblas_internal_gemmt_kernelIiLi16ELi32ELi8ELc78ELc67ELc85ELb0ELb0EfPKfS1_PfEviT_T9_T10_S3_lS5_S3_lS4_T11_S3_li.kd
    .uniform_work_group_size: 1
    .uses_dynamic_stack: false
    .vgpr_count:     48
    .vgpr_spill_count: 0
    .wavefront_size: 64
  - .agpr_count:     0
    .args:
      - .offset:         0
        .size:           4
        .value_kind:     by_value
      - .offset:         4
        .size:           4
        .value_kind:     by_value
      - .address_space:  global
        .offset:         8
        .size:           8
        .value_kind:     global_buffer
      - .address_space:  global
        .offset:         16
        .size:           8
        .value_kind:     global_buffer
      - .offset:         24
        .size:           4
        .value_kind:     by_value
      - .offset:         32
        .size:           8
        .value_kind:     by_value
      - .address_space:  global
        .offset:         40
        .size:           8
        .value_kind:     global_buffer
      - .offset:         48
        .size:           4
        .value_kind:     by_value
      - .offset:         56
        .size:           8
        .value_kind:     by_value
      - .address_space:  global
        .offset:         64
        .size:           8
        .value_kind:     global_buffer
      - .address_space:  global
        .offset:         72
        .size:           8
        .value_kind:     global_buffer
      - .offset:         80
        .size:           4
        .value_kind:     by_value
      - .offset:         88
        .size:           8
        .value_kind:     by_value
      - .offset:         96
        .size:           4
        .value_kind:     by_value
    .group_segment_fixed_size: 2048
    .kernarg_segment_align: 8
    .kernarg_segment_size: 100
    .language:       OpenCL C
    .language_version:
      - 2
      - 0
    .max_flat_workgroup_size: 256
    .name:           _ZL29rocblas_internal_gemmt_kernelIiLi16ELi32ELi8ELc84ELc78ELc85ELb0ELb0EfPKfS1_PfEviT_T9_T10_S3_lS5_S3_lS4_T11_S3_li
    .private_segment_fixed_size: 0
    .sgpr_count:     31
    .sgpr_spill_count: 0
    .symbol:         _ZL29rocblas_internal_gemmt_kernelIiLi16ELi32ELi8ELc84ELc78ELc85ELb0ELb0EfPKfS1_PfEviT_T9_T10_S3_lS5_S3_lS4_T11_S3_li.kd
    .uniform_work_group_size: 1
    .uses_dynamic_stack: false
    .vgpr_count:     48
    .vgpr_spill_count: 0
    .wavefront_size: 64
  - .agpr_count:     0
    .args:
      - .offset:         0
        .size:           4
        .value_kind:     by_value
      - .offset:         4
        .size:           4
        .value_kind:     by_value
      - .address_space:  global
        .offset:         8
        .size:           8
        .value_kind:     global_buffer
      - .address_space:  global
        .offset:         16
        .size:           8
        .value_kind:     global_buffer
      - .offset:         24
        .size:           4
        .value_kind:     by_value
      - .offset:         32
        .size:           8
        .value_kind:     by_value
      - .address_space:  global
        .offset:         40
        .size:           8
        .value_kind:     global_buffer
      - .offset:         48
        .size:           4
        .value_kind:     by_value
      - .offset:         56
        .size:           8
        .value_kind:     by_value
      - .address_space:  global
        .offset:         64
        .size:           8
        .value_kind:     global_buffer
      - .address_space:  global
        .offset:         72
        .size:           8
        .value_kind:     global_buffer
      - .offset:         80
        .size:           4
        .value_kind:     by_value
      - .offset:         88
        .size:           8
        .value_kind:     by_value
      - .offset:         96
        .size:           4
        .value_kind:     by_value
    .group_segment_fixed_size: 2048
    .kernarg_segment_align: 8
    .kernarg_segment_size: 100
    .language:       OpenCL C
    .language_version:
      - 2
      - 0
    .max_flat_workgroup_size: 256
    .name:           _ZL29rocblas_internal_gemmt_kernelIiLi16ELi32ELi8ELc84ELc84ELc85ELb0ELb0EfPKfS1_PfEviT_T9_T10_S3_lS5_S3_lS4_T11_S3_li
    .private_segment_fixed_size: 0
    .sgpr_count:     32
    .sgpr_spill_count: 0
    .symbol:         _ZL29rocblas_internal_gemmt_kernelIiLi16ELi32ELi8ELc84ELc84ELc85ELb0ELb0EfPKfS1_PfEviT_T9_T10_S3_lS5_S3_lS4_T11_S3_li.kd
    .uniform_work_group_size: 1
    .uses_dynamic_stack: false
    .vgpr_count:     48
    .vgpr_spill_count: 0
    .wavefront_size: 64
  - .agpr_count:     0
    .args:
      - .offset:         0
        .size:           4
        .value_kind:     by_value
      - .offset:         4
        .size:           4
        .value_kind:     by_value
      - .address_space:  global
        .offset:         8
        .size:           8
        .value_kind:     global_buffer
      - .address_space:  global
        .offset:         16
        .size:           8
        .value_kind:     global_buffer
      - .offset:         24
        .size:           4
        .value_kind:     by_value
      - .offset:         32
        .size:           8
        .value_kind:     by_value
      - .address_space:  global
        .offset:         40
        .size:           8
        .value_kind:     global_buffer
      - .offset:         48
        .size:           4
        .value_kind:     by_value
      - .offset:         56
        .size:           8
        .value_kind:     by_value
      - .address_space:  global
        .offset:         64
        .size:           8
        .value_kind:     global_buffer
      - .address_space:  global
        .offset:         72
        .size:           8
        .value_kind:     global_buffer
      - .offset:         80
        .size:           4
        .value_kind:     by_value
      - .offset:         88
        .size:           8
        .value_kind:     by_value
      - .offset:         96
        .size:           4
        .value_kind:     by_value
    .group_segment_fixed_size: 2048
    .kernarg_segment_align: 8
    .kernarg_segment_size: 100
    .language:       OpenCL C
    .language_version:
      - 2
      - 0
    .max_flat_workgroup_size: 256
    .name:           _ZL29rocblas_internal_gemmt_kernelIiLi16ELi32ELi8ELc84ELc67ELc85ELb0ELb0EfPKfS1_PfEviT_T9_T10_S3_lS5_S3_lS4_T11_S3_li
    .private_segment_fixed_size: 0
    .sgpr_count:     32
    .sgpr_spill_count: 0
    .symbol:         _ZL29rocblas_internal_gemmt_kernelIiLi16ELi32ELi8ELc84ELc67ELc85ELb0ELb0EfPKfS1_PfEviT_T9_T10_S3_lS5_S3_lS4_T11_S3_li.kd
    .uniform_work_group_size: 1
    .uses_dynamic_stack: false
    .vgpr_count:     48
    .vgpr_spill_count: 0
    .wavefront_size: 64
  - .agpr_count:     0
    .args:
      - .offset:         0
        .size:           4
        .value_kind:     by_value
      - .offset:         4
        .size:           4
        .value_kind:     by_value
      - .address_space:  global
        .offset:         8
        .size:           8
        .value_kind:     global_buffer
      - .address_space:  global
        .offset:         16
        .size:           8
        .value_kind:     global_buffer
      - .offset:         24
        .size:           4
        .value_kind:     by_value
      - .offset:         32
        .size:           8
        .value_kind:     by_value
      - .address_space:  global
        .offset:         40
        .size:           8
        .value_kind:     global_buffer
      - .offset:         48
        .size:           4
        .value_kind:     by_value
      - .offset:         56
        .size:           8
        .value_kind:     by_value
      - .address_space:  global
        .offset:         64
        .size:           8
        .value_kind:     global_buffer
      - .address_space:  global
        .offset:         72
        .size:           8
        .value_kind:     global_buffer
      - .offset:         80
        .size:           4
        .value_kind:     by_value
      - .offset:         88
        .size:           8
        .value_kind:     by_value
      - .offset:         96
        .size:           4
        .value_kind:     by_value
    .group_segment_fixed_size: 2048
    .kernarg_segment_align: 8
    .kernarg_segment_size: 100
    .language:       OpenCL C
    .language_version:
      - 2
      - 0
    .max_flat_workgroup_size: 256
    .name:           _ZL29rocblas_internal_gemmt_kernelIiLi16ELi32ELi8ELc67ELc78ELc85ELb0ELb0EfPKfS1_PfEviT_T9_T10_S3_lS5_S3_lS4_T11_S3_li
    .private_segment_fixed_size: 0
    .sgpr_count:     31
    .sgpr_spill_count: 0
    .symbol:         _ZL29rocblas_internal_gemmt_kernelIiLi16ELi32ELi8ELc67ELc78ELc85ELb0ELb0EfPKfS1_PfEviT_T9_T10_S3_lS5_S3_lS4_T11_S3_li.kd
    .uniform_work_group_size: 1
    .uses_dynamic_stack: false
    .vgpr_count:     48
    .vgpr_spill_count: 0
    .wavefront_size: 64
  - .agpr_count:     0
    .args:
      - .offset:         0
        .size:           4
        .value_kind:     by_value
      - .offset:         4
        .size:           4
        .value_kind:     by_value
      - .address_space:  global
        .offset:         8
        .size:           8
        .value_kind:     global_buffer
      - .address_space:  global
        .offset:         16
        .size:           8
        .value_kind:     global_buffer
      - .offset:         24
        .size:           4
        .value_kind:     by_value
      - .offset:         32
        .size:           8
        .value_kind:     by_value
      - .address_space:  global
        .offset:         40
        .size:           8
        .value_kind:     global_buffer
      - .offset:         48
        .size:           4
        .value_kind:     by_value
      - .offset:         56
        .size:           8
        .value_kind:     by_value
      - .address_space:  global
        .offset:         64
        .size:           8
        .value_kind:     global_buffer
      - .address_space:  global
        .offset:         72
        .size:           8
        .value_kind:     global_buffer
      - .offset:         80
        .size:           4
        .value_kind:     by_value
      - .offset:         88
        .size:           8
        .value_kind:     by_value
      - .offset:         96
        .size:           4
        .value_kind:     by_value
    .group_segment_fixed_size: 2048
    .kernarg_segment_align: 8
    .kernarg_segment_size: 100
    .language:       OpenCL C
    .language_version:
      - 2
      - 0
    .max_flat_workgroup_size: 256
    .name:           _ZL29rocblas_internal_gemmt_kernelIiLi16ELi32ELi8ELc67ELc84ELc85ELb0ELb0EfPKfS1_PfEviT_T9_T10_S3_lS5_S3_lS4_T11_S3_li
    .private_segment_fixed_size: 0
    .sgpr_count:     32
    .sgpr_spill_count: 0
    .symbol:         _ZL29rocblas_internal_gemmt_kernelIiLi16ELi32ELi8ELc67ELc84ELc85ELb0ELb0EfPKfS1_PfEviT_T9_T10_S3_lS5_S3_lS4_T11_S3_li.kd
    .uniform_work_group_size: 1
    .uses_dynamic_stack: false
    .vgpr_count:     48
    .vgpr_spill_count: 0
    .wavefront_size: 64
  - .agpr_count:     0
    .args:
      - .offset:         0
        .size:           4
        .value_kind:     by_value
      - .offset:         4
        .size:           4
        .value_kind:     by_value
      - .address_space:  global
        .offset:         8
        .size:           8
        .value_kind:     global_buffer
      - .address_space:  global
        .offset:         16
        .size:           8
        .value_kind:     global_buffer
      - .offset:         24
        .size:           4
        .value_kind:     by_value
      - .offset:         32
        .size:           8
        .value_kind:     by_value
      - .address_space:  global
        .offset:         40
        .size:           8
        .value_kind:     global_buffer
      - .offset:         48
        .size:           4
        .value_kind:     by_value
      - .offset:         56
        .size:           8
        .value_kind:     by_value
      - .address_space:  global
        .offset:         64
        .size:           8
        .value_kind:     global_buffer
      - .address_space:  global
        .offset:         72
        .size:           8
        .value_kind:     global_buffer
      - .offset:         80
        .size:           4
        .value_kind:     by_value
      - .offset:         88
        .size:           8
        .value_kind:     by_value
      - .offset:         96
        .size:           4
        .value_kind:     by_value
    .group_segment_fixed_size: 2048
    .kernarg_segment_align: 8
    .kernarg_segment_size: 100
    .language:       OpenCL C
    .language_version:
      - 2
      - 0
    .max_flat_workgroup_size: 256
    .name:           _ZL29rocblas_internal_gemmt_kernelIiLi16ELi32ELi8ELc67ELc67ELc85ELb0ELb0EfPKfS1_PfEviT_T9_T10_S3_lS5_S3_lS4_T11_S3_li
    .private_segment_fixed_size: 0
    .sgpr_count:     32
    .sgpr_spill_count: 0
    .symbol:         _ZL29rocblas_internal_gemmt_kernelIiLi16ELi32ELi8ELc67ELc67ELc85ELb0ELb0EfPKfS1_PfEviT_T9_T10_S3_lS5_S3_lS4_T11_S3_li.kd
    .uniform_work_group_size: 1
    .uses_dynamic_stack: false
    .vgpr_count:     48
    .vgpr_spill_count: 0
    .wavefront_size: 64
  - .agpr_count:     0
    .args:
      - .offset:         0
        .size:           4
        .value_kind:     by_value
      - .offset:         4
        .size:           4
        .value_kind:     by_value
      - .address_space:  global
        .offset:         8
        .size:           8
        .value_kind:     global_buffer
      - .address_space:  global
        .offset:         16
        .size:           8
        .value_kind:     global_buffer
      - .offset:         24
        .size:           4
        .value_kind:     by_value
      - .offset:         32
        .size:           8
        .value_kind:     by_value
      - .address_space:  global
        .offset:         40
        .size:           8
        .value_kind:     global_buffer
      - .offset:         48
        .size:           4
        .value_kind:     by_value
      - .offset:         56
        .size:           8
        .value_kind:     by_value
      - .address_space:  global
        .offset:         64
        .size:           8
        .value_kind:     global_buffer
      - .address_space:  global
        .offset:         72
        .size:           8
        .value_kind:     global_buffer
      - .offset:         80
        .size:           4
        .value_kind:     by_value
      - .offset:         88
        .size:           8
        .value_kind:     by_value
      - .offset:         96
        .size:           4
        .value_kind:     by_value
    .group_segment_fixed_size: 2048
    .kernarg_segment_align: 8
    .kernarg_segment_size: 100
    .language:       OpenCL C
    .language_version:
      - 2
      - 0
    .max_flat_workgroup_size: 256
    .name:           _ZL29rocblas_internal_gemmt_kernelIiLi16ELi32ELi8ELc78ELc78ELc76ELb0ELb0EfPKfS1_PfEviT_T9_T10_S3_lS5_S3_lS4_T11_S3_li
    .private_segment_fixed_size: 0
    .sgpr_count:     33
    .sgpr_spill_count: 0
    .symbol:         _ZL29rocblas_internal_gemmt_kernelIiLi16ELi32ELi8ELc78ELc78ELc76ELb0ELb0EfPKfS1_PfEviT_T9_T10_S3_lS5_S3_lS4_T11_S3_li.kd
    .uniform_work_group_size: 1
    .uses_dynamic_stack: false
    .vgpr_count:     48
    .vgpr_spill_count: 0
    .wavefront_size: 64
  - .agpr_count:     0
    .args:
      - .offset:         0
        .size:           4
        .value_kind:     by_value
      - .offset:         4
        .size:           4
        .value_kind:     by_value
      - .address_space:  global
        .offset:         8
        .size:           8
        .value_kind:     global_buffer
      - .address_space:  global
        .offset:         16
        .size:           8
        .value_kind:     global_buffer
      - .offset:         24
        .size:           4
        .value_kind:     by_value
      - .offset:         32
        .size:           8
        .value_kind:     by_value
      - .address_space:  global
        .offset:         40
        .size:           8
        .value_kind:     global_buffer
      - .offset:         48
        .size:           4
        .value_kind:     by_value
      - .offset:         56
        .size:           8
        .value_kind:     by_value
      - .address_space:  global
        .offset:         64
        .size:           8
        .value_kind:     global_buffer
      - .address_space:  global
        .offset:         72
        .size:           8
        .value_kind:     global_buffer
      - .offset:         80
        .size:           4
        .value_kind:     by_value
      - .offset:         88
        .size:           8
        .value_kind:     by_value
      - .offset:         96
        .size:           4
        .value_kind:     by_value
    .group_segment_fixed_size: 2048
    .kernarg_segment_align: 8
    .kernarg_segment_size: 100
    .language:       OpenCL C
    .language_version:
      - 2
      - 0
    .max_flat_workgroup_size: 256
    .name:           _ZL29rocblas_internal_gemmt_kernelIiLi16ELi32ELi8ELc78ELc84ELc76ELb0ELb0EfPKfS1_PfEviT_T9_T10_S3_lS5_S3_lS4_T11_S3_li
    .private_segment_fixed_size: 0
    .sgpr_count:     34
    .sgpr_spill_count: 0
    .symbol:         _ZL29rocblas_internal_gemmt_kernelIiLi16ELi32ELi8ELc78ELc84ELc76ELb0ELb0EfPKfS1_PfEviT_T9_T10_S3_lS5_S3_lS4_T11_S3_li.kd
    .uniform_work_group_size: 1
    .uses_dynamic_stack: false
    .vgpr_count:     48
    .vgpr_spill_count: 0
    .wavefront_size: 64
  - .agpr_count:     0
    .args:
      - .offset:         0
        .size:           4
        .value_kind:     by_value
      - .offset:         4
        .size:           4
        .value_kind:     by_value
      - .address_space:  global
        .offset:         8
        .size:           8
        .value_kind:     global_buffer
      - .address_space:  global
        .offset:         16
        .size:           8
        .value_kind:     global_buffer
      - .offset:         24
        .size:           4
        .value_kind:     by_value
      - .offset:         32
        .size:           8
        .value_kind:     by_value
      - .address_space:  global
        .offset:         40
        .size:           8
        .value_kind:     global_buffer
      - .offset:         48
        .size:           4
        .value_kind:     by_value
      - .offset:         56
        .size:           8
        .value_kind:     by_value
      - .address_space:  global
        .offset:         64
        .size:           8
        .value_kind:     global_buffer
      - .address_space:  global
        .offset:         72
        .size:           8
        .value_kind:     global_buffer
      - .offset:         80
        .size:           4
        .value_kind:     by_value
      - .offset:         88
        .size:           8
        .value_kind:     by_value
      - .offset:         96
        .size:           4
        .value_kind:     by_value
    .group_segment_fixed_size: 2048
    .kernarg_segment_align: 8
    .kernarg_segment_size: 100
    .language:       OpenCL C
    .language_version:
      - 2
      - 0
    .max_flat_workgroup_size: 256
    .name:           _ZL29rocblas_internal_gemmt_kernelIiLi16ELi32ELi8ELc78ELc67ELc76ELb0ELb0EfPKfS1_PfEviT_T9_T10_S3_lS5_S3_lS4_T11_S3_li
    .private_segment_fixed_size: 0
    .sgpr_count:     34
    .sgpr_spill_count: 0
    .symbol:         _ZL29rocblas_internal_gemmt_kernelIiLi16ELi32ELi8ELc78ELc67ELc76ELb0ELb0EfPKfS1_PfEviT_T9_T10_S3_lS5_S3_lS4_T11_S3_li.kd
    .uniform_work_group_size: 1
    .uses_dynamic_stack: false
    .vgpr_count:     48
    .vgpr_spill_count: 0
    .wavefront_size: 64
  - .agpr_count:     0
    .args:
      - .offset:         0
        .size:           4
        .value_kind:     by_value
      - .offset:         4
        .size:           4
        .value_kind:     by_value
      - .address_space:  global
        .offset:         8
        .size:           8
        .value_kind:     global_buffer
      - .address_space:  global
        .offset:         16
        .size:           8
        .value_kind:     global_buffer
      - .offset:         24
        .size:           4
        .value_kind:     by_value
      - .offset:         32
        .size:           8
        .value_kind:     by_value
      - .address_space:  global
        .offset:         40
        .size:           8
        .value_kind:     global_buffer
      - .offset:         48
        .size:           4
        .value_kind:     by_value
      - .offset:         56
        .size:           8
        .value_kind:     by_value
      - .address_space:  global
        .offset:         64
        .size:           8
        .value_kind:     global_buffer
      - .address_space:  global
        .offset:         72
        .size:           8
        .value_kind:     global_buffer
      - .offset:         80
        .size:           4
        .value_kind:     by_value
      - .offset:         88
        .size:           8
        .value_kind:     by_value
      - .offset:         96
        .size:           4
        .value_kind:     by_value
    .group_segment_fixed_size: 2048
    .kernarg_segment_align: 8
    .kernarg_segment_size: 100
    .language:       OpenCL C
    .language_version:
      - 2
      - 0
    .max_flat_workgroup_size: 256
    .name:           _ZL29rocblas_internal_gemmt_kernelIiLi16ELi32ELi8ELc84ELc78ELc76ELb0ELb0EfPKfS1_PfEviT_T9_T10_S3_lS5_S3_lS4_T11_S3_li
    .private_segment_fixed_size: 0
    .sgpr_count:     31
    .sgpr_spill_count: 0
    .symbol:         _ZL29rocblas_internal_gemmt_kernelIiLi16ELi32ELi8ELc84ELc78ELc76ELb0ELb0EfPKfS1_PfEviT_T9_T10_S3_lS5_S3_lS4_T11_S3_li.kd
    .uniform_work_group_size: 1
    .uses_dynamic_stack: false
    .vgpr_count:     48
    .vgpr_spill_count: 0
    .wavefront_size: 64
  - .agpr_count:     0
    .args:
      - .offset:         0
        .size:           4
        .value_kind:     by_value
      - .offset:         4
        .size:           4
        .value_kind:     by_value
      - .address_space:  global
        .offset:         8
        .size:           8
        .value_kind:     global_buffer
      - .address_space:  global
        .offset:         16
        .size:           8
        .value_kind:     global_buffer
      - .offset:         24
        .size:           4
        .value_kind:     by_value
      - .offset:         32
        .size:           8
        .value_kind:     by_value
      - .address_space:  global
        .offset:         40
        .size:           8
        .value_kind:     global_buffer
      - .offset:         48
        .size:           4
        .value_kind:     by_value
      - .offset:         56
        .size:           8
        .value_kind:     by_value
      - .address_space:  global
        .offset:         64
        .size:           8
        .value_kind:     global_buffer
      - .address_space:  global
        .offset:         72
        .size:           8
        .value_kind:     global_buffer
      - .offset:         80
        .size:           4
        .value_kind:     by_value
      - .offset:         88
        .size:           8
        .value_kind:     by_value
      - .offset:         96
        .size:           4
        .value_kind:     by_value
    .group_segment_fixed_size: 2048
    .kernarg_segment_align: 8
    .kernarg_segment_size: 100
    .language:       OpenCL C
    .language_version:
      - 2
      - 0
    .max_flat_workgroup_size: 256
    .name:           _ZL29rocblas_internal_gemmt_kernelIiLi16ELi32ELi8ELc84ELc84ELc76ELb0ELb0EfPKfS1_PfEviT_T9_T10_S3_lS5_S3_lS4_T11_S3_li
    .private_segment_fixed_size: 0
    .sgpr_count:     32
    .sgpr_spill_count: 0
    .symbol:         _ZL29rocblas_internal_gemmt_kernelIiLi16ELi32ELi8ELc84ELc84ELc76ELb0ELb0EfPKfS1_PfEviT_T9_T10_S3_lS5_S3_lS4_T11_S3_li.kd
    .uniform_work_group_size: 1
    .uses_dynamic_stack: false
    .vgpr_count:     48
    .vgpr_spill_count: 0
    .wavefront_size: 64
  - .agpr_count:     0
    .args:
      - .offset:         0
        .size:           4
        .value_kind:     by_value
      - .offset:         4
        .size:           4
        .value_kind:     by_value
      - .address_space:  global
        .offset:         8
        .size:           8
        .value_kind:     global_buffer
      - .address_space:  global
        .offset:         16
        .size:           8
        .value_kind:     global_buffer
      - .offset:         24
        .size:           4
        .value_kind:     by_value
      - .offset:         32
        .size:           8
        .value_kind:     by_value
      - .address_space:  global
        .offset:         40
        .size:           8
        .value_kind:     global_buffer
      - .offset:         48
        .size:           4
        .value_kind:     by_value
      - .offset:         56
        .size:           8
        .value_kind:     by_value
      - .address_space:  global
        .offset:         64
        .size:           8
        .value_kind:     global_buffer
      - .address_space:  global
        .offset:         72
        .size:           8
        .value_kind:     global_buffer
      - .offset:         80
        .size:           4
        .value_kind:     by_value
      - .offset:         88
        .size:           8
        .value_kind:     by_value
      - .offset:         96
        .size:           4
        .value_kind:     by_value
    .group_segment_fixed_size: 2048
    .kernarg_segment_align: 8
    .kernarg_segment_size: 100
    .language:       OpenCL C
    .language_version:
      - 2
      - 0
    .max_flat_workgroup_size: 256
    .name:           _ZL29rocblas_internal_gemmt_kernelIiLi16ELi32ELi8ELc84ELc67ELc76ELb0ELb0EfPKfS1_PfEviT_T9_T10_S3_lS5_S3_lS4_T11_S3_li
    .private_segment_fixed_size: 0
    .sgpr_count:     32
    .sgpr_spill_count: 0
    .symbol:         _ZL29rocblas_internal_gemmt_kernelIiLi16ELi32ELi8ELc84ELc67ELc76ELb0ELb0EfPKfS1_PfEviT_T9_T10_S3_lS5_S3_lS4_T11_S3_li.kd
    .uniform_work_group_size: 1
    .uses_dynamic_stack: false
    .vgpr_count:     48
    .vgpr_spill_count: 0
    .wavefront_size: 64
  - .agpr_count:     0
    .args:
      - .offset:         0
        .size:           4
        .value_kind:     by_value
      - .offset:         4
        .size:           4
        .value_kind:     by_value
      - .address_space:  global
        .offset:         8
        .size:           8
        .value_kind:     global_buffer
      - .address_space:  global
        .offset:         16
        .size:           8
        .value_kind:     global_buffer
      - .offset:         24
        .size:           4
        .value_kind:     by_value
      - .offset:         32
        .size:           8
        .value_kind:     by_value
      - .address_space:  global
        .offset:         40
        .size:           8
        .value_kind:     global_buffer
      - .offset:         48
        .size:           4
        .value_kind:     by_value
      - .offset:         56
        .size:           8
        .value_kind:     by_value
      - .address_space:  global
        .offset:         64
        .size:           8
        .value_kind:     global_buffer
      - .address_space:  global
        .offset:         72
        .size:           8
        .value_kind:     global_buffer
      - .offset:         80
        .size:           4
        .value_kind:     by_value
      - .offset:         88
        .size:           8
        .value_kind:     by_value
      - .offset:         96
        .size:           4
        .value_kind:     by_value
    .group_segment_fixed_size: 2048
    .kernarg_segment_align: 8
    .kernarg_segment_size: 100
    .language:       OpenCL C
    .language_version:
      - 2
      - 0
    .max_flat_workgroup_size: 256
    .name:           _ZL29rocblas_internal_gemmt_kernelIiLi16ELi32ELi8ELc67ELc78ELc76ELb0ELb0EfPKfS1_PfEviT_T9_T10_S3_lS5_S3_lS4_T11_S3_li
    .private_segment_fixed_size: 0
    .sgpr_count:     31
    .sgpr_spill_count: 0
    .symbol:         _ZL29rocblas_internal_gemmt_kernelIiLi16ELi32ELi8ELc67ELc78ELc76ELb0ELb0EfPKfS1_PfEviT_T9_T10_S3_lS5_S3_lS4_T11_S3_li.kd
    .uniform_work_group_size: 1
    .uses_dynamic_stack: false
    .vgpr_count:     48
    .vgpr_spill_count: 0
    .wavefront_size: 64
  - .agpr_count:     0
    .args:
      - .offset:         0
        .size:           4
        .value_kind:     by_value
      - .offset:         4
        .size:           4
        .value_kind:     by_value
      - .address_space:  global
        .offset:         8
        .size:           8
        .value_kind:     global_buffer
      - .address_space:  global
        .offset:         16
        .size:           8
        .value_kind:     global_buffer
      - .offset:         24
        .size:           4
        .value_kind:     by_value
      - .offset:         32
        .size:           8
        .value_kind:     by_value
      - .address_space:  global
        .offset:         40
        .size:           8
        .value_kind:     global_buffer
      - .offset:         48
        .size:           4
        .value_kind:     by_value
      - .offset:         56
        .size:           8
        .value_kind:     by_value
      - .address_space:  global
        .offset:         64
        .size:           8
        .value_kind:     global_buffer
      - .address_space:  global
        .offset:         72
        .size:           8
        .value_kind:     global_buffer
      - .offset:         80
        .size:           4
        .value_kind:     by_value
      - .offset:         88
        .size:           8
        .value_kind:     by_value
      - .offset:         96
        .size:           4
        .value_kind:     by_value
    .group_segment_fixed_size: 2048
    .kernarg_segment_align: 8
    .kernarg_segment_size: 100
    .language:       OpenCL C
    .language_version:
      - 2
      - 0
    .max_flat_workgroup_size: 256
    .name:           _ZL29rocblas_internal_gemmt_kernelIiLi16ELi32ELi8ELc67ELc84ELc76ELb0ELb0EfPKfS1_PfEviT_T9_T10_S3_lS5_S3_lS4_T11_S3_li
    .private_segment_fixed_size: 0
    .sgpr_count:     32
    .sgpr_spill_count: 0
    .symbol:         _ZL29rocblas_internal_gemmt_kernelIiLi16ELi32ELi8ELc67ELc84ELc76ELb0ELb0EfPKfS1_PfEviT_T9_T10_S3_lS5_S3_lS4_T11_S3_li.kd
    .uniform_work_group_size: 1
    .uses_dynamic_stack: false
    .vgpr_count:     48
    .vgpr_spill_count: 0
    .wavefront_size: 64
  - .agpr_count:     0
    .args:
      - .offset:         0
        .size:           4
        .value_kind:     by_value
      - .offset:         4
        .size:           4
        .value_kind:     by_value
      - .address_space:  global
        .offset:         8
        .size:           8
        .value_kind:     global_buffer
      - .address_space:  global
        .offset:         16
        .size:           8
        .value_kind:     global_buffer
      - .offset:         24
        .size:           4
        .value_kind:     by_value
      - .offset:         32
        .size:           8
        .value_kind:     by_value
      - .address_space:  global
        .offset:         40
        .size:           8
        .value_kind:     global_buffer
      - .offset:         48
        .size:           4
        .value_kind:     by_value
      - .offset:         56
        .size:           8
        .value_kind:     by_value
      - .address_space:  global
        .offset:         64
        .size:           8
        .value_kind:     global_buffer
      - .address_space:  global
        .offset:         72
        .size:           8
        .value_kind:     global_buffer
      - .offset:         80
        .size:           4
        .value_kind:     by_value
      - .offset:         88
        .size:           8
        .value_kind:     by_value
      - .offset:         96
        .size:           4
        .value_kind:     by_value
    .group_segment_fixed_size: 2048
    .kernarg_segment_align: 8
    .kernarg_segment_size: 100
    .language:       OpenCL C
    .language_version:
      - 2
      - 0
    .max_flat_workgroup_size: 256
    .name:           _ZL29rocblas_internal_gemmt_kernelIiLi16ELi32ELi8ELc67ELc67ELc76ELb0ELb0EfPKfS1_PfEviT_T9_T10_S3_lS5_S3_lS4_T11_S3_li
    .private_segment_fixed_size: 0
    .sgpr_count:     32
    .sgpr_spill_count: 0
    .symbol:         _ZL29rocblas_internal_gemmt_kernelIiLi16ELi32ELi8ELc67ELc67ELc76ELb0ELb0EfPKfS1_PfEviT_T9_T10_S3_lS5_S3_lS4_T11_S3_li.kd
    .uniform_work_group_size: 1
    .uses_dynamic_stack: false
    .vgpr_count:     48
    .vgpr_spill_count: 0
    .wavefront_size: 64
  - .agpr_count:     0
    .args:
      - .offset:         0
        .size:           4
        .value_kind:     by_value
      - .offset:         4
        .size:           4
        .value_kind:     by_value
      - .offset:         8
        .size:           4
        .value_kind:     by_value
      - .address_space:  global
        .offset:         16
        .size:           8
        .value_kind:     global_buffer
      - .offset:         24
        .size:           4
        .value_kind:     by_value
      - .offset:         32
        .size:           8
        .value_kind:     by_value
      - .address_space:  global
        .offset:         40
        .size:           8
        .value_kind:     global_buffer
      - .offset:         48
        .size:           4
        .value_kind:     by_value
      - .offset:         56
        .size:           8
        .value_kind:     by_value
      - .offset:         64
        .size:           4
        .value_kind:     by_value
      - .address_space:  global
        .offset:         72
        .size:           8
        .value_kind:     global_buffer
      - .offset:         80
        .size:           4
        .value_kind:     by_value
      - .offset:         88
        .size:           8
        .value_kind:     by_value
      - .offset:         96
        .size:           4
        .value_kind:     by_value
    .group_segment_fixed_size: 2048
    .kernarg_segment_align: 8
    .kernarg_segment_size: 100
    .language:       OpenCL C
    .language_version:
      - 2
      - 0
    .max_flat_workgroup_size: 256
    .name:           _ZL29rocblas_internal_gemmt_kernelIiLi16ELi32ELi8ELc78ELc78ELc85ELb0ELb0EffPKfPfEviT_T9_T10_S3_lS5_S3_lS4_T11_S3_li
    .private_segment_fixed_size: 0
    .sgpr_count:     31
    .sgpr_spill_count: 0
    .symbol:         _ZL29rocblas_internal_gemmt_kernelIiLi16ELi32ELi8ELc78ELc78ELc85ELb0ELb0EffPKfPfEviT_T9_T10_S3_lS5_S3_lS4_T11_S3_li.kd
    .uniform_work_group_size: 1
    .uses_dynamic_stack: false
    .vgpr_count:     48
    .vgpr_spill_count: 0
    .wavefront_size: 64
  - .agpr_count:     0
    .args:
      - .offset:         0
        .size:           4
        .value_kind:     by_value
      - .offset:         4
        .size:           4
        .value_kind:     by_value
      - .offset:         8
        .size:           4
        .value_kind:     by_value
      - .address_space:  global
        .offset:         16
        .size:           8
        .value_kind:     global_buffer
      - .offset:         24
        .size:           4
        .value_kind:     by_value
      - .offset:         32
        .size:           8
        .value_kind:     by_value
      - .address_space:  global
        .offset:         40
        .size:           8
        .value_kind:     global_buffer
      - .offset:         48
        .size:           4
        .value_kind:     by_value
      - .offset:         56
        .size:           8
        .value_kind:     by_value
      - .offset:         64
        .size:           4
        .value_kind:     by_value
      - .address_space:  global
        .offset:         72
        .size:           8
        .value_kind:     global_buffer
      - .offset:         80
        .size:           4
        .value_kind:     by_value
      - .offset:         88
        .size:           8
        .value_kind:     by_value
      - .offset:         96
        .size:           4
        .value_kind:     by_value
    .group_segment_fixed_size: 2048
    .kernarg_segment_align: 8
    .kernarg_segment_size: 100
    .language:       OpenCL C
    .language_version:
      - 2
      - 0
    .max_flat_workgroup_size: 256
    .name:           _ZL29rocblas_internal_gemmt_kernelIiLi16ELi32ELi8ELc78ELc84ELc85ELb0ELb0EffPKfPfEviT_T9_T10_S3_lS5_S3_lS4_T11_S3_li
    .private_segment_fixed_size: 0
    .sgpr_count:     32
    .sgpr_spill_count: 0
    .symbol:         _ZL29rocblas_internal_gemmt_kernelIiLi16ELi32ELi8ELc78ELc84ELc85ELb0ELb0EffPKfPfEviT_T9_T10_S3_lS5_S3_lS4_T11_S3_li.kd
    .uniform_work_group_size: 1
    .uses_dynamic_stack: false
    .vgpr_count:     48
    .vgpr_spill_count: 0
    .wavefront_size: 64
  - .agpr_count:     0
    .args:
      - .offset:         0
        .size:           4
        .value_kind:     by_value
      - .offset:         4
        .size:           4
        .value_kind:     by_value
      - .offset:         8
        .size:           4
        .value_kind:     by_value
      - .address_space:  global
        .offset:         16
        .size:           8
        .value_kind:     global_buffer
      - .offset:         24
        .size:           4
        .value_kind:     by_value
      - .offset:         32
        .size:           8
        .value_kind:     by_value
      - .address_space:  global
        .offset:         40
        .size:           8
        .value_kind:     global_buffer
      - .offset:         48
        .size:           4
        .value_kind:     by_value
      - .offset:         56
        .size:           8
        .value_kind:     by_value
      - .offset:         64
        .size:           4
        .value_kind:     by_value
      - .address_space:  global
        .offset:         72
        .size:           8
        .value_kind:     global_buffer
      - .offset:         80
        .size:           4
        .value_kind:     by_value
      - .offset:         88
        .size:           8
        .value_kind:     by_value
      - .offset:         96
        .size:           4
        .value_kind:     by_value
    .group_segment_fixed_size: 2048
    .kernarg_segment_align: 8
    .kernarg_segment_size: 100
    .language:       OpenCL C
    .language_version:
      - 2
      - 0
    .max_flat_workgroup_size: 256
    .name:           _ZL29rocblas_internal_gemmt_kernelIiLi16ELi32ELi8ELc78ELc67ELc85ELb0ELb0EffPKfPfEviT_T9_T10_S3_lS5_S3_lS4_T11_S3_li
    .private_segment_fixed_size: 0
    .sgpr_count:     32
    .sgpr_spill_count: 0
    .symbol:         _ZL29rocblas_internal_gemmt_kernelIiLi16ELi32ELi8ELc78ELc67ELc85ELb0ELb0EffPKfPfEviT_T9_T10_S3_lS5_S3_lS4_T11_S3_li.kd
    .uniform_work_group_size: 1
    .uses_dynamic_stack: false
    .vgpr_count:     48
    .vgpr_spill_count: 0
    .wavefront_size: 64
  - .agpr_count:     0
    .args:
      - .offset:         0
        .size:           4
        .value_kind:     by_value
      - .offset:         4
        .size:           4
        .value_kind:     by_value
      - .offset:         8
        .size:           4
        .value_kind:     by_value
      - .address_space:  global
        .offset:         16
        .size:           8
        .value_kind:     global_buffer
      - .offset:         24
        .size:           4
        .value_kind:     by_value
      - .offset:         32
        .size:           8
        .value_kind:     by_value
      - .address_space:  global
        .offset:         40
        .size:           8
        .value_kind:     global_buffer
      - .offset:         48
        .size:           4
        .value_kind:     by_value
      - .offset:         56
        .size:           8
        .value_kind:     by_value
      - .offset:         64
        .size:           4
        .value_kind:     by_value
      - .address_space:  global
        .offset:         72
        .size:           8
        .value_kind:     global_buffer
      - .offset:         80
        .size:           4
        .value_kind:     by_value
      - .offset:         88
        .size:           8
        .value_kind:     by_value
      - .offset:         96
        .size:           4
        .value_kind:     by_value
    .group_segment_fixed_size: 2048
    .kernarg_segment_align: 8
    .kernarg_segment_size: 100
    .language:       OpenCL C
    .language_version:
      - 2
      - 0
    .max_flat_workgroup_size: 256
    .name:           _ZL29rocblas_internal_gemmt_kernelIiLi16ELi32ELi8ELc84ELc78ELc85ELb0ELb0EffPKfPfEviT_T9_T10_S3_lS5_S3_lS4_T11_S3_li
    .private_segment_fixed_size: 0
    .sgpr_count:     29
    .sgpr_spill_count: 0
    .symbol:         _ZL29rocblas_internal_gemmt_kernelIiLi16ELi32ELi8ELc84ELc78ELc85ELb0ELb0EffPKfPfEviT_T9_T10_S3_lS5_S3_lS4_T11_S3_li.kd
    .uniform_work_group_size: 1
    .uses_dynamic_stack: false
    .vgpr_count:     48
    .vgpr_spill_count: 0
    .wavefront_size: 64
  - .agpr_count:     0
    .args:
      - .offset:         0
        .size:           4
        .value_kind:     by_value
      - .offset:         4
        .size:           4
        .value_kind:     by_value
      - .offset:         8
        .size:           4
        .value_kind:     by_value
      - .address_space:  global
        .offset:         16
        .size:           8
        .value_kind:     global_buffer
      - .offset:         24
        .size:           4
        .value_kind:     by_value
      - .offset:         32
        .size:           8
        .value_kind:     by_value
      - .address_space:  global
        .offset:         40
        .size:           8
        .value_kind:     global_buffer
      - .offset:         48
        .size:           4
        .value_kind:     by_value
      - .offset:         56
        .size:           8
        .value_kind:     by_value
      - .offset:         64
        .size:           4
        .value_kind:     by_value
      - .address_space:  global
        .offset:         72
        .size:           8
        .value_kind:     global_buffer
      - .offset:         80
        .size:           4
        .value_kind:     by_value
      - .offset:         88
        .size:           8
        .value_kind:     by_value
      - .offset:         96
        .size:           4
        .value_kind:     by_value
    .group_segment_fixed_size: 2048
    .kernarg_segment_align: 8
    .kernarg_segment_size: 100
    .language:       OpenCL C
    .language_version:
      - 2
      - 0
    .max_flat_workgroup_size: 256
    .name:           _ZL29rocblas_internal_gemmt_kernelIiLi16ELi32ELi8ELc84ELc84ELc85ELb0ELb0EffPKfPfEviT_T9_T10_S3_lS5_S3_lS4_T11_S3_li
    .private_segment_fixed_size: 0
    .sgpr_count:     30
    .sgpr_spill_count: 0
    .symbol:         _ZL29rocblas_internal_gemmt_kernelIiLi16ELi32ELi8ELc84ELc84ELc85ELb0ELb0EffPKfPfEviT_T9_T10_S3_lS5_S3_lS4_T11_S3_li.kd
    .uniform_work_group_size: 1
    .uses_dynamic_stack: false
    .vgpr_count:     48
    .vgpr_spill_count: 0
    .wavefront_size: 64
  - .agpr_count:     0
    .args:
      - .offset:         0
        .size:           4
        .value_kind:     by_value
      - .offset:         4
        .size:           4
        .value_kind:     by_value
      - .offset:         8
        .size:           4
        .value_kind:     by_value
      - .address_space:  global
        .offset:         16
        .size:           8
        .value_kind:     global_buffer
      - .offset:         24
        .size:           4
        .value_kind:     by_value
      - .offset:         32
        .size:           8
        .value_kind:     by_value
      - .address_space:  global
        .offset:         40
        .size:           8
        .value_kind:     global_buffer
      - .offset:         48
        .size:           4
        .value_kind:     by_value
      - .offset:         56
        .size:           8
        .value_kind:     by_value
      - .offset:         64
        .size:           4
        .value_kind:     by_value
      - .address_space:  global
        .offset:         72
        .size:           8
        .value_kind:     global_buffer
      - .offset:         80
        .size:           4
        .value_kind:     by_value
      - .offset:         88
        .size:           8
        .value_kind:     by_value
      - .offset:         96
        .size:           4
        .value_kind:     by_value
    .group_segment_fixed_size: 2048
    .kernarg_segment_align: 8
    .kernarg_segment_size: 100
    .language:       OpenCL C
    .language_version:
      - 2
      - 0
    .max_flat_workgroup_size: 256
    .name:           _ZL29rocblas_internal_gemmt_kernelIiLi16ELi32ELi8ELc84ELc67ELc85ELb0ELb0EffPKfPfEviT_T9_T10_S3_lS5_S3_lS4_T11_S3_li
    .private_segment_fixed_size: 0
    .sgpr_count:     30
    .sgpr_spill_count: 0
    .symbol:         _ZL29rocblas_internal_gemmt_kernelIiLi16ELi32ELi8ELc84ELc67ELc85ELb0ELb0EffPKfPfEviT_T9_T10_S3_lS5_S3_lS4_T11_S3_li.kd
    .uniform_work_group_size: 1
    .uses_dynamic_stack: false
    .vgpr_count:     48
    .vgpr_spill_count: 0
    .wavefront_size: 64
  - .agpr_count:     0
    .args:
      - .offset:         0
        .size:           4
        .value_kind:     by_value
      - .offset:         4
        .size:           4
        .value_kind:     by_value
      - .offset:         8
        .size:           4
        .value_kind:     by_value
      - .address_space:  global
        .offset:         16
        .size:           8
        .value_kind:     global_buffer
      - .offset:         24
        .size:           4
        .value_kind:     by_value
      - .offset:         32
        .size:           8
        .value_kind:     by_value
      - .address_space:  global
        .offset:         40
        .size:           8
        .value_kind:     global_buffer
      - .offset:         48
        .size:           4
        .value_kind:     by_value
      - .offset:         56
        .size:           8
        .value_kind:     by_value
      - .offset:         64
        .size:           4
        .value_kind:     by_value
      - .address_space:  global
        .offset:         72
        .size:           8
        .value_kind:     global_buffer
      - .offset:         80
        .size:           4
        .value_kind:     by_value
      - .offset:         88
        .size:           8
        .value_kind:     by_value
      - .offset:         96
        .size:           4
        .value_kind:     by_value
    .group_segment_fixed_size: 2048
    .kernarg_segment_align: 8
    .kernarg_segment_size: 100
    .language:       OpenCL C
    .language_version:
      - 2
      - 0
    .max_flat_workgroup_size: 256
    .name:           _ZL29rocblas_internal_gemmt_kernelIiLi16ELi32ELi8ELc67ELc78ELc85ELb0ELb0EffPKfPfEviT_T9_T10_S3_lS5_S3_lS4_T11_S3_li
    .private_segment_fixed_size: 0
    .sgpr_count:     29
    .sgpr_spill_count: 0
    .symbol:         _ZL29rocblas_internal_gemmt_kernelIiLi16ELi32ELi8ELc67ELc78ELc85ELb0ELb0EffPKfPfEviT_T9_T10_S3_lS5_S3_lS4_T11_S3_li.kd
    .uniform_work_group_size: 1
    .uses_dynamic_stack: false
    .vgpr_count:     48
    .vgpr_spill_count: 0
    .wavefront_size: 64
  - .agpr_count:     0
    .args:
      - .offset:         0
        .size:           4
        .value_kind:     by_value
      - .offset:         4
        .size:           4
        .value_kind:     by_value
      - .offset:         8
        .size:           4
        .value_kind:     by_value
      - .address_space:  global
        .offset:         16
        .size:           8
        .value_kind:     global_buffer
      - .offset:         24
        .size:           4
        .value_kind:     by_value
      - .offset:         32
        .size:           8
        .value_kind:     by_value
      - .address_space:  global
        .offset:         40
        .size:           8
        .value_kind:     global_buffer
      - .offset:         48
        .size:           4
        .value_kind:     by_value
      - .offset:         56
        .size:           8
        .value_kind:     by_value
      - .offset:         64
        .size:           4
        .value_kind:     by_value
      - .address_space:  global
        .offset:         72
        .size:           8
        .value_kind:     global_buffer
      - .offset:         80
        .size:           4
        .value_kind:     by_value
      - .offset:         88
        .size:           8
        .value_kind:     by_value
      - .offset:         96
        .size:           4
        .value_kind:     by_value
    .group_segment_fixed_size: 2048
    .kernarg_segment_align: 8
    .kernarg_segment_size: 100
    .language:       OpenCL C
    .language_version:
      - 2
      - 0
    .max_flat_workgroup_size: 256
    .name:           _ZL29rocblas_internal_gemmt_kernelIiLi16ELi32ELi8ELc67ELc84ELc85ELb0ELb0EffPKfPfEviT_T9_T10_S3_lS5_S3_lS4_T11_S3_li
    .private_segment_fixed_size: 0
    .sgpr_count:     30
    .sgpr_spill_count: 0
    .symbol:         _ZL29rocblas_internal_gemmt_kernelIiLi16ELi32ELi8ELc67ELc84ELc85ELb0ELb0EffPKfPfEviT_T9_T10_S3_lS5_S3_lS4_T11_S3_li.kd
    .uniform_work_group_size: 1
    .uses_dynamic_stack: false
    .vgpr_count:     48
    .vgpr_spill_count: 0
    .wavefront_size: 64
  - .agpr_count:     0
    .args:
      - .offset:         0
        .size:           4
        .value_kind:     by_value
      - .offset:         4
        .size:           4
        .value_kind:     by_value
      - .offset:         8
        .size:           4
        .value_kind:     by_value
      - .address_space:  global
        .offset:         16
        .size:           8
        .value_kind:     global_buffer
      - .offset:         24
        .size:           4
        .value_kind:     by_value
      - .offset:         32
        .size:           8
        .value_kind:     by_value
      - .address_space:  global
        .offset:         40
        .size:           8
        .value_kind:     global_buffer
      - .offset:         48
        .size:           4
        .value_kind:     by_value
      - .offset:         56
        .size:           8
        .value_kind:     by_value
      - .offset:         64
        .size:           4
        .value_kind:     by_value
      - .address_space:  global
        .offset:         72
        .size:           8
        .value_kind:     global_buffer
      - .offset:         80
        .size:           4
        .value_kind:     by_value
      - .offset:         88
        .size:           8
        .value_kind:     by_value
      - .offset:         96
        .size:           4
        .value_kind:     by_value
    .group_segment_fixed_size: 2048
    .kernarg_segment_align: 8
    .kernarg_segment_size: 100
    .language:       OpenCL C
    .language_version:
      - 2
      - 0
    .max_flat_workgroup_size: 256
    .name:           _ZL29rocblas_internal_gemmt_kernelIiLi16ELi32ELi8ELc67ELc67ELc85ELb0ELb0EffPKfPfEviT_T9_T10_S3_lS5_S3_lS4_T11_S3_li
    .private_segment_fixed_size: 0
    .sgpr_count:     30
    .sgpr_spill_count: 0
    .symbol:         _ZL29rocblas_internal_gemmt_kernelIiLi16ELi32ELi8ELc67ELc67ELc85ELb0ELb0EffPKfPfEviT_T9_T10_S3_lS5_S3_lS4_T11_S3_li.kd
    .uniform_work_group_size: 1
    .uses_dynamic_stack: false
    .vgpr_count:     48
    .vgpr_spill_count: 0
    .wavefront_size: 64
  - .agpr_count:     0
    .args:
      - .offset:         0
        .size:           4
        .value_kind:     by_value
      - .offset:         4
        .size:           4
        .value_kind:     by_value
      - .offset:         8
        .size:           4
        .value_kind:     by_value
      - .address_space:  global
        .offset:         16
        .size:           8
        .value_kind:     global_buffer
      - .offset:         24
        .size:           4
        .value_kind:     by_value
      - .offset:         32
        .size:           8
        .value_kind:     by_value
      - .address_space:  global
        .offset:         40
        .size:           8
        .value_kind:     global_buffer
      - .offset:         48
        .size:           4
        .value_kind:     by_value
      - .offset:         56
        .size:           8
        .value_kind:     by_value
      - .offset:         64
        .size:           4
        .value_kind:     by_value
      - .address_space:  global
        .offset:         72
        .size:           8
        .value_kind:     global_buffer
      - .offset:         80
        .size:           4
        .value_kind:     by_value
      - .offset:         88
        .size:           8
        .value_kind:     by_value
      - .offset:         96
        .size:           4
        .value_kind:     by_value
    .group_segment_fixed_size: 2048
    .kernarg_segment_align: 8
    .kernarg_segment_size: 100
    .language:       OpenCL C
    .language_version:
      - 2
      - 0
    .max_flat_workgroup_size: 256
    .name:           _ZL29rocblas_internal_gemmt_kernelIiLi16ELi32ELi8ELc78ELc78ELc76ELb0ELb0EffPKfPfEviT_T9_T10_S3_lS5_S3_lS4_T11_S3_li
    .private_segment_fixed_size: 0
    .sgpr_count:     31
    .sgpr_spill_count: 0
    .symbol:         _ZL29rocblas_internal_gemmt_kernelIiLi16ELi32ELi8ELc78ELc78ELc76ELb0ELb0EffPKfPfEviT_T9_T10_S3_lS5_S3_lS4_T11_S3_li.kd
    .uniform_work_group_size: 1
    .uses_dynamic_stack: false
    .vgpr_count:     48
    .vgpr_spill_count: 0
    .wavefront_size: 64
  - .agpr_count:     0
    .args:
      - .offset:         0
        .size:           4
        .value_kind:     by_value
      - .offset:         4
        .size:           4
        .value_kind:     by_value
      - .offset:         8
        .size:           4
        .value_kind:     by_value
      - .address_space:  global
        .offset:         16
        .size:           8
        .value_kind:     global_buffer
      - .offset:         24
        .size:           4
        .value_kind:     by_value
      - .offset:         32
        .size:           8
        .value_kind:     by_value
      - .address_space:  global
        .offset:         40
        .size:           8
        .value_kind:     global_buffer
      - .offset:         48
        .size:           4
        .value_kind:     by_value
      - .offset:         56
        .size:           8
        .value_kind:     by_value
      - .offset:         64
        .size:           4
        .value_kind:     by_value
      - .address_space:  global
        .offset:         72
        .size:           8
        .value_kind:     global_buffer
      - .offset:         80
        .size:           4
        .value_kind:     by_value
      - .offset:         88
        .size:           8
        .value_kind:     by_value
      - .offset:         96
        .size:           4
        .value_kind:     by_value
    .group_segment_fixed_size: 2048
    .kernarg_segment_align: 8
    .kernarg_segment_size: 100
    .language:       OpenCL C
    .language_version:
      - 2
      - 0
    .max_flat_workgroup_size: 256
    .name:           _ZL29rocblas_internal_gemmt_kernelIiLi16ELi32ELi8ELc78ELc84ELc76ELb0ELb0EffPKfPfEviT_T9_T10_S3_lS5_S3_lS4_T11_S3_li
    .private_segment_fixed_size: 0
    .sgpr_count:     32
    .sgpr_spill_count: 0
    .symbol:         _ZL29rocblas_internal_gemmt_kernelIiLi16ELi32ELi8ELc78ELc84ELc76ELb0ELb0EffPKfPfEviT_T9_T10_S3_lS5_S3_lS4_T11_S3_li.kd
    .uniform_work_group_size: 1
    .uses_dynamic_stack: false
    .vgpr_count:     48
    .vgpr_spill_count: 0
    .wavefront_size: 64
  - .agpr_count:     0
    .args:
      - .offset:         0
        .size:           4
        .value_kind:     by_value
      - .offset:         4
        .size:           4
        .value_kind:     by_value
      - .offset:         8
        .size:           4
        .value_kind:     by_value
      - .address_space:  global
        .offset:         16
        .size:           8
        .value_kind:     global_buffer
      - .offset:         24
        .size:           4
        .value_kind:     by_value
      - .offset:         32
        .size:           8
        .value_kind:     by_value
      - .address_space:  global
        .offset:         40
        .size:           8
        .value_kind:     global_buffer
      - .offset:         48
        .size:           4
        .value_kind:     by_value
      - .offset:         56
        .size:           8
        .value_kind:     by_value
      - .offset:         64
        .size:           4
        .value_kind:     by_value
      - .address_space:  global
        .offset:         72
        .size:           8
        .value_kind:     global_buffer
      - .offset:         80
        .size:           4
        .value_kind:     by_value
      - .offset:         88
        .size:           8
        .value_kind:     by_value
      - .offset:         96
        .size:           4
        .value_kind:     by_value
    .group_segment_fixed_size: 2048
    .kernarg_segment_align: 8
    .kernarg_segment_size: 100
    .language:       OpenCL C
    .language_version:
      - 2
      - 0
    .max_flat_workgroup_size: 256
    .name:           _ZL29rocblas_internal_gemmt_kernelIiLi16ELi32ELi8ELc78ELc67ELc76ELb0ELb0EffPKfPfEviT_T9_T10_S3_lS5_S3_lS4_T11_S3_li
    .private_segment_fixed_size: 0
    .sgpr_count:     32
    .sgpr_spill_count: 0
    .symbol:         _ZL29rocblas_internal_gemmt_kernelIiLi16ELi32ELi8ELc78ELc67ELc76ELb0ELb0EffPKfPfEviT_T9_T10_S3_lS5_S3_lS4_T11_S3_li.kd
    .uniform_work_group_size: 1
    .uses_dynamic_stack: false
    .vgpr_count:     48
    .vgpr_spill_count: 0
    .wavefront_size: 64
  - .agpr_count:     0
    .args:
      - .offset:         0
        .size:           4
        .value_kind:     by_value
      - .offset:         4
        .size:           4
        .value_kind:     by_value
      - .offset:         8
        .size:           4
        .value_kind:     by_value
      - .address_space:  global
        .offset:         16
        .size:           8
        .value_kind:     global_buffer
      - .offset:         24
        .size:           4
        .value_kind:     by_value
      - .offset:         32
        .size:           8
        .value_kind:     by_value
      - .address_space:  global
        .offset:         40
        .size:           8
        .value_kind:     global_buffer
      - .offset:         48
        .size:           4
        .value_kind:     by_value
      - .offset:         56
        .size:           8
        .value_kind:     by_value
      - .offset:         64
        .size:           4
        .value_kind:     by_value
      - .address_space:  global
        .offset:         72
        .size:           8
        .value_kind:     global_buffer
      - .offset:         80
        .size:           4
        .value_kind:     by_value
      - .offset:         88
        .size:           8
        .value_kind:     by_value
      - .offset:         96
        .size:           4
        .value_kind:     by_value
    .group_segment_fixed_size: 2048
    .kernarg_segment_align: 8
    .kernarg_segment_size: 100
    .language:       OpenCL C
    .language_version:
      - 2
      - 0
    .max_flat_workgroup_size: 256
    .name:           _ZL29rocblas_internal_gemmt_kernelIiLi16ELi32ELi8ELc84ELc78ELc76ELb0ELb0EffPKfPfEviT_T9_T10_S3_lS5_S3_lS4_T11_S3_li
    .private_segment_fixed_size: 0
    .sgpr_count:     29
    .sgpr_spill_count: 0
    .symbol:         _ZL29rocblas_internal_gemmt_kernelIiLi16ELi32ELi8ELc84ELc78ELc76ELb0ELb0EffPKfPfEviT_T9_T10_S3_lS5_S3_lS4_T11_S3_li.kd
    .uniform_work_group_size: 1
    .uses_dynamic_stack: false
    .vgpr_count:     48
    .vgpr_spill_count: 0
    .wavefront_size: 64
  - .agpr_count:     0
    .args:
      - .offset:         0
        .size:           4
        .value_kind:     by_value
      - .offset:         4
        .size:           4
        .value_kind:     by_value
      - .offset:         8
        .size:           4
        .value_kind:     by_value
      - .address_space:  global
        .offset:         16
        .size:           8
        .value_kind:     global_buffer
      - .offset:         24
        .size:           4
        .value_kind:     by_value
      - .offset:         32
        .size:           8
        .value_kind:     by_value
      - .address_space:  global
        .offset:         40
        .size:           8
        .value_kind:     global_buffer
      - .offset:         48
        .size:           4
        .value_kind:     by_value
      - .offset:         56
        .size:           8
        .value_kind:     by_value
      - .offset:         64
        .size:           4
        .value_kind:     by_value
      - .address_space:  global
        .offset:         72
        .size:           8
        .value_kind:     global_buffer
      - .offset:         80
        .size:           4
        .value_kind:     by_value
      - .offset:         88
        .size:           8
        .value_kind:     by_value
      - .offset:         96
        .size:           4
        .value_kind:     by_value
    .group_segment_fixed_size: 2048
    .kernarg_segment_align: 8
    .kernarg_segment_size: 100
    .language:       OpenCL C
    .language_version:
      - 2
      - 0
    .max_flat_workgroup_size: 256
    .name:           _ZL29rocblas_internal_gemmt_kernelIiLi16ELi32ELi8ELc84ELc84ELc76ELb0ELb0EffPKfPfEviT_T9_T10_S3_lS5_S3_lS4_T11_S3_li
    .private_segment_fixed_size: 0
    .sgpr_count:     30
    .sgpr_spill_count: 0
    .symbol:         _ZL29rocblas_internal_gemmt_kernelIiLi16ELi32ELi8ELc84ELc84ELc76ELb0ELb0EffPKfPfEviT_T9_T10_S3_lS5_S3_lS4_T11_S3_li.kd
    .uniform_work_group_size: 1
    .uses_dynamic_stack: false
    .vgpr_count:     48
    .vgpr_spill_count: 0
    .wavefront_size: 64
  - .agpr_count:     0
    .args:
      - .offset:         0
        .size:           4
        .value_kind:     by_value
      - .offset:         4
        .size:           4
        .value_kind:     by_value
      - .offset:         8
        .size:           4
        .value_kind:     by_value
      - .address_space:  global
        .offset:         16
        .size:           8
        .value_kind:     global_buffer
      - .offset:         24
        .size:           4
        .value_kind:     by_value
      - .offset:         32
        .size:           8
        .value_kind:     by_value
      - .address_space:  global
        .offset:         40
        .size:           8
        .value_kind:     global_buffer
      - .offset:         48
        .size:           4
        .value_kind:     by_value
      - .offset:         56
        .size:           8
        .value_kind:     by_value
      - .offset:         64
        .size:           4
        .value_kind:     by_value
      - .address_space:  global
        .offset:         72
        .size:           8
        .value_kind:     global_buffer
      - .offset:         80
        .size:           4
        .value_kind:     by_value
      - .offset:         88
        .size:           8
        .value_kind:     by_value
      - .offset:         96
        .size:           4
        .value_kind:     by_value
    .group_segment_fixed_size: 2048
    .kernarg_segment_align: 8
    .kernarg_segment_size: 100
    .language:       OpenCL C
    .language_version:
      - 2
      - 0
    .max_flat_workgroup_size: 256
    .name:           _ZL29rocblas_internal_gemmt_kernelIiLi16ELi32ELi8ELc84ELc67ELc76ELb0ELb0EffPKfPfEviT_T9_T10_S3_lS5_S3_lS4_T11_S3_li
    .private_segment_fixed_size: 0
    .sgpr_count:     30
    .sgpr_spill_count: 0
    .symbol:         _ZL29rocblas_internal_gemmt_kernelIiLi16ELi32ELi8ELc84ELc67ELc76ELb0ELb0EffPKfPfEviT_T9_T10_S3_lS5_S3_lS4_T11_S3_li.kd
    .uniform_work_group_size: 1
    .uses_dynamic_stack: false
    .vgpr_count:     48
    .vgpr_spill_count: 0
    .wavefront_size: 64
  - .agpr_count:     0
    .args:
      - .offset:         0
        .size:           4
        .value_kind:     by_value
      - .offset:         4
        .size:           4
        .value_kind:     by_value
      - .offset:         8
        .size:           4
        .value_kind:     by_value
      - .address_space:  global
        .offset:         16
        .size:           8
        .value_kind:     global_buffer
      - .offset:         24
        .size:           4
        .value_kind:     by_value
      - .offset:         32
        .size:           8
        .value_kind:     by_value
      - .address_space:  global
        .offset:         40
        .size:           8
        .value_kind:     global_buffer
      - .offset:         48
        .size:           4
        .value_kind:     by_value
      - .offset:         56
        .size:           8
        .value_kind:     by_value
      - .offset:         64
        .size:           4
        .value_kind:     by_value
      - .address_space:  global
        .offset:         72
        .size:           8
        .value_kind:     global_buffer
      - .offset:         80
        .size:           4
        .value_kind:     by_value
      - .offset:         88
        .size:           8
        .value_kind:     by_value
      - .offset:         96
        .size:           4
        .value_kind:     by_value
    .group_segment_fixed_size: 2048
    .kernarg_segment_align: 8
    .kernarg_segment_size: 100
    .language:       OpenCL C
    .language_version:
      - 2
      - 0
    .max_flat_workgroup_size: 256
    .name:           _ZL29rocblas_internal_gemmt_kernelIiLi16ELi32ELi8ELc67ELc78ELc76ELb0ELb0EffPKfPfEviT_T9_T10_S3_lS5_S3_lS4_T11_S3_li
    .private_segment_fixed_size: 0
    .sgpr_count:     29
    .sgpr_spill_count: 0
    .symbol:         _ZL29rocblas_internal_gemmt_kernelIiLi16ELi32ELi8ELc67ELc78ELc76ELb0ELb0EffPKfPfEviT_T9_T10_S3_lS5_S3_lS4_T11_S3_li.kd
    .uniform_work_group_size: 1
    .uses_dynamic_stack: false
    .vgpr_count:     48
    .vgpr_spill_count: 0
    .wavefront_size: 64
  - .agpr_count:     0
    .args:
      - .offset:         0
        .size:           4
        .value_kind:     by_value
      - .offset:         4
        .size:           4
        .value_kind:     by_value
      - .offset:         8
        .size:           4
        .value_kind:     by_value
      - .address_space:  global
        .offset:         16
        .size:           8
        .value_kind:     global_buffer
      - .offset:         24
        .size:           4
        .value_kind:     by_value
      - .offset:         32
        .size:           8
        .value_kind:     by_value
      - .address_space:  global
        .offset:         40
        .size:           8
        .value_kind:     global_buffer
      - .offset:         48
        .size:           4
        .value_kind:     by_value
      - .offset:         56
        .size:           8
        .value_kind:     by_value
      - .offset:         64
        .size:           4
        .value_kind:     by_value
      - .address_space:  global
        .offset:         72
        .size:           8
        .value_kind:     global_buffer
      - .offset:         80
        .size:           4
        .value_kind:     by_value
      - .offset:         88
        .size:           8
        .value_kind:     by_value
      - .offset:         96
        .size:           4
        .value_kind:     by_value
    .group_segment_fixed_size: 2048
    .kernarg_segment_align: 8
    .kernarg_segment_size: 100
    .language:       OpenCL C
    .language_version:
      - 2
      - 0
    .max_flat_workgroup_size: 256
    .name:           _ZL29rocblas_internal_gemmt_kernelIiLi16ELi32ELi8ELc67ELc84ELc76ELb0ELb0EffPKfPfEviT_T9_T10_S3_lS5_S3_lS4_T11_S3_li
    .private_segment_fixed_size: 0
    .sgpr_count:     30
    .sgpr_spill_count: 0
    .symbol:         _ZL29rocblas_internal_gemmt_kernelIiLi16ELi32ELi8ELc67ELc84ELc76ELb0ELb0EffPKfPfEviT_T9_T10_S3_lS5_S3_lS4_T11_S3_li.kd
    .uniform_work_group_size: 1
    .uses_dynamic_stack: false
    .vgpr_count:     48
    .vgpr_spill_count: 0
    .wavefront_size: 64
  - .agpr_count:     0
    .args:
      - .offset:         0
        .size:           4
        .value_kind:     by_value
      - .offset:         4
        .size:           4
        .value_kind:     by_value
      - .offset:         8
        .size:           4
        .value_kind:     by_value
      - .address_space:  global
        .offset:         16
        .size:           8
        .value_kind:     global_buffer
      - .offset:         24
        .size:           4
        .value_kind:     by_value
      - .offset:         32
        .size:           8
        .value_kind:     by_value
      - .address_space:  global
        .offset:         40
        .size:           8
        .value_kind:     global_buffer
      - .offset:         48
        .size:           4
        .value_kind:     by_value
      - .offset:         56
        .size:           8
        .value_kind:     by_value
      - .offset:         64
        .size:           4
        .value_kind:     by_value
      - .address_space:  global
        .offset:         72
        .size:           8
        .value_kind:     global_buffer
      - .offset:         80
        .size:           4
        .value_kind:     by_value
      - .offset:         88
        .size:           8
        .value_kind:     by_value
      - .offset:         96
        .size:           4
        .value_kind:     by_value
    .group_segment_fixed_size: 2048
    .kernarg_segment_align: 8
    .kernarg_segment_size: 100
    .language:       OpenCL C
    .language_version:
      - 2
      - 0
    .max_flat_workgroup_size: 256
    .name:           _ZL29rocblas_internal_gemmt_kernelIiLi16ELi32ELi8ELc67ELc67ELc76ELb0ELb0EffPKfPfEviT_T9_T10_S3_lS5_S3_lS4_T11_S3_li
    .private_segment_fixed_size: 0
    .sgpr_count:     30
    .sgpr_spill_count: 0
    .symbol:         _ZL29rocblas_internal_gemmt_kernelIiLi16ELi32ELi8ELc67ELc67ELc76ELb0ELb0EffPKfPfEviT_T9_T10_S3_lS5_S3_lS4_T11_S3_li.kd
    .uniform_work_group_size: 1
    .uses_dynamic_stack: false
    .vgpr_count:     48
    .vgpr_spill_count: 0
    .wavefront_size: 64
  - .agpr_count:     0
    .args:
      - .offset:         0
        .size:           4
        .value_kind:     by_value
      - .offset:         4
        .size:           4
        .value_kind:     by_value
      - .address_space:  global
        .offset:         8
        .size:           8
        .value_kind:     global_buffer
      - .address_space:  global
        .offset:         16
        .size:           8
        .value_kind:     global_buffer
      - .offset:         24
        .size:           4
        .value_kind:     by_value
      - .offset:         32
        .size:           8
        .value_kind:     by_value
      - .address_space:  global
        .offset:         40
        .size:           8
        .value_kind:     global_buffer
      - .offset:         48
        .size:           4
        .value_kind:     by_value
      - .offset:         56
        .size:           8
        .value_kind:     by_value
      - .address_space:  global
        .offset:         64
        .size:           8
        .value_kind:     global_buffer
      - .address_space:  global
        .offset:         72
        .size:           8
        .value_kind:     global_buffer
      - .offset:         80
        .size:           4
        .value_kind:     by_value
      - .offset:         88
        .size:           8
        .value_kind:     by_value
      - .offset:         96
        .size:           4
        .value_kind:     by_value
    .group_segment_fixed_size: 4096
    .kernarg_segment_align: 8
    .kernarg_segment_size: 100
    .language:       OpenCL C
    .language_version:
      - 2
      - 0
    .max_flat_workgroup_size: 256
    .name:           _ZL29rocblas_internal_gemmt_kernelIiLi16ELi32ELi8ELc78ELc78ELc85ELb0ELb0EdPKdS1_PdEviT_T9_T10_S3_lS5_S3_lS4_T11_S3_li
    .private_segment_fixed_size: 0
    .sgpr_count:     35
    .sgpr_spill_count: 0
    .symbol:         _ZL29rocblas_internal_gemmt_kernelIiLi16ELi32ELi8ELc78ELc78ELc85ELb0ELb0EdPKdS1_PdEviT_T9_T10_S3_lS5_S3_lS4_T11_S3_li.kd
    .uniform_work_group_size: 1
    .uses_dynamic_stack: false
    .vgpr_count:     52
    .vgpr_spill_count: 0
    .wavefront_size: 64
  - .agpr_count:     0
    .args:
      - .offset:         0
        .size:           4
        .value_kind:     by_value
      - .offset:         4
        .size:           4
        .value_kind:     by_value
      - .address_space:  global
        .offset:         8
        .size:           8
        .value_kind:     global_buffer
      - .address_space:  global
        .offset:         16
        .size:           8
        .value_kind:     global_buffer
      - .offset:         24
        .size:           4
        .value_kind:     by_value
      - .offset:         32
        .size:           8
        .value_kind:     by_value
      - .address_space:  global
        .offset:         40
        .size:           8
        .value_kind:     global_buffer
      - .offset:         48
        .size:           4
        .value_kind:     by_value
      - .offset:         56
        .size:           8
        .value_kind:     by_value
      - .address_space:  global
        .offset:         64
        .size:           8
        .value_kind:     global_buffer
      - .address_space:  global
        .offset:         72
        .size:           8
        .value_kind:     global_buffer
      - .offset:         80
        .size:           4
        .value_kind:     by_value
      - .offset:         88
        .size:           8
        .value_kind:     by_value
      - .offset:         96
        .size:           4
        .value_kind:     by_value
    .group_segment_fixed_size: 4096
    .kernarg_segment_align: 8
    .kernarg_segment_size: 100
    .language:       OpenCL C
    .language_version:
      - 2
      - 0
    .max_flat_workgroup_size: 256
    .name:           _ZL29rocblas_internal_gemmt_kernelIiLi16ELi32ELi8ELc78ELc84ELc85ELb0ELb0EdPKdS1_PdEviT_T9_T10_S3_lS5_S3_lS4_T11_S3_li
    .private_segment_fixed_size: 0
    .sgpr_count:     36
    .sgpr_spill_count: 0
    .symbol:         _ZL29rocblas_internal_gemmt_kernelIiLi16ELi32ELi8ELc78ELc84ELc85ELb0ELb0EdPKdS1_PdEviT_T9_T10_S3_lS5_S3_lS4_T11_S3_li.kd
    .uniform_work_group_size: 1
    .uses_dynamic_stack: false
    .vgpr_count:     52
    .vgpr_spill_count: 0
    .wavefront_size: 64
  - .agpr_count:     0
    .args:
      - .offset:         0
        .size:           4
        .value_kind:     by_value
      - .offset:         4
        .size:           4
        .value_kind:     by_value
      - .address_space:  global
        .offset:         8
        .size:           8
        .value_kind:     global_buffer
      - .address_space:  global
        .offset:         16
        .size:           8
        .value_kind:     global_buffer
      - .offset:         24
        .size:           4
        .value_kind:     by_value
      - .offset:         32
        .size:           8
        .value_kind:     by_value
      - .address_space:  global
        .offset:         40
        .size:           8
        .value_kind:     global_buffer
      - .offset:         48
        .size:           4
        .value_kind:     by_value
      - .offset:         56
        .size:           8
        .value_kind:     by_value
      - .address_space:  global
        .offset:         64
        .size:           8
        .value_kind:     global_buffer
      - .address_space:  global
        .offset:         72
        .size:           8
        .value_kind:     global_buffer
      - .offset:         80
        .size:           4
        .value_kind:     by_value
      - .offset:         88
        .size:           8
        .value_kind:     by_value
      - .offset:         96
        .size:           4
        .value_kind:     by_value
    .group_segment_fixed_size: 4096
    .kernarg_segment_align: 8
    .kernarg_segment_size: 100
    .language:       OpenCL C
    .language_version:
      - 2
      - 0
    .max_flat_workgroup_size: 256
    .name:           _ZL29rocblas_internal_gemmt_kernelIiLi16ELi32ELi8ELc78ELc67ELc85ELb0ELb0EdPKdS1_PdEviT_T9_T10_S3_lS5_S3_lS4_T11_S3_li
    .private_segment_fixed_size: 0
    .sgpr_count:     36
    .sgpr_spill_count: 0
    .symbol:         _ZL29rocblas_internal_gemmt_kernelIiLi16ELi32ELi8ELc78ELc67ELc85ELb0ELb0EdPKdS1_PdEviT_T9_T10_S3_lS5_S3_lS4_T11_S3_li.kd
    .uniform_work_group_size: 1
    .uses_dynamic_stack: false
    .vgpr_count:     52
    .vgpr_spill_count: 0
    .wavefront_size: 64
  - .agpr_count:     0
    .args:
      - .offset:         0
        .size:           4
        .value_kind:     by_value
      - .offset:         4
        .size:           4
        .value_kind:     by_value
      - .address_space:  global
        .offset:         8
        .size:           8
        .value_kind:     global_buffer
      - .address_space:  global
        .offset:         16
        .size:           8
        .value_kind:     global_buffer
      - .offset:         24
        .size:           4
        .value_kind:     by_value
      - .offset:         32
        .size:           8
        .value_kind:     by_value
      - .address_space:  global
        .offset:         40
        .size:           8
        .value_kind:     global_buffer
      - .offset:         48
        .size:           4
        .value_kind:     by_value
      - .offset:         56
        .size:           8
        .value_kind:     by_value
      - .address_space:  global
        .offset:         64
        .size:           8
        .value_kind:     global_buffer
      - .address_space:  global
        .offset:         72
        .size:           8
        .value_kind:     global_buffer
      - .offset:         80
        .size:           4
        .value_kind:     by_value
      - .offset:         88
        .size:           8
        .value_kind:     by_value
      - .offset:         96
        .size:           4
        .value_kind:     by_value
    .group_segment_fixed_size: 4096
    .kernarg_segment_align: 8
    .kernarg_segment_size: 100
    .language:       OpenCL C
    .language_version:
      - 2
      - 0
    .max_flat_workgroup_size: 256
    .name:           _ZL29rocblas_internal_gemmt_kernelIiLi16ELi32ELi8ELc84ELc78ELc85ELb0ELb0EdPKdS1_PdEviT_T9_T10_S3_lS5_S3_lS4_T11_S3_li
    .private_segment_fixed_size: 0
    .sgpr_count:     33
    .sgpr_spill_count: 0
    .symbol:         _ZL29rocblas_internal_gemmt_kernelIiLi16ELi32ELi8ELc84ELc78ELc85ELb0ELb0EdPKdS1_PdEviT_T9_T10_S3_lS5_S3_lS4_T11_S3_li.kd
    .uniform_work_group_size: 1
    .uses_dynamic_stack: false
    .vgpr_count:     52
    .vgpr_spill_count: 0
    .wavefront_size: 64
  - .agpr_count:     0
    .args:
      - .offset:         0
        .size:           4
        .value_kind:     by_value
      - .offset:         4
        .size:           4
        .value_kind:     by_value
      - .address_space:  global
        .offset:         8
        .size:           8
        .value_kind:     global_buffer
      - .address_space:  global
        .offset:         16
        .size:           8
        .value_kind:     global_buffer
      - .offset:         24
        .size:           4
        .value_kind:     by_value
      - .offset:         32
        .size:           8
        .value_kind:     by_value
      - .address_space:  global
        .offset:         40
        .size:           8
        .value_kind:     global_buffer
      - .offset:         48
        .size:           4
        .value_kind:     by_value
      - .offset:         56
        .size:           8
        .value_kind:     by_value
      - .address_space:  global
        .offset:         64
        .size:           8
        .value_kind:     global_buffer
      - .address_space:  global
        .offset:         72
        .size:           8
        .value_kind:     global_buffer
      - .offset:         80
        .size:           4
        .value_kind:     by_value
      - .offset:         88
        .size:           8
        .value_kind:     by_value
      - .offset:         96
        .size:           4
        .value_kind:     by_value
    .group_segment_fixed_size: 4096
    .kernarg_segment_align: 8
    .kernarg_segment_size: 100
    .language:       OpenCL C
    .language_version:
      - 2
      - 0
    .max_flat_workgroup_size: 256
    .name:           _ZL29rocblas_internal_gemmt_kernelIiLi16ELi32ELi8ELc84ELc84ELc85ELb0ELb0EdPKdS1_PdEviT_T9_T10_S3_lS5_S3_lS4_T11_S3_li
    .private_segment_fixed_size: 0
    .sgpr_count:     34
    .sgpr_spill_count: 0
    .symbol:         _ZL29rocblas_internal_gemmt_kernelIiLi16ELi32ELi8ELc84ELc84ELc85ELb0ELb0EdPKdS1_PdEviT_T9_T10_S3_lS5_S3_lS4_T11_S3_li.kd
    .uniform_work_group_size: 1
    .uses_dynamic_stack: false
    .vgpr_count:     52
    .vgpr_spill_count: 0
    .wavefront_size: 64
  - .agpr_count:     0
    .args:
      - .offset:         0
        .size:           4
        .value_kind:     by_value
      - .offset:         4
        .size:           4
        .value_kind:     by_value
      - .address_space:  global
        .offset:         8
        .size:           8
        .value_kind:     global_buffer
      - .address_space:  global
        .offset:         16
        .size:           8
        .value_kind:     global_buffer
      - .offset:         24
        .size:           4
        .value_kind:     by_value
      - .offset:         32
        .size:           8
        .value_kind:     by_value
      - .address_space:  global
        .offset:         40
        .size:           8
        .value_kind:     global_buffer
      - .offset:         48
        .size:           4
        .value_kind:     by_value
      - .offset:         56
        .size:           8
        .value_kind:     by_value
      - .address_space:  global
        .offset:         64
        .size:           8
        .value_kind:     global_buffer
      - .address_space:  global
        .offset:         72
        .size:           8
        .value_kind:     global_buffer
      - .offset:         80
        .size:           4
        .value_kind:     by_value
      - .offset:         88
        .size:           8
        .value_kind:     by_value
      - .offset:         96
        .size:           4
        .value_kind:     by_value
    .group_segment_fixed_size: 4096
    .kernarg_segment_align: 8
    .kernarg_segment_size: 100
    .language:       OpenCL C
    .language_version:
      - 2
      - 0
    .max_flat_workgroup_size: 256
    .name:           _ZL29rocblas_internal_gemmt_kernelIiLi16ELi32ELi8ELc84ELc67ELc85ELb0ELb0EdPKdS1_PdEviT_T9_T10_S3_lS5_S3_lS4_T11_S3_li
    .private_segment_fixed_size: 0
    .sgpr_count:     34
    .sgpr_spill_count: 0
    .symbol:         _ZL29rocblas_internal_gemmt_kernelIiLi16ELi32ELi8ELc84ELc67ELc85ELb0ELb0EdPKdS1_PdEviT_T9_T10_S3_lS5_S3_lS4_T11_S3_li.kd
    .uniform_work_group_size: 1
    .uses_dynamic_stack: false
    .vgpr_count:     52
    .vgpr_spill_count: 0
    .wavefront_size: 64
  - .agpr_count:     0
    .args:
      - .offset:         0
        .size:           4
        .value_kind:     by_value
      - .offset:         4
        .size:           4
        .value_kind:     by_value
      - .address_space:  global
        .offset:         8
        .size:           8
        .value_kind:     global_buffer
      - .address_space:  global
        .offset:         16
        .size:           8
        .value_kind:     global_buffer
      - .offset:         24
        .size:           4
        .value_kind:     by_value
      - .offset:         32
        .size:           8
        .value_kind:     by_value
      - .address_space:  global
        .offset:         40
        .size:           8
        .value_kind:     global_buffer
      - .offset:         48
        .size:           4
        .value_kind:     by_value
      - .offset:         56
        .size:           8
        .value_kind:     by_value
      - .address_space:  global
        .offset:         64
        .size:           8
        .value_kind:     global_buffer
      - .address_space:  global
        .offset:         72
        .size:           8
        .value_kind:     global_buffer
      - .offset:         80
        .size:           4
        .value_kind:     by_value
      - .offset:         88
        .size:           8
        .value_kind:     by_value
      - .offset:         96
        .size:           4
        .value_kind:     by_value
    .group_segment_fixed_size: 4096
    .kernarg_segment_align: 8
    .kernarg_segment_size: 100
    .language:       OpenCL C
    .language_version:
      - 2
      - 0
    .max_flat_workgroup_size: 256
    .name:           _ZL29rocblas_internal_gemmt_kernelIiLi16ELi32ELi8ELc67ELc78ELc85ELb0ELb0EdPKdS1_PdEviT_T9_T10_S3_lS5_S3_lS4_T11_S3_li
    .private_segment_fixed_size: 0
    .sgpr_count:     33
    .sgpr_spill_count: 0
    .symbol:         _ZL29rocblas_internal_gemmt_kernelIiLi16ELi32ELi8ELc67ELc78ELc85ELb0ELb0EdPKdS1_PdEviT_T9_T10_S3_lS5_S3_lS4_T11_S3_li.kd
    .uniform_work_group_size: 1
    .uses_dynamic_stack: false
    .vgpr_count:     52
    .vgpr_spill_count: 0
    .wavefront_size: 64
  - .agpr_count:     0
    .args:
      - .offset:         0
        .size:           4
        .value_kind:     by_value
      - .offset:         4
        .size:           4
        .value_kind:     by_value
      - .address_space:  global
        .offset:         8
        .size:           8
        .value_kind:     global_buffer
      - .address_space:  global
        .offset:         16
        .size:           8
        .value_kind:     global_buffer
      - .offset:         24
        .size:           4
        .value_kind:     by_value
      - .offset:         32
        .size:           8
        .value_kind:     by_value
      - .address_space:  global
        .offset:         40
        .size:           8
        .value_kind:     global_buffer
      - .offset:         48
        .size:           4
        .value_kind:     by_value
      - .offset:         56
        .size:           8
        .value_kind:     by_value
      - .address_space:  global
        .offset:         64
        .size:           8
        .value_kind:     global_buffer
      - .address_space:  global
        .offset:         72
        .size:           8
        .value_kind:     global_buffer
      - .offset:         80
        .size:           4
        .value_kind:     by_value
      - .offset:         88
        .size:           8
        .value_kind:     by_value
      - .offset:         96
        .size:           4
        .value_kind:     by_value
    .group_segment_fixed_size: 4096
    .kernarg_segment_align: 8
    .kernarg_segment_size: 100
    .language:       OpenCL C
    .language_version:
      - 2
      - 0
    .max_flat_workgroup_size: 256
    .name:           _ZL29rocblas_internal_gemmt_kernelIiLi16ELi32ELi8ELc67ELc84ELc85ELb0ELb0EdPKdS1_PdEviT_T9_T10_S3_lS5_S3_lS4_T11_S3_li
    .private_segment_fixed_size: 0
    .sgpr_count:     34
    .sgpr_spill_count: 0
    .symbol:         _ZL29rocblas_internal_gemmt_kernelIiLi16ELi32ELi8ELc67ELc84ELc85ELb0ELb0EdPKdS1_PdEviT_T9_T10_S3_lS5_S3_lS4_T11_S3_li.kd
    .uniform_work_group_size: 1
    .uses_dynamic_stack: false
    .vgpr_count:     52
    .vgpr_spill_count: 0
    .wavefront_size: 64
  - .agpr_count:     0
    .args:
      - .offset:         0
        .size:           4
        .value_kind:     by_value
      - .offset:         4
        .size:           4
        .value_kind:     by_value
      - .address_space:  global
        .offset:         8
        .size:           8
        .value_kind:     global_buffer
      - .address_space:  global
        .offset:         16
        .size:           8
        .value_kind:     global_buffer
      - .offset:         24
        .size:           4
        .value_kind:     by_value
      - .offset:         32
        .size:           8
        .value_kind:     by_value
      - .address_space:  global
        .offset:         40
        .size:           8
        .value_kind:     global_buffer
      - .offset:         48
        .size:           4
        .value_kind:     by_value
      - .offset:         56
        .size:           8
        .value_kind:     by_value
      - .address_space:  global
        .offset:         64
        .size:           8
        .value_kind:     global_buffer
      - .address_space:  global
        .offset:         72
        .size:           8
        .value_kind:     global_buffer
      - .offset:         80
        .size:           4
        .value_kind:     by_value
      - .offset:         88
        .size:           8
        .value_kind:     by_value
      - .offset:         96
        .size:           4
        .value_kind:     by_value
    .group_segment_fixed_size: 4096
    .kernarg_segment_align: 8
    .kernarg_segment_size: 100
    .language:       OpenCL C
    .language_version:
      - 2
      - 0
    .max_flat_workgroup_size: 256
    .name:           _ZL29rocblas_internal_gemmt_kernelIiLi16ELi32ELi8ELc67ELc67ELc85ELb0ELb0EdPKdS1_PdEviT_T9_T10_S3_lS5_S3_lS4_T11_S3_li
    .private_segment_fixed_size: 0
    .sgpr_count:     34
    .sgpr_spill_count: 0
    .symbol:         _ZL29rocblas_internal_gemmt_kernelIiLi16ELi32ELi8ELc67ELc67ELc85ELb0ELb0EdPKdS1_PdEviT_T9_T10_S3_lS5_S3_lS4_T11_S3_li.kd
    .uniform_work_group_size: 1
    .uses_dynamic_stack: false
    .vgpr_count:     52
    .vgpr_spill_count: 0
    .wavefront_size: 64
  - .agpr_count:     0
    .args:
      - .offset:         0
        .size:           4
        .value_kind:     by_value
      - .offset:         4
        .size:           4
        .value_kind:     by_value
      - .address_space:  global
        .offset:         8
        .size:           8
        .value_kind:     global_buffer
      - .address_space:  global
        .offset:         16
        .size:           8
        .value_kind:     global_buffer
      - .offset:         24
        .size:           4
        .value_kind:     by_value
      - .offset:         32
        .size:           8
        .value_kind:     by_value
      - .address_space:  global
        .offset:         40
        .size:           8
        .value_kind:     global_buffer
      - .offset:         48
        .size:           4
        .value_kind:     by_value
      - .offset:         56
        .size:           8
        .value_kind:     by_value
      - .address_space:  global
        .offset:         64
        .size:           8
        .value_kind:     global_buffer
      - .address_space:  global
        .offset:         72
        .size:           8
        .value_kind:     global_buffer
      - .offset:         80
        .size:           4
        .value_kind:     by_value
      - .offset:         88
        .size:           8
        .value_kind:     by_value
      - .offset:         96
        .size:           4
        .value_kind:     by_value
    .group_segment_fixed_size: 4096
    .kernarg_segment_align: 8
    .kernarg_segment_size: 100
    .language:       OpenCL C
    .language_version:
      - 2
      - 0
    .max_flat_workgroup_size: 256
    .name:           _ZL29rocblas_internal_gemmt_kernelIiLi16ELi32ELi8ELc78ELc78ELc76ELb0ELb0EdPKdS1_PdEviT_T9_T10_S3_lS5_S3_lS4_T11_S3_li
    .private_segment_fixed_size: 0
    .sgpr_count:     35
    .sgpr_spill_count: 0
    .symbol:         _ZL29rocblas_internal_gemmt_kernelIiLi16ELi32ELi8ELc78ELc78ELc76ELb0ELb0EdPKdS1_PdEviT_T9_T10_S3_lS5_S3_lS4_T11_S3_li.kd
    .uniform_work_group_size: 1
    .uses_dynamic_stack: false
    .vgpr_count:     52
    .vgpr_spill_count: 0
    .wavefront_size: 64
  - .agpr_count:     0
    .args:
      - .offset:         0
        .size:           4
        .value_kind:     by_value
      - .offset:         4
        .size:           4
        .value_kind:     by_value
      - .address_space:  global
        .offset:         8
        .size:           8
        .value_kind:     global_buffer
      - .address_space:  global
        .offset:         16
        .size:           8
        .value_kind:     global_buffer
      - .offset:         24
        .size:           4
        .value_kind:     by_value
      - .offset:         32
        .size:           8
        .value_kind:     by_value
      - .address_space:  global
        .offset:         40
        .size:           8
        .value_kind:     global_buffer
      - .offset:         48
        .size:           4
        .value_kind:     by_value
      - .offset:         56
        .size:           8
        .value_kind:     by_value
      - .address_space:  global
        .offset:         64
        .size:           8
        .value_kind:     global_buffer
      - .address_space:  global
        .offset:         72
        .size:           8
        .value_kind:     global_buffer
      - .offset:         80
        .size:           4
        .value_kind:     by_value
      - .offset:         88
        .size:           8
        .value_kind:     by_value
      - .offset:         96
        .size:           4
        .value_kind:     by_value
    .group_segment_fixed_size: 4096
    .kernarg_segment_align: 8
    .kernarg_segment_size: 100
    .language:       OpenCL C
    .language_version:
      - 2
      - 0
    .max_flat_workgroup_size: 256
    .name:           _ZL29rocblas_internal_gemmt_kernelIiLi16ELi32ELi8ELc78ELc84ELc76ELb0ELb0EdPKdS1_PdEviT_T9_T10_S3_lS5_S3_lS4_T11_S3_li
    .private_segment_fixed_size: 0
    .sgpr_count:     36
    .sgpr_spill_count: 0
    .symbol:         _ZL29rocblas_internal_gemmt_kernelIiLi16ELi32ELi8ELc78ELc84ELc76ELb0ELb0EdPKdS1_PdEviT_T9_T10_S3_lS5_S3_lS4_T11_S3_li.kd
    .uniform_work_group_size: 1
    .uses_dynamic_stack: false
    .vgpr_count:     52
    .vgpr_spill_count: 0
    .wavefront_size: 64
  - .agpr_count:     0
    .args:
      - .offset:         0
        .size:           4
        .value_kind:     by_value
      - .offset:         4
        .size:           4
        .value_kind:     by_value
      - .address_space:  global
        .offset:         8
        .size:           8
        .value_kind:     global_buffer
      - .address_space:  global
        .offset:         16
        .size:           8
        .value_kind:     global_buffer
      - .offset:         24
        .size:           4
        .value_kind:     by_value
      - .offset:         32
        .size:           8
        .value_kind:     by_value
      - .address_space:  global
        .offset:         40
        .size:           8
        .value_kind:     global_buffer
      - .offset:         48
        .size:           4
        .value_kind:     by_value
      - .offset:         56
        .size:           8
        .value_kind:     by_value
      - .address_space:  global
        .offset:         64
        .size:           8
        .value_kind:     global_buffer
      - .address_space:  global
        .offset:         72
        .size:           8
        .value_kind:     global_buffer
      - .offset:         80
        .size:           4
        .value_kind:     by_value
      - .offset:         88
        .size:           8
        .value_kind:     by_value
      - .offset:         96
        .size:           4
        .value_kind:     by_value
    .group_segment_fixed_size: 4096
    .kernarg_segment_align: 8
    .kernarg_segment_size: 100
    .language:       OpenCL C
    .language_version:
      - 2
      - 0
    .max_flat_workgroup_size: 256
    .name:           _ZL29rocblas_internal_gemmt_kernelIiLi16ELi32ELi8ELc78ELc67ELc76ELb0ELb0EdPKdS1_PdEviT_T9_T10_S3_lS5_S3_lS4_T11_S3_li
    .private_segment_fixed_size: 0
    .sgpr_count:     36
    .sgpr_spill_count: 0
    .symbol:         _ZL29rocblas_internal_gemmt_kernelIiLi16ELi32ELi8ELc78ELc67ELc76ELb0ELb0EdPKdS1_PdEviT_T9_T10_S3_lS5_S3_lS4_T11_S3_li.kd
    .uniform_work_group_size: 1
    .uses_dynamic_stack: false
    .vgpr_count:     52
    .vgpr_spill_count: 0
    .wavefront_size: 64
  - .agpr_count:     0
    .args:
      - .offset:         0
        .size:           4
        .value_kind:     by_value
      - .offset:         4
        .size:           4
        .value_kind:     by_value
      - .address_space:  global
        .offset:         8
        .size:           8
        .value_kind:     global_buffer
      - .address_space:  global
        .offset:         16
        .size:           8
        .value_kind:     global_buffer
      - .offset:         24
        .size:           4
        .value_kind:     by_value
      - .offset:         32
        .size:           8
        .value_kind:     by_value
      - .address_space:  global
        .offset:         40
        .size:           8
        .value_kind:     global_buffer
      - .offset:         48
        .size:           4
        .value_kind:     by_value
      - .offset:         56
        .size:           8
        .value_kind:     by_value
      - .address_space:  global
        .offset:         64
        .size:           8
        .value_kind:     global_buffer
      - .address_space:  global
        .offset:         72
        .size:           8
        .value_kind:     global_buffer
      - .offset:         80
        .size:           4
        .value_kind:     by_value
      - .offset:         88
        .size:           8
        .value_kind:     by_value
      - .offset:         96
        .size:           4
        .value_kind:     by_value
    .group_segment_fixed_size: 4096
    .kernarg_segment_align: 8
    .kernarg_segment_size: 100
    .language:       OpenCL C
    .language_version:
      - 2
      - 0
    .max_flat_workgroup_size: 256
    .name:           _ZL29rocblas_internal_gemmt_kernelIiLi16ELi32ELi8ELc84ELc78ELc76ELb0ELb0EdPKdS1_PdEviT_T9_T10_S3_lS5_S3_lS4_T11_S3_li
    .private_segment_fixed_size: 0
    .sgpr_count:     33
    .sgpr_spill_count: 0
    .symbol:         _ZL29rocblas_internal_gemmt_kernelIiLi16ELi32ELi8ELc84ELc78ELc76ELb0ELb0EdPKdS1_PdEviT_T9_T10_S3_lS5_S3_lS4_T11_S3_li.kd
    .uniform_work_group_size: 1
    .uses_dynamic_stack: false
    .vgpr_count:     52
    .vgpr_spill_count: 0
    .wavefront_size: 64
  - .agpr_count:     0
    .args:
      - .offset:         0
        .size:           4
        .value_kind:     by_value
      - .offset:         4
        .size:           4
        .value_kind:     by_value
      - .address_space:  global
        .offset:         8
        .size:           8
        .value_kind:     global_buffer
      - .address_space:  global
        .offset:         16
        .size:           8
        .value_kind:     global_buffer
      - .offset:         24
        .size:           4
        .value_kind:     by_value
      - .offset:         32
        .size:           8
        .value_kind:     by_value
      - .address_space:  global
        .offset:         40
        .size:           8
        .value_kind:     global_buffer
      - .offset:         48
        .size:           4
        .value_kind:     by_value
      - .offset:         56
        .size:           8
        .value_kind:     by_value
      - .address_space:  global
        .offset:         64
        .size:           8
        .value_kind:     global_buffer
      - .address_space:  global
        .offset:         72
        .size:           8
        .value_kind:     global_buffer
      - .offset:         80
        .size:           4
        .value_kind:     by_value
      - .offset:         88
        .size:           8
        .value_kind:     by_value
      - .offset:         96
        .size:           4
        .value_kind:     by_value
    .group_segment_fixed_size: 4096
    .kernarg_segment_align: 8
    .kernarg_segment_size: 100
    .language:       OpenCL C
    .language_version:
      - 2
      - 0
    .max_flat_workgroup_size: 256
    .name:           _ZL29rocblas_internal_gemmt_kernelIiLi16ELi32ELi8ELc84ELc84ELc76ELb0ELb0EdPKdS1_PdEviT_T9_T10_S3_lS5_S3_lS4_T11_S3_li
    .private_segment_fixed_size: 0
    .sgpr_count:     34
    .sgpr_spill_count: 0
    .symbol:         _ZL29rocblas_internal_gemmt_kernelIiLi16ELi32ELi8ELc84ELc84ELc76ELb0ELb0EdPKdS1_PdEviT_T9_T10_S3_lS5_S3_lS4_T11_S3_li.kd
    .uniform_work_group_size: 1
    .uses_dynamic_stack: false
    .vgpr_count:     52
    .vgpr_spill_count: 0
    .wavefront_size: 64
  - .agpr_count:     0
    .args:
      - .offset:         0
        .size:           4
        .value_kind:     by_value
      - .offset:         4
        .size:           4
        .value_kind:     by_value
      - .address_space:  global
        .offset:         8
        .size:           8
        .value_kind:     global_buffer
      - .address_space:  global
        .offset:         16
        .size:           8
        .value_kind:     global_buffer
      - .offset:         24
        .size:           4
        .value_kind:     by_value
      - .offset:         32
        .size:           8
        .value_kind:     by_value
      - .address_space:  global
        .offset:         40
        .size:           8
        .value_kind:     global_buffer
      - .offset:         48
        .size:           4
        .value_kind:     by_value
      - .offset:         56
        .size:           8
        .value_kind:     by_value
      - .address_space:  global
        .offset:         64
        .size:           8
        .value_kind:     global_buffer
      - .address_space:  global
        .offset:         72
        .size:           8
        .value_kind:     global_buffer
      - .offset:         80
        .size:           4
        .value_kind:     by_value
      - .offset:         88
        .size:           8
        .value_kind:     by_value
      - .offset:         96
        .size:           4
        .value_kind:     by_value
    .group_segment_fixed_size: 4096
    .kernarg_segment_align: 8
    .kernarg_segment_size: 100
    .language:       OpenCL C
    .language_version:
      - 2
      - 0
    .max_flat_workgroup_size: 256
    .name:           _ZL29rocblas_internal_gemmt_kernelIiLi16ELi32ELi8ELc84ELc67ELc76ELb0ELb0EdPKdS1_PdEviT_T9_T10_S3_lS5_S3_lS4_T11_S3_li
    .private_segment_fixed_size: 0
    .sgpr_count:     34
    .sgpr_spill_count: 0
    .symbol:         _ZL29rocblas_internal_gemmt_kernelIiLi16ELi32ELi8ELc84ELc67ELc76ELb0ELb0EdPKdS1_PdEviT_T9_T10_S3_lS5_S3_lS4_T11_S3_li.kd
    .uniform_work_group_size: 1
    .uses_dynamic_stack: false
    .vgpr_count:     52
    .vgpr_spill_count: 0
    .wavefront_size: 64
  - .agpr_count:     0
    .args:
      - .offset:         0
        .size:           4
        .value_kind:     by_value
      - .offset:         4
        .size:           4
        .value_kind:     by_value
      - .address_space:  global
        .offset:         8
        .size:           8
        .value_kind:     global_buffer
      - .address_space:  global
        .offset:         16
        .size:           8
        .value_kind:     global_buffer
      - .offset:         24
        .size:           4
        .value_kind:     by_value
      - .offset:         32
        .size:           8
        .value_kind:     by_value
      - .address_space:  global
        .offset:         40
        .size:           8
        .value_kind:     global_buffer
      - .offset:         48
        .size:           4
        .value_kind:     by_value
      - .offset:         56
        .size:           8
        .value_kind:     by_value
      - .address_space:  global
        .offset:         64
        .size:           8
        .value_kind:     global_buffer
      - .address_space:  global
        .offset:         72
        .size:           8
        .value_kind:     global_buffer
      - .offset:         80
        .size:           4
        .value_kind:     by_value
      - .offset:         88
        .size:           8
        .value_kind:     by_value
      - .offset:         96
        .size:           4
        .value_kind:     by_value
    .group_segment_fixed_size: 4096
    .kernarg_segment_align: 8
    .kernarg_segment_size: 100
    .language:       OpenCL C
    .language_version:
      - 2
      - 0
    .max_flat_workgroup_size: 256
    .name:           _ZL29rocblas_internal_gemmt_kernelIiLi16ELi32ELi8ELc67ELc78ELc76ELb0ELb0EdPKdS1_PdEviT_T9_T10_S3_lS5_S3_lS4_T11_S3_li
    .private_segment_fixed_size: 0
    .sgpr_count:     33
    .sgpr_spill_count: 0
    .symbol:         _ZL29rocblas_internal_gemmt_kernelIiLi16ELi32ELi8ELc67ELc78ELc76ELb0ELb0EdPKdS1_PdEviT_T9_T10_S3_lS5_S3_lS4_T11_S3_li.kd
    .uniform_work_group_size: 1
    .uses_dynamic_stack: false
    .vgpr_count:     52
    .vgpr_spill_count: 0
    .wavefront_size: 64
  - .agpr_count:     0
    .args:
      - .offset:         0
        .size:           4
        .value_kind:     by_value
      - .offset:         4
        .size:           4
        .value_kind:     by_value
      - .address_space:  global
        .offset:         8
        .size:           8
        .value_kind:     global_buffer
      - .address_space:  global
        .offset:         16
        .size:           8
        .value_kind:     global_buffer
      - .offset:         24
        .size:           4
        .value_kind:     by_value
      - .offset:         32
        .size:           8
        .value_kind:     by_value
      - .address_space:  global
        .offset:         40
        .size:           8
        .value_kind:     global_buffer
      - .offset:         48
        .size:           4
        .value_kind:     by_value
      - .offset:         56
        .size:           8
        .value_kind:     by_value
      - .address_space:  global
        .offset:         64
        .size:           8
        .value_kind:     global_buffer
      - .address_space:  global
        .offset:         72
        .size:           8
        .value_kind:     global_buffer
      - .offset:         80
        .size:           4
        .value_kind:     by_value
      - .offset:         88
        .size:           8
        .value_kind:     by_value
      - .offset:         96
        .size:           4
        .value_kind:     by_value
    .group_segment_fixed_size: 4096
    .kernarg_segment_align: 8
    .kernarg_segment_size: 100
    .language:       OpenCL C
    .language_version:
      - 2
      - 0
    .max_flat_workgroup_size: 256
    .name:           _ZL29rocblas_internal_gemmt_kernelIiLi16ELi32ELi8ELc67ELc84ELc76ELb0ELb0EdPKdS1_PdEviT_T9_T10_S3_lS5_S3_lS4_T11_S3_li
    .private_segment_fixed_size: 0
    .sgpr_count:     34
    .sgpr_spill_count: 0
    .symbol:         _ZL29rocblas_internal_gemmt_kernelIiLi16ELi32ELi8ELc67ELc84ELc76ELb0ELb0EdPKdS1_PdEviT_T9_T10_S3_lS5_S3_lS4_T11_S3_li.kd
    .uniform_work_group_size: 1
    .uses_dynamic_stack: false
    .vgpr_count:     52
    .vgpr_spill_count: 0
    .wavefront_size: 64
  - .agpr_count:     0
    .args:
      - .offset:         0
        .size:           4
        .value_kind:     by_value
      - .offset:         4
        .size:           4
        .value_kind:     by_value
      - .address_space:  global
        .offset:         8
        .size:           8
        .value_kind:     global_buffer
      - .address_space:  global
        .offset:         16
        .size:           8
        .value_kind:     global_buffer
      - .offset:         24
        .size:           4
        .value_kind:     by_value
      - .offset:         32
        .size:           8
        .value_kind:     by_value
      - .address_space:  global
        .offset:         40
        .size:           8
        .value_kind:     global_buffer
      - .offset:         48
        .size:           4
        .value_kind:     by_value
      - .offset:         56
        .size:           8
        .value_kind:     by_value
      - .address_space:  global
        .offset:         64
        .size:           8
        .value_kind:     global_buffer
      - .address_space:  global
        .offset:         72
        .size:           8
        .value_kind:     global_buffer
      - .offset:         80
        .size:           4
        .value_kind:     by_value
      - .offset:         88
        .size:           8
        .value_kind:     by_value
      - .offset:         96
        .size:           4
        .value_kind:     by_value
    .group_segment_fixed_size: 4096
    .kernarg_segment_align: 8
    .kernarg_segment_size: 100
    .language:       OpenCL C
    .language_version:
      - 2
      - 0
    .max_flat_workgroup_size: 256
    .name:           _ZL29rocblas_internal_gemmt_kernelIiLi16ELi32ELi8ELc67ELc67ELc76ELb0ELb0EdPKdS1_PdEviT_T9_T10_S3_lS5_S3_lS4_T11_S3_li
    .private_segment_fixed_size: 0
    .sgpr_count:     34
    .sgpr_spill_count: 0
    .symbol:         _ZL29rocblas_internal_gemmt_kernelIiLi16ELi32ELi8ELc67ELc67ELc76ELb0ELb0EdPKdS1_PdEviT_T9_T10_S3_lS5_S3_lS4_T11_S3_li.kd
    .uniform_work_group_size: 1
    .uses_dynamic_stack: false
    .vgpr_count:     52
    .vgpr_spill_count: 0
    .wavefront_size: 64
  - .agpr_count:     0
    .args:
      - .offset:         0
        .size:           4
        .value_kind:     by_value
      - .offset:         4
        .size:           4
        .value_kind:     by_value
      - .offset:         8
        .size:           8
        .value_kind:     by_value
      - .address_space:  global
        .offset:         16
        .size:           8
        .value_kind:     global_buffer
      - .offset:         24
        .size:           4
        .value_kind:     by_value
      - .offset:         32
        .size:           8
        .value_kind:     by_value
      - .address_space:  global
        .offset:         40
        .size:           8
        .value_kind:     global_buffer
      - .offset:         48
        .size:           4
        .value_kind:     by_value
      - .offset:         56
        .size:           8
        .value_kind:     by_value
      - .offset:         64
        .size:           8
        .value_kind:     by_value
      - .address_space:  global
        .offset:         72
        .size:           8
        .value_kind:     global_buffer
      - .offset:         80
        .size:           4
        .value_kind:     by_value
      - .offset:         88
        .size:           8
        .value_kind:     by_value
      - .offset:         96
        .size:           4
        .value_kind:     by_value
    .group_segment_fixed_size: 4096
    .kernarg_segment_align: 8
    .kernarg_segment_size: 100
    .language:       OpenCL C
    .language_version:
      - 2
      - 0
    .max_flat_workgroup_size: 256
    .name:           _ZL29rocblas_internal_gemmt_kernelIiLi16ELi32ELi8ELc78ELc78ELc85ELb0ELb0EddPKdPdEviT_T9_T10_S3_lS5_S3_lS4_T11_S3_li
    .private_segment_fixed_size: 0
    .sgpr_count:     35
    .sgpr_spill_count: 0
    .symbol:         _ZL29rocblas_internal_gemmt_kernelIiLi16ELi32ELi8ELc78ELc78ELc85ELb0ELb0EddPKdPdEviT_T9_T10_S3_lS5_S3_lS4_T11_S3_li.kd
    .uniform_work_group_size: 1
    .uses_dynamic_stack: false
    .vgpr_count:     52
    .vgpr_spill_count: 0
    .wavefront_size: 64
  - .agpr_count:     0
    .args:
      - .offset:         0
        .size:           4
        .value_kind:     by_value
      - .offset:         4
        .size:           4
        .value_kind:     by_value
      - .offset:         8
        .size:           8
        .value_kind:     by_value
      - .address_space:  global
        .offset:         16
        .size:           8
        .value_kind:     global_buffer
      - .offset:         24
        .size:           4
        .value_kind:     by_value
      - .offset:         32
        .size:           8
        .value_kind:     by_value
      - .address_space:  global
        .offset:         40
        .size:           8
        .value_kind:     global_buffer
      - .offset:         48
        .size:           4
        .value_kind:     by_value
      - .offset:         56
        .size:           8
        .value_kind:     by_value
      - .offset:         64
        .size:           8
        .value_kind:     by_value
      - .address_space:  global
        .offset:         72
        .size:           8
        .value_kind:     global_buffer
      - .offset:         80
        .size:           4
        .value_kind:     by_value
      - .offset:         88
        .size:           8
        .value_kind:     by_value
      - .offset:         96
        .size:           4
        .value_kind:     by_value
    .group_segment_fixed_size: 4096
    .kernarg_segment_align: 8
    .kernarg_segment_size: 100
    .language:       OpenCL C
    .language_version:
      - 2
      - 0
    .max_flat_workgroup_size: 256
    .name:           _ZL29rocblas_internal_gemmt_kernelIiLi16ELi32ELi8ELc78ELc84ELc85ELb0ELb0EddPKdPdEviT_T9_T10_S3_lS5_S3_lS4_T11_S3_li
    .private_segment_fixed_size: 0
    .sgpr_count:     36
    .sgpr_spill_count: 0
    .symbol:         _ZL29rocblas_internal_gemmt_kernelIiLi16ELi32ELi8ELc78ELc84ELc85ELb0ELb0EddPKdPdEviT_T9_T10_S3_lS5_S3_lS4_T11_S3_li.kd
    .uniform_work_group_size: 1
    .uses_dynamic_stack: false
    .vgpr_count:     52
    .vgpr_spill_count: 0
    .wavefront_size: 64
  - .agpr_count:     0
    .args:
      - .offset:         0
        .size:           4
        .value_kind:     by_value
      - .offset:         4
        .size:           4
        .value_kind:     by_value
      - .offset:         8
        .size:           8
        .value_kind:     by_value
      - .address_space:  global
        .offset:         16
        .size:           8
        .value_kind:     global_buffer
      - .offset:         24
        .size:           4
        .value_kind:     by_value
      - .offset:         32
        .size:           8
        .value_kind:     by_value
      - .address_space:  global
        .offset:         40
        .size:           8
        .value_kind:     global_buffer
      - .offset:         48
        .size:           4
        .value_kind:     by_value
      - .offset:         56
        .size:           8
        .value_kind:     by_value
      - .offset:         64
        .size:           8
        .value_kind:     by_value
      - .address_space:  global
        .offset:         72
        .size:           8
        .value_kind:     global_buffer
      - .offset:         80
        .size:           4
        .value_kind:     by_value
      - .offset:         88
        .size:           8
        .value_kind:     by_value
      - .offset:         96
        .size:           4
        .value_kind:     by_value
    .group_segment_fixed_size: 4096
    .kernarg_segment_align: 8
    .kernarg_segment_size: 100
    .language:       OpenCL C
    .language_version:
      - 2
      - 0
    .max_flat_workgroup_size: 256
    .name:           _ZL29rocblas_internal_gemmt_kernelIiLi16ELi32ELi8ELc78ELc67ELc85ELb0ELb0EddPKdPdEviT_T9_T10_S3_lS5_S3_lS4_T11_S3_li
    .private_segment_fixed_size: 0
    .sgpr_count:     36
    .sgpr_spill_count: 0
    .symbol:         _ZL29rocblas_internal_gemmt_kernelIiLi16ELi32ELi8ELc78ELc67ELc85ELb0ELb0EddPKdPdEviT_T9_T10_S3_lS5_S3_lS4_T11_S3_li.kd
    .uniform_work_group_size: 1
    .uses_dynamic_stack: false
    .vgpr_count:     52
    .vgpr_spill_count: 0
    .wavefront_size: 64
  - .agpr_count:     0
    .args:
      - .offset:         0
        .size:           4
        .value_kind:     by_value
      - .offset:         4
        .size:           4
        .value_kind:     by_value
      - .offset:         8
        .size:           8
        .value_kind:     by_value
      - .address_space:  global
        .offset:         16
        .size:           8
        .value_kind:     global_buffer
      - .offset:         24
        .size:           4
        .value_kind:     by_value
      - .offset:         32
        .size:           8
        .value_kind:     by_value
      - .address_space:  global
        .offset:         40
        .size:           8
        .value_kind:     global_buffer
      - .offset:         48
        .size:           4
        .value_kind:     by_value
      - .offset:         56
        .size:           8
        .value_kind:     by_value
      - .offset:         64
        .size:           8
        .value_kind:     by_value
      - .address_space:  global
        .offset:         72
        .size:           8
        .value_kind:     global_buffer
      - .offset:         80
        .size:           4
        .value_kind:     by_value
      - .offset:         88
        .size:           8
        .value_kind:     by_value
      - .offset:         96
        .size:           4
        .value_kind:     by_value
    .group_segment_fixed_size: 4096
    .kernarg_segment_align: 8
    .kernarg_segment_size: 100
    .language:       OpenCL C
    .language_version:
      - 2
      - 0
    .max_flat_workgroup_size: 256
    .name:           _ZL29rocblas_internal_gemmt_kernelIiLi16ELi32ELi8ELc84ELc78ELc85ELb0ELb0EddPKdPdEviT_T9_T10_S3_lS5_S3_lS4_T11_S3_li
    .private_segment_fixed_size: 0
    .sgpr_count:     33
    .sgpr_spill_count: 0
    .symbol:         _ZL29rocblas_internal_gemmt_kernelIiLi16ELi32ELi8ELc84ELc78ELc85ELb0ELb0EddPKdPdEviT_T9_T10_S3_lS5_S3_lS4_T11_S3_li.kd
    .uniform_work_group_size: 1
    .uses_dynamic_stack: false
    .vgpr_count:     52
    .vgpr_spill_count: 0
    .wavefront_size: 64
  - .agpr_count:     0
    .args:
      - .offset:         0
        .size:           4
        .value_kind:     by_value
      - .offset:         4
        .size:           4
        .value_kind:     by_value
      - .offset:         8
        .size:           8
        .value_kind:     by_value
      - .address_space:  global
        .offset:         16
        .size:           8
        .value_kind:     global_buffer
      - .offset:         24
        .size:           4
        .value_kind:     by_value
      - .offset:         32
        .size:           8
        .value_kind:     by_value
      - .address_space:  global
        .offset:         40
        .size:           8
        .value_kind:     global_buffer
      - .offset:         48
        .size:           4
        .value_kind:     by_value
      - .offset:         56
        .size:           8
        .value_kind:     by_value
      - .offset:         64
        .size:           8
        .value_kind:     by_value
      - .address_space:  global
        .offset:         72
        .size:           8
        .value_kind:     global_buffer
      - .offset:         80
        .size:           4
        .value_kind:     by_value
      - .offset:         88
        .size:           8
        .value_kind:     by_value
      - .offset:         96
        .size:           4
        .value_kind:     by_value
    .group_segment_fixed_size: 4096
    .kernarg_segment_align: 8
    .kernarg_segment_size: 100
    .language:       OpenCL C
    .language_version:
      - 2
      - 0
    .max_flat_workgroup_size: 256
    .name:           _ZL29rocblas_internal_gemmt_kernelIiLi16ELi32ELi8ELc84ELc84ELc85ELb0ELb0EddPKdPdEviT_T9_T10_S3_lS5_S3_lS4_T11_S3_li
    .private_segment_fixed_size: 0
    .sgpr_count:     34
    .sgpr_spill_count: 0
    .symbol:         _ZL29rocblas_internal_gemmt_kernelIiLi16ELi32ELi8ELc84ELc84ELc85ELb0ELb0EddPKdPdEviT_T9_T10_S3_lS5_S3_lS4_T11_S3_li.kd
    .uniform_work_group_size: 1
    .uses_dynamic_stack: false
    .vgpr_count:     52
    .vgpr_spill_count: 0
    .wavefront_size: 64
  - .agpr_count:     0
    .args:
      - .offset:         0
        .size:           4
        .value_kind:     by_value
      - .offset:         4
        .size:           4
        .value_kind:     by_value
      - .offset:         8
        .size:           8
        .value_kind:     by_value
      - .address_space:  global
        .offset:         16
        .size:           8
        .value_kind:     global_buffer
      - .offset:         24
        .size:           4
        .value_kind:     by_value
      - .offset:         32
        .size:           8
        .value_kind:     by_value
      - .address_space:  global
        .offset:         40
        .size:           8
        .value_kind:     global_buffer
      - .offset:         48
        .size:           4
        .value_kind:     by_value
      - .offset:         56
        .size:           8
        .value_kind:     by_value
      - .offset:         64
        .size:           8
        .value_kind:     by_value
      - .address_space:  global
        .offset:         72
        .size:           8
        .value_kind:     global_buffer
      - .offset:         80
        .size:           4
        .value_kind:     by_value
      - .offset:         88
        .size:           8
        .value_kind:     by_value
      - .offset:         96
        .size:           4
        .value_kind:     by_value
    .group_segment_fixed_size: 4096
    .kernarg_segment_align: 8
    .kernarg_segment_size: 100
    .language:       OpenCL C
    .language_version:
      - 2
      - 0
    .max_flat_workgroup_size: 256
    .name:           _ZL29rocblas_internal_gemmt_kernelIiLi16ELi32ELi8ELc84ELc67ELc85ELb0ELb0EddPKdPdEviT_T9_T10_S3_lS5_S3_lS4_T11_S3_li
    .private_segment_fixed_size: 0
    .sgpr_count:     34
    .sgpr_spill_count: 0
    .symbol:         _ZL29rocblas_internal_gemmt_kernelIiLi16ELi32ELi8ELc84ELc67ELc85ELb0ELb0EddPKdPdEviT_T9_T10_S3_lS5_S3_lS4_T11_S3_li.kd
    .uniform_work_group_size: 1
    .uses_dynamic_stack: false
    .vgpr_count:     52
    .vgpr_spill_count: 0
    .wavefront_size: 64
  - .agpr_count:     0
    .args:
      - .offset:         0
        .size:           4
        .value_kind:     by_value
      - .offset:         4
        .size:           4
        .value_kind:     by_value
      - .offset:         8
        .size:           8
        .value_kind:     by_value
      - .address_space:  global
        .offset:         16
        .size:           8
        .value_kind:     global_buffer
      - .offset:         24
        .size:           4
        .value_kind:     by_value
      - .offset:         32
        .size:           8
        .value_kind:     by_value
      - .address_space:  global
        .offset:         40
        .size:           8
        .value_kind:     global_buffer
      - .offset:         48
        .size:           4
        .value_kind:     by_value
      - .offset:         56
        .size:           8
        .value_kind:     by_value
      - .offset:         64
        .size:           8
        .value_kind:     by_value
      - .address_space:  global
        .offset:         72
        .size:           8
        .value_kind:     global_buffer
      - .offset:         80
        .size:           4
        .value_kind:     by_value
      - .offset:         88
        .size:           8
        .value_kind:     by_value
      - .offset:         96
        .size:           4
        .value_kind:     by_value
    .group_segment_fixed_size: 4096
    .kernarg_segment_align: 8
    .kernarg_segment_size: 100
    .language:       OpenCL C
    .language_version:
      - 2
      - 0
    .max_flat_workgroup_size: 256
    .name:           _ZL29rocblas_internal_gemmt_kernelIiLi16ELi32ELi8ELc67ELc78ELc85ELb0ELb0EddPKdPdEviT_T9_T10_S3_lS5_S3_lS4_T11_S3_li
    .private_segment_fixed_size: 0
    .sgpr_count:     33
    .sgpr_spill_count: 0
    .symbol:         _ZL29rocblas_internal_gemmt_kernelIiLi16ELi32ELi8ELc67ELc78ELc85ELb0ELb0EddPKdPdEviT_T9_T10_S3_lS5_S3_lS4_T11_S3_li.kd
    .uniform_work_group_size: 1
    .uses_dynamic_stack: false
    .vgpr_count:     52
    .vgpr_spill_count: 0
    .wavefront_size: 64
  - .agpr_count:     0
    .args:
      - .offset:         0
        .size:           4
        .value_kind:     by_value
      - .offset:         4
        .size:           4
        .value_kind:     by_value
      - .offset:         8
        .size:           8
        .value_kind:     by_value
      - .address_space:  global
        .offset:         16
        .size:           8
        .value_kind:     global_buffer
      - .offset:         24
        .size:           4
        .value_kind:     by_value
      - .offset:         32
        .size:           8
        .value_kind:     by_value
      - .address_space:  global
        .offset:         40
        .size:           8
        .value_kind:     global_buffer
      - .offset:         48
        .size:           4
        .value_kind:     by_value
      - .offset:         56
        .size:           8
        .value_kind:     by_value
      - .offset:         64
        .size:           8
        .value_kind:     by_value
      - .address_space:  global
        .offset:         72
        .size:           8
        .value_kind:     global_buffer
      - .offset:         80
        .size:           4
        .value_kind:     by_value
      - .offset:         88
        .size:           8
        .value_kind:     by_value
      - .offset:         96
        .size:           4
        .value_kind:     by_value
    .group_segment_fixed_size: 4096
    .kernarg_segment_align: 8
    .kernarg_segment_size: 100
    .language:       OpenCL C
    .language_version:
      - 2
      - 0
    .max_flat_workgroup_size: 256
    .name:           _ZL29rocblas_internal_gemmt_kernelIiLi16ELi32ELi8ELc67ELc84ELc85ELb0ELb0EddPKdPdEviT_T9_T10_S3_lS5_S3_lS4_T11_S3_li
    .private_segment_fixed_size: 0
    .sgpr_count:     34
    .sgpr_spill_count: 0
    .symbol:         _ZL29rocblas_internal_gemmt_kernelIiLi16ELi32ELi8ELc67ELc84ELc85ELb0ELb0EddPKdPdEviT_T9_T10_S3_lS5_S3_lS4_T11_S3_li.kd
    .uniform_work_group_size: 1
    .uses_dynamic_stack: false
    .vgpr_count:     52
    .vgpr_spill_count: 0
    .wavefront_size: 64
  - .agpr_count:     0
    .args:
      - .offset:         0
        .size:           4
        .value_kind:     by_value
      - .offset:         4
        .size:           4
        .value_kind:     by_value
      - .offset:         8
        .size:           8
        .value_kind:     by_value
      - .address_space:  global
        .offset:         16
        .size:           8
        .value_kind:     global_buffer
      - .offset:         24
        .size:           4
        .value_kind:     by_value
      - .offset:         32
        .size:           8
        .value_kind:     by_value
      - .address_space:  global
        .offset:         40
        .size:           8
        .value_kind:     global_buffer
      - .offset:         48
        .size:           4
        .value_kind:     by_value
      - .offset:         56
        .size:           8
        .value_kind:     by_value
      - .offset:         64
        .size:           8
        .value_kind:     by_value
      - .address_space:  global
        .offset:         72
        .size:           8
        .value_kind:     global_buffer
      - .offset:         80
        .size:           4
        .value_kind:     by_value
      - .offset:         88
        .size:           8
        .value_kind:     by_value
      - .offset:         96
        .size:           4
        .value_kind:     by_value
    .group_segment_fixed_size: 4096
    .kernarg_segment_align: 8
    .kernarg_segment_size: 100
    .language:       OpenCL C
    .language_version:
      - 2
      - 0
    .max_flat_workgroup_size: 256
    .name:           _ZL29rocblas_internal_gemmt_kernelIiLi16ELi32ELi8ELc67ELc67ELc85ELb0ELb0EddPKdPdEviT_T9_T10_S3_lS5_S3_lS4_T11_S3_li
    .private_segment_fixed_size: 0
    .sgpr_count:     34
    .sgpr_spill_count: 0
    .symbol:         _ZL29rocblas_internal_gemmt_kernelIiLi16ELi32ELi8ELc67ELc67ELc85ELb0ELb0EddPKdPdEviT_T9_T10_S3_lS5_S3_lS4_T11_S3_li.kd
    .uniform_work_group_size: 1
    .uses_dynamic_stack: false
    .vgpr_count:     52
    .vgpr_spill_count: 0
    .wavefront_size: 64
  - .agpr_count:     0
    .args:
      - .offset:         0
        .size:           4
        .value_kind:     by_value
      - .offset:         4
        .size:           4
        .value_kind:     by_value
      - .offset:         8
        .size:           8
        .value_kind:     by_value
      - .address_space:  global
        .offset:         16
        .size:           8
        .value_kind:     global_buffer
      - .offset:         24
        .size:           4
        .value_kind:     by_value
      - .offset:         32
        .size:           8
        .value_kind:     by_value
      - .address_space:  global
        .offset:         40
        .size:           8
        .value_kind:     global_buffer
      - .offset:         48
        .size:           4
        .value_kind:     by_value
      - .offset:         56
        .size:           8
        .value_kind:     by_value
      - .offset:         64
        .size:           8
        .value_kind:     by_value
      - .address_space:  global
        .offset:         72
        .size:           8
        .value_kind:     global_buffer
      - .offset:         80
        .size:           4
        .value_kind:     by_value
      - .offset:         88
        .size:           8
        .value_kind:     by_value
      - .offset:         96
        .size:           4
        .value_kind:     by_value
    .group_segment_fixed_size: 4096
    .kernarg_segment_align: 8
    .kernarg_segment_size: 100
    .language:       OpenCL C
    .language_version:
      - 2
      - 0
    .max_flat_workgroup_size: 256
    .name:           _ZL29rocblas_internal_gemmt_kernelIiLi16ELi32ELi8ELc78ELc78ELc76ELb0ELb0EddPKdPdEviT_T9_T10_S3_lS5_S3_lS4_T11_S3_li
    .private_segment_fixed_size: 0
    .sgpr_count:     35
    .sgpr_spill_count: 0
    .symbol:         _ZL29rocblas_internal_gemmt_kernelIiLi16ELi32ELi8ELc78ELc78ELc76ELb0ELb0EddPKdPdEviT_T9_T10_S3_lS5_S3_lS4_T11_S3_li.kd
    .uniform_work_group_size: 1
    .uses_dynamic_stack: false
    .vgpr_count:     52
    .vgpr_spill_count: 0
    .wavefront_size: 64
  - .agpr_count:     0
    .args:
      - .offset:         0
        .size:           4
        .value_kind:     by_value
      - .offset:         4
        .size:           4
        .value_kind:     by_value
      - .offset:         8
        .size:           8
        .value_kind:     by_value
      - .address_space:  global
        .offset:         16
        .size:           8
        .value_kind:     global_buffer
      - .offset:         24
        .size:           4
        .value_kind:     by_value
      - .offset:         32
        .size:           8
        .value_kind:     by_value
      - .address_space:  global
        .offset:         40
        .size:           8
        .value_kind:     global_buffer
      - .offset:         48
        .size:           4
        .value_kind:     by_value
      - .offset:         56
        .size:           8
        .value_kind:     by_value
      - .offset:         64
        .size:           8
        .value_kind:     by_value
      - .address_space:  global
        .offset:         72
        .size:           8
        .value_kind:     global_buffer
      - .offset:         80
        .size:           4
        .value_kind:     by_value
      - .offset:         88
        .size:           8
        .value_kind:     by_value
      - .offset:         96
        .size:           4
        .value_kind:     by_value
    .group_segment_fixed_size: 4096
    .kernarg_segment_align: 8
    .kernarg_segment_size: 100
    .language:       OpenCL C
    .language_version:
      - 2
      - 0
    .max_flat_workgroup_size: 256
    .name:           _ZL29rocblas_internal_gemmt_kernelIiLi16ELi32ELi8ELc78ELc84ELc76ELb0ELb0EddPKdPdEviT_T9_T10_S3_lS5_S3_lS4_T11_S3_li
    .private_segment_fixed_size: 0
    .sgpr_count:     36
    .sgpr_spill_count: 0
    .symbol:         _ZL29rocblas_internal_gemmt_kernelIiLi16ELi32ELi8ELc78ELc84ELc76ELb0ELb0EddPKdPdEviT_T9_T10_S3_lS5_S3_lS4_T11_S3_li.kd
    .uniform_work_group_size: 1
    .uses_dynamic_stack: false
    .vgpr_count:     52
    .vgpr_spill_count: 0
    .wavefront_size: 64
  - .agpr_count:     0
    .args:
      - .offset:         0
        .size:           4
        .value_kind:     by_value
      - .offset:         4
        .size:           4
        .value_kind:     by_value
      - .offset:         8
        .size:           8
        .value_kind:     by_value
      - .address_space:  global
        .offset:         16
        .size:           8
        .value_kind:     global_buffer
      - .offset:         24
        .size:           4
        .value_kind:     by_value
      - .offset:         32
        .size:           8
        .value_kind:     by_value
      - .address_space:  global
        .offset:         40
        .size:           8
        .value_kind:     global_buffer
      - .offset:         48
        .size:           4
        .value_kind:     by_value
      - .offset:         56
        .size:           8
        .value_kind:     by_value
      - .offset:         64
        .size:           8
        .value_kind:     by_value
      - .address_space:  global
        .offset:         72
        .size:           8
        .value_kind:     global_buffer
      - .offset:         80
        .size:           4
        .value_kind:     by_value
      - .offset:         88
        .size:           8
        .value_kind:     by_value
      - .offset:         96
        .size:           4
        .value_kind:     by_value
    .group_segment_fixed_size: 4096
    .kernarg_segment_align: 8
    .kernarg_segment_size: 100
    .language:       OpenCL C
    .language_version:
      - 2
      - 0
    .max_flat_workgroup_size: 256
    .name:           _ZL29rocblas_internal_gemmt_kernelIiLi16ELi32ELi8ELc78ELc67ELc76ELb0ELb0EddPKdPdEviT_T9_T10_S3_lS5_S3_lS4_T11_S3_li
    .private_segment_fixed_size: 0
    .sgpr_count:     36
    .sgpr_spill_count: 0
    .symbol:         _ZL29rocblas_internal_gemmt_kernelIiLi16ELi32ELi8ELc78ELc67ELc76ELb0ELb0EddPKdPdEviT_T9_T10_S3_lS5_S3_lS4_T11_S3_li.kd
    .uniform_work_group_size: 1
    .uses_dynamic_stack: false
    .vgpr_count:     52
    .vgpr_spill_count: 0
    .wavefront_size: 64
  - .agpr_count:     0
    .args:
      - .offset:         0
        .size:           4
        .value_kind:     by_value
      - .offset:         4
        .size:           4
        .value_kind:     by_value
      - .offset:         8
        .size:           8
        .value_kind:     by_value
      - .address_space:  global
        .offset:         16
        .size:           8
        .value_kind:     global_buffer
      - .offset:         24
        .size:           4
        .value_kind:     by_value
      - .offset:         32
        .size:           8
        .value_kind:     by_value
      - .address_space:  global
        .offset:         40
        .size:           8
        .value_kind:     global_buffer
      - .offset:         48
        .size:           4
        .value_kind:     by_value
      - .offset:         56
        .size:           8
        .value_kind:     by_value
      - .offset:         64
        .size:           8
        .value_kind:     by_value
      - .address_space:  global
        .offset:         72
        .size:           8
        .value_kind:     global_buffer
      - .offset:         80
        .size:           4
        .value_kind:     by_value
      - .offset:         88
        .size:           8
        .value_kind:     by_value
      - .offset:         96
        .size:           4
        .value_kind:     by_value
    .group_segment_fixed_size: 4096
    .kernarg_segment_align: 8
    .kernarg_segment_size: 100
    .language:       OpenCL C
    .language_version:
      - 2
      - 0
    .max_flat_workgroup_size: 256
    .name:           _ZL29rocblas_internal_gemmt_kernelIiLi16ELi32ELi8ELc84ELc78ELc76ELb0ELb0EddPKdPdEviT_T9_T10_S3_lS5_S3_lS4_T11_S3_li
    .private_segment_fixed_size: 0
    .sgpr_count:     33
    .sgpr_spill_count: 0
    .symbol:         _ZL29rocblas_internal_gemmt_kernelIiLi16ELi32ELi8ELc84ELc78ELc76ELb0ELb0EddPKdPdEviT_T9_T10_S3_lS5_S3_lS4_T11_S3_li.kd
    .uniform_work_group_size: 1
    .uses_dynamic_stack: false
    .vgpr_count:     52
    .vgpr_spill_count: 0
    .wavefront_size: 64
  - .agpr_count:     0
    .args:
      - .offset:         0
        .size:           4
        .value_kind:     by_value
      - .offset:         4
        .size:           4
        .value_kind:     by_value
      - .offset:         8
        .size:           8
        .value_kind:     by_value
      - .address_space:  global
        .offset:         16
        .size:           8
        .value_kind:     global_buffer
      - .offset:         24
        .size:           4
        .value_kind:     by_value
      - .offset:         32
        .size:           8
        .value_kind:     by_value
      - .address_space:  global
        .offset:         40
        .size:           8
        .value_kind:     global_buffer
      - .offset:         48
        .size:           4
        .value_kind:     by_value
      - .offset:         56
        .size:           8
        .value_kind:     by_value
      - .offset:         64
        .size:           8
        .value_kind:     by_value
      - .address_space:  global
        .offset:         72
        .size:           8
        .value_kind:     global_buffer
      - .offset:         80
        .size:           4
        .value_kind:     by_value
      - .offset:         88
        .size:           8
        .value_kind:     by_value
      - .offset:         96
        .size:           4
        .value_kind:     by_value
    .group_segment_fixed_size: 4096
    .kernarg_segment_align: 8
    .kernarg_segment_size: 100
    .language:       OpenCL C
    .language_version:
      - 2
      - 0
    .max_flat_workgroup_size: 256
    .name:           _ZL29rocblas_internal_gemmt_kernelIiLi16ELi32ELi8ELc84ELc84ELc76ELb0ELb0EddPKdPdEviT_T9_T10_S3_lS5_S3_lS4_T11_S3_li
    .private_segment_fixed_size: 0
    .sgpr_count:     34
    .sgpr_spill_count: 0
    .symbol:         _ZL29rocblas_internal_gemmt_kernelIiLi16ELi32ELi8ELc84ELc84ELc76ELb0ELb0EddPKdPdEviT_T9_T10_S3_lS5_S3_lS4_T11_S3_li.kd
    .uniform_work_group_size: 1
    .uses_dynamic_stack: false
    .vgpr_count:     52
    .vgpr_spill_count: 0
    .wavefront_size: 64
  - .agpr_count:     0
    .args:
      - .offset:         0
        .size:           4
        .value_kind:     by_value
      - .offset:         4
        .size:           4
        .value_kind:     by_value
      - .offset:         8
        .size:           8
        .value_kind:     by_value
      - .address_space:  global
        .offset:         16
        .size:           8
        .value_kind:     global_buffer
      - .offset:         24
        .size:           4
        .value_kind:     by_value
      - .offset:         32
        .size:           8
        .value_kind:     by_value
      - .address_space:  global
        .offset:         40
        .size:           8
        .value_kind:     global_buffer
      - .offset:         48
        .size:           4
        .value_kind:     by_value
      - .offset:         56
        .size:           8
        .value_kind:     by_value
      - .offset:         64
        .size:           8
        .value_kind:     by_value
      - .address_space:  global
        .offset:         72
        .size:           8
        .value_kind:     global_buffer
      - .offset:         80
        .size:           4
        .value_kind:     by_value
      - .offset:         88
        .size:           8
        .value_kind:     by_value
      - .offset:         96
        .size:           4
        .value_kind:     by_value
    .group_segment_fixed_size: 4096
    .kernarg_segment_align: 8
    .kernarg_segment_size: 100
    .language:       OpenCL C
    .language_version:
      - 2
      - 0
    .max_flat_workgroup_size: 256
    .name:           _ZL29rocblas_internal_gemmt_kernelIiLi16ELi32ELi8ELc84ELc67ELc76ELb0ELb0EddPKdPdEviT_T9_T10_S3_lS5_S3_lS4_T11_S3_li
    .private_segment_fixed_size: 0
    .sgpr_count:     34
    .sgpr_spill_count: 0
    .symbol:         _ZL29rocblas_internal_gemmt_kernelIiLi16ELi32ELi8ELc84ELc67ELc76ELb0ELb0EddPKdPdEviT_T9_T10_S3_lS5_S3_lS4_T11_S3_li.kd
    .uniform_work_group_size: 1
    .uses_dynamic_stack: false
    .vgpr_count:     52
    .vgpr_spill_count: 0
    .wavefront_size: 64
  - .agpr_count:     0
    .args:
      - .offset:         0
        .size:           4
        .value_kind:     by_value
      - .offset:         4
        .size:           4
        .value_kind:     by_value
      - .offset:         8
        .size:           8
        .value_kind:     by_value
      - .address_space:  global
        .offset:         16
        .size:           8
        .value_kind:     global_buffer
      - .offset:         24
        .size:           4
        .value_kind:     by_value
      - .offset:         32
        .size:           8
        .value_kind:     by_value
      - .address_space:  global
        .offset:         40
        .size:           8
        .value_kind:     global_buffer
      - .offset:         48
        .size:           4
        .value_kind:     by_value
      - .offset:         56
        .size:           8
        .value_kind:     by_value
      - .offset:         64
        .size:           8
        .value_kind:     by_value
      - .address_space:  global
        .offset:         72
        .size:           8
        .value_kind:     global_buffer
      - .offset:         80
        .size:           4
        .value_kind:     by_value
      - .offset:         88
        .size:           8
        .value_kind:     by_value
      - .offset:         96
        .size:           4
        .value_kind:     by_value
    .group_segment_fixed_size: 4096
    .kernarg_segment_align: 8
    .kernarg_segment_size: 100
    .language:       OpenCL C
    .language_version:
      - 2
      - 0
    .max_flat_workgroup_size: 256
    .name:           _ZL29rocblas_internal_gemmt_kernelIiLi16ELi32ELi8ELc67ELc78ELc76ELb0ELb0EddPKdPdEviT_T9_T10_S3_lS5_S3_lS4_T11_S3_li
    .private_segment_fixed_size: 0
    .sgpr_count:     33
    .sgpr_spill_count: 0
    .symbol:         _ZL29rocblas_internal_gemmt_kernelIiLi16ELi32ELi8ELc67ELc78ELc76ELb0ELb0EddPKdPdEviT_T9_T10_S3_lS5_S3_lS4_T11_S3_li.kd
    .uniform_work_group_size: 1
    .uses_dynamic_stack: false
    .vgpr_count:     52
    .vgpr_spill_count: 0
    .wavefront_size: 64
  - .agpr_count:     0
    .args:
      - .offset:         0
        .size:           4
        .value_kind:     by_value
      - .offset:         4
        .size:           4
        .value_kind:     by_value
      - .offset:         8
        .size:           8
        .value_kind:     by_value
      - .address_space:  global
        .offset:         16
        .size:           8
        .value_kind:     global_buffer
      - .offset:         24
        .size:           4
        .value_kind:     by_value
      - .offset:         32
        .size:           8
        .value_kind:     by_value
      - .address_space:  global
        .offset:         40
        .size:           8
        .value_kind:     global_buffer
      - .offset:         48
        .size:           4
        .value_kind:     by_value
      - .offset:         56
        .size:           8
        .value_kind:     by_value
      - .offset:         64
        .size:           8
        .value_kind:     by_value
      - .address_space:  global
        .offset:         72
        .size:           8
        .value_kind:     global_buffer
      - .offset:         80
        .size:           4
        .value_kind:     by_value
      - .offset:         88
        .size:           8
        .value_kind:     by_value
      - .offset:         96
        .size:           4
        .value_kind:     by_value
    .group_segment_fixed_size: 4096
    .kernarg_segment_align: 8
    .kernarg_segment_size: 100
    .language:       OpenCL C
    .language_version:
      - 2
      - 0
    .max_flat_workgroup_size: 256
    .name:           _ZL29rocblas_internal_gemmt_kernelIiLi16ELi32ELi8ELc67ELc84ELc76ELb0ELb0EddPKdPdEviT_T9_T10_S3_lS5_S3_lS4_T11_S3_li
    .private_segment_fixed_size: 0
    .sgpr_count:     34
    .sgpr_spill_count: 0
    .symbol:         _ZL29rocblas_internal_gemmt_kernelIiLi16ELi32ELi8ELc67ELc84ELc76ELb0ELb0EddPKdPdEviT_T9_T10_S3_lS5_S3_lS4_T11_S3_li.kd
    .uniform_work_group_size: 1
    .uses_dynamic_stack: false
    .vgpr_count:     52
    .vgpr_spill_count: 0
    .wavefront_size: 64
  - .agpr_count:     0
    .args:
      - .offset:         0
        .size:           4
        .value_kind:     by_value
      - .offset:         4
        .size:           4
        .value_kind:     by_value
      - .offset:         8
        .size:           8
        .value_kind:     by_value
      - .address_space:  global
        .offset:         16
        .size:           8
        .value_kind:     global_buffer
      - .offset:         24
        .size:           4
        .value_kind:     by_value
      - .offset:         32
        .size:           8
        .value_kind:     by_value
      - .address_space:  global
        .offset:         40
        .size:           8
        .value_kind:     global_buffer
      - .offset:         48
        .size:           4
        .value_kind:     by_value
      - .offset:         56
        .size:           8
        .value_kind:     by_value
      - .offset:         64
        .size:           8
        .value_kind:     by_value
      - .address_space:  global
        .offset:         72
        .size:           8
        .value_kind:     global_buffer
      - .offset:         80
        .size:           4
        .value_kind:     by_value
      - .offset:         88
        .size:           8
        .value_kind:     by_value
      - .offset:         96
        .size:           4
        .value_kind:     by_value
    .group_segment_fixed_size: 4096
    .kernarg_segment_align: 8
    .kernarg_segment_size: 100
    .language:       OpenCL C
    .language_version:
      - 2
      - 0
    .max_flat_workgroup_size: 256
    .name:           _ZL29rocblas_internal_gemmt_kernelIiLi16ELi32ELi8ELc67ELc67ELc76ELb0ELb0EddPKdPdEviT_T9_T10_S3_lS5_S3_lS4_T11_S3_li
    .private_segment_fixed_size: 0
    .sgpr_count:     34
    .sgpr_spill_count: 0
    .symbol:         _ZL29rocblas_internal_gemmt_kernelIiLi16ELi32ELi8ELc67ELc67ELc76ELb0ELb0EddPKdPdEviT_T9_T10_S3_lS5_S3_lS4_T11_S3_li.kd
    .uniform_work_group_size: 1
    .uses_dynamic_stack: false
    .vgpr_count:     52
    .vgpr_spill_count: 0
    .wavefront_size: 64
  - .agpr_count:     0
    .args:
      - .offset:         0
        .size:           4
        .value_kind:     by_value
      - .offset:         4
        .size:           4
        .value_kind:     by_value
      - .address_space:  global
        .offset:         8
        .size:           8
        .value_kind:     global_buffer
      - .address_space:  global
        .offset:         16
        .size:           8
        .value_kind:     global_buffer
      - .offset:         24
        .size:           4
        .value_kind:     by_value
      - .offset:         32
        .size:           8
        .value_kind:     by_value
      - .address_space:  global
        .offset:         40
        .size:           8
        .value_kind:     global_buffer
      - .offset:         48
        .size:           4
        .value_kind:     by_value
      - .offset:         56
        .size:           8
        .value_kind:     by_value
      - .address_space:  global
        .offset:         64
        .size:           8
        .value_kind:     global_buffer
      - .address_space:  global
        .offset:         72
        .size:           8
        .value_kind:     global_buffer
      - .offset:         80
        .size:           4
        .value_kind:     by_value
      - .offset:         88
        .size:           8
        .value_kind:     by_value
      - .offset:         96
        .size:           4
        .value_kind:     by_value
    .group_segment_fixed_size: 4096
    .kernarg_segment_align: 8
    .kernarg_segment_size: 100
    .language:       OpenCL C
    .language_version:
      - 2
      - 0
    .max_flat_workgroup_size: 256
    .name:           _ZL29rocblas_internal_gemmt_kernelIiLi16ELi32ELi8ELc78ELc78ELc85ELb0ELb0E19rocblas_complex_numIfEPKS1_S3_PS1_EviT_T9_T10_S5_lS7_S5_lS6_T11_S5_li
    .private_segment_fixed_size: 0
    .sgpr_count:     37
    .sgpr_spill_count: 0
    .symbol:         _ZL29rocblas_internal_gemmt_kernelIiLi16ELi32ELi8ELc78ELc78ELc85ELb0ELb0E19rocblas_complex_numIfEPKS1_S3_PS1_EviT_T9_T10_S5_lS7_S5_lS6_T11_S5_li.kd
    .uniform_work_group_size: 1
    .uses_dynamic_stack: false
    .vgpr_count:     52
    .vgpr_spill_count: 0
    .wavefront_size: 64
  - .agpr_count:     0
    .args:
      - .offset:         0
        .size:           4
        .value_kind:     by_value
      - .offset:         4
        .size:           4
        .value_kind:     by_value
      - .address_space:  global
        .offset:         8
        .size:           8
        .value_kind:     global_buffer
      - .address_space:  global
        .offset:         16
        .size:           8
        .value_kind:     global_buffer
      - .offset:         24
        .size:           4
        .value_kind:     by_value
      - .offset:         32
        .size:           8
        .value_kind:     by_value
      - .address_space:  global
        .offset:         40
        .size:           8
        .value_kind:     global_buffer
      - .offset:         48
        .size:           4
        .value_kind:     by_value
      - .offset:         56
        .size:           8
        .value_kind:     by_value
      - .address_space:  global
        .offset:         64
        .size:           8
        .value_kind:     global_buffer
      - .address_space:  global
        .offset:         72
        .size:           8
        .value_kind:     global_buffer
      - .offset:         80
        .size:           4
        .value_kind:     by_value
      - .offset:         88
        .size:           8
        .value_kind:     by_value
      - .offset:         96
        .size:           4
        .value_kind:     by_value
    .group_segment_fixed_size: 4096
    .kernarg_segment_align: 8
    .kernarg_segment_size: 100
    .language:       OpenCL C
    .language_version:
      - 2
      - 0
    .max_flat_workgroup_size: 256
    .name:           _ZL29rocblas_internal_gemmt_kernelIiLi16ELi32ELi8ELc78ELc84ELc85ELb0ELb0E19rocblas_complex_numIfEPKS1_S3_PS1_EviT_T9_T10_S5_lS7_S5_lS6_T11_S5_li
    .private_segment_fixed_size: 0
    .sgpr_count:     38
    .sgpr_spill_count: 0
    .symbol:         _ZL29rocblas_internal_gemmt_kernelIiLi16ELi32ELi8ELc78ELc84ELc85ELb0ELb0E19rocblas_complex_numIfEPKS1_S3_PS1_EviT_T9_T10_S5_lS7_S5_lS6_T11_S5_li.kd
    .uniform_work_group_size: 1
    .uses_dynamic_stack: false
    .vgpr_count:     52
    .vgpr_spill_count: 0
    .wavefront_size: 64
  - .agpr_count:     0
    .args:
      - .offset:         0
        .size:           4
        .value_kind:     by_value
      - .offset:         4
        .size:           4
        .value_kind:     by_value
      - .address_space:  global
        .offset:         8
        .size:           8
        .value_kind:     global_buffer
      - .address_space:  global
        .offset:         16
        .size:           8
        .value_kind:     global_buffer
      - .offset:         24
        .size:           4
        .value_kind:     by_value
      - .offset:         32
        .size:           8
        .value_kind:     by_value
      - .address_space:  global
        .offset:         40
        .size:           8
        .value_kind:     global_buffer
      - .offset:         48
        .size:           4
        .value_kind:     by_value
      - .offset:         56
        .size:           8
        .value_kind:     by_value
      - .address_space:  global
        .offset:         64
        .size:           8
        .value_kind:     global_buffer
      - .address_space:  global
        .offset:         72
        .size:           8
        .value_kind:     global_buffer
      - .offset:         80
        .size:           4
        .value_kind:     by_value
      - .offset:         88
        .size:           8
        .value_kind:     by_value
      - .offset:         96
        .size:           4
        .value_kind:     by_value
    .group_segment_fixed_size: 4096
    .kernarg_segment_align: 8
    .kernarg_segment_size: 100
    .language:       OpenCL C
    .language_version:
      - 2
      - 0
    .max_flat_workgroup_size: 256
    .name:           _ZL29rocblas_internal_gemmt_kernelIiLi16ELi32ELi8ELc78ELc67ELc85ELb0ELb1E19rocblas_complex_numIfEPKS1_S3_PS1_EviT_T9_T10_S5_lS7_S5_lS6_T11_S5_li
    .private_segment_fixed_size: 0
    .sgpr_count:     38
    .sgpr_spill_count: 0
    .symbol:         _ZL29rocblas_internal_gemmt_kernelIiLi16ELi32ELi8ELc78ELc67ELc85ELb0ELb1E19rocblas_complex_numIfEPKS1_S3_PS1_EviT_T9_T10_S5_lS7_S5_lS6_T11_S5_li.kd
    .uniform_work_group_size: 1
    .uses_dynamic_stack: false
    .vgpr_count:     54
    .vgpr_spill_count: 0
    .wavefront_size: 64
  - .agpr_count:     0
    .args:
      - .offset:         0
        .size:           4
        .value_kind:     by_value
      - .offset:         4
        .size:           4
        .value_kind:     by_value
      - .address_space:  global
        .offset:         8
        .size:           8
        .value_kind:     global_buffer
      - .address_space:  global
        .offset:         16
        .size:           8
        .value_kind:     global_buffer
      - .offset:         24
        .size:           4
        .value_kind:     by_value
      - .offset:         32
        .size:           8
        .value_kind:     by_value
      - .address_space:  global
        .offset:         40
        .size:           8
        .value_kind:     global_buffer
      - .offset:         48
        .size:           4
        .value_kind:     by_value
      - .offset:         56
        .size:           8
        .value_kind:     by_value
      - .address_space:  global
        .offset:         64
        .size:           8
        .value_kind:     global_buffer
      - .address_space:  global
        .offset:         72
        .size:           8
        .value_kind:     global_buffer
      - .offset:         80
        .size:           4
        .value_kind:     by_value
      - .offset:         88
        .size:           8
        .value_kind:     by_value
      - .offset:         96
        .size:           4
        .value_kind:     by_value
    .group_segment_fixed_size: 4096
    .kernarg_segment_align: 8
    .kernarg_segment_size: 100
    .language:       OpenCL C
    .language_version:
      - 2
      - 0
    .max_flat_workgroup_size: 256
    .name:           _ZL29rocblas_internal_gemmt_kernelIiLi16ELi32ELi8ELc84ELc78ELc85ELb0ELb0E19rocblas_complex_numIfEPKS1_S3_PS1_EviT_T9_T10_S5_lS7_S5_lS6_T11_S5_li
    .private_segment_fixed_size: 0
    .sgpr_count:     35
    .sgpr_spill_count: 0
    .symbol:         _ZL29rocblas_internal_gemmt_kernelIiLi16ELi32ELi8ELc84ELc78ELc85ELb0ELb0E19rocblas_complex_numIfEPKS1_S3_PS1_EviT_T9_T10_S5_lS7_S5_lS6_T11_S5_li.kd
    .uniform_work_group_size: 1
    .uses_dynamic_stack: false
    .vgpr_count:     52
    .vgpr_spill_count: 0
    .wavefront_size: 64
  - .agpr_count:     0
    .args:
      - .offset:         0
        .size:           4
        .value_kind:     by_value
      - .offset:         4
        .size:           4
        .value_kind:     by_value
      - .address_space:  global
        .offset:         8
        .size:           8
        .value_kind:     global_buffer
      - .address_space:  global
        .offset:         16
        .size:           8
        .value_kind:     global_buffer
      - .offset:         24
        .size:           4
        .value_kind:     by_value
      - .offset:         32
        .size:           8
        .value_kind:     by_value
      - .address_space:  global
        .offset:         40
        .size:           8
        .value_kind:     global_buffer
      - .offset:         48
        .size:           4
        .value_kind:     by_value
      - .offset:         56
        .size:           8
        .value_kind:     by_value
      - .address_space:  global
        .offset:         64
        .size:           8
        .value_kind:     global_buffer
      - .address_space:  global
        .offset:         72
        .size:           8
        .value_kind:     global_buffer
      - .offset:         80
        .size:           4
        .value_kind:     by_value
      - .offset:         88
        .size:           8
        .value_kind:     by_value
      - .offset:         96
        .size:           4
        .value_kind:     by_value
    .group_segment_fixed_size: 4096
    .kernarg_segment_align: 8
    .kernarg_segment_size: 100
    .language:       OpenCL C
    .language_version:
      - 2
      - 0
    .max_flat_workgroup_size: 256
    .name:           _ZL29rocblas_internal_gemmt_kernelIiLi16ELi32ELi8ELc84ELc84ELc85ELb0ELb0E19rocblas_complex_numIfEPKS1_S3_PS1_EviT_T9_T10_S5_lS7_S5_lS6_T11_S5_li
    .private_segment_fixed_size: 0
    .sgpr_count:     36
    .sgpr_spill_count: 0
    .symbol:         _ZL29rocblas_internal_gemmt_kernelIiLi16ELi32ELi8ELc84ELc84ELc85ELb0ELb0E19rocblas_complex_numIfEPKS1_S3_PS1_EviT_T9_T10_S5_lS7_S5_lS6_T11_S5_li.kd
    .uniform_work_group_size: 1
    .uses_dynamic_stack: false
    .vgpr_count:     52
    .vgpr_spill_count: 0
    .wavefront_size: 64
  - .agpr_count:     0
    .args:
      - .offset:         0
        .size:           4
        .value_kind:     by_value
      - .offset:         4
        .size:           4
        .value_kind:     by_value
      - .address_space:  global
        .offset:         8
        .size:           8
        .value_kind:     global_buffer
      - .address_space:  global
        .offset:         16
        .size:           8
        .value_kind:     global_buffer
      - .offset:         24
        .size:           4
        .value_kind:     by_value
      - .offset:         32
        .size:           8
        .value_kind:     by_value
      - .address_space:  global
        .offset:         40
        .size:           8
        .value_kind:     global_buffer
      - .offset:         48
        .size:           4
        .value_kind:     by_value
      - .offset:         56
        .size:           8
        .value_kind:     by_value
      - .address_space:  global
        .offset:         64
        .size:           8
        .value_kind:     global_buffer
      - .address_space:  global
        .offset:         72
        .size:           8
        .value_kind:     global_buffer
      - .offset:         80
        .size:           4
        .value_kind:     by_value
      - .offset:         88
        .size:           8
        .value_kind:     by_value
      - .offset:         96
        .size:           4
        .value_kind:     by_value
    .group_segment_fixed_size: 4096
    .kernarg_segment_align: 8
    .kernarg_segment_size: 100
    .language:       OpenCL C
    .language_version:
      - 2
      - 0
    .max_flat_workgroup_size: 256
    .name:           _ZL29rocblas_internal_gemmt_kernelIiLi16ELi32ELi8ELc84ELc67ELc85ELb0ELb1E19rocblas_complex_numIfEPKS1_S3_PS1_EviT_T9_T10_S5_lS7_S5_lS6_T11_S5_li
    .private_segment_fixed_size: 0
    .sgpr_count:     36
    .sgpr_spill_count: 0
    .symbol:         _ZL29rocblas_internal_gemmt_kernelIiLi16ELi32ELi8ELc84ELc67ELc85ELb0ELb1E19rocblas_complex_numIfEPKS1_S3_PS1_EviT_T9_T10_S5_lS7_S5_lS6_T11_S5_li.kd
    .uniform_work_group_size: 1
    .uses_dynamic_stack: false
    .vgpr_count:     54
    .vgpr_spill_count: 0
    .wavefront_size: 64
  - .agpr_count:     0
    .args:
      - .offset:         0
        .size:           4
        .value_kind:     by_value
      - .offset:         4
        .size:           4
        .value_kind:     by_value
      - .address_space:  global
        .offset:         8
        .size:           8
        .value_kind:     global_buffer
      - .address_space:  global
        .offset:         16
        .size:           8
        .value_kind:     global_buffer
      - .offset:         24
        .size:           4
        .value_kind:     by_value
      - .offset:         32
        .size:           8
        .value_kind:     by_value
      - .address_space:  global
        .offset:         40
        .size:           8
        .value_kind:     global_buffer
      - .offset:         48
        .size:           4
        .value_kind:     by_value
      - .offset:         56
        .size:           8
        .value_kind:     by_value
      - .address_space:  global
        .offset:         64
        .size:           8
        .value_kind:     global_buffer
      - .address_space:  global
        .offset:         72
        .size:           8
        .value_kind:     global_buffer
      - .offset:         80
        .size:           4
        .value_kind:     by_value
      - .offset:         88
        .size:           8
        .value_kind:     by_value
      - .offset:         96
        .size:           4
        .value_kind:     by_value
    .group_segment_fixed_size: 4096
    .kernarg_segment_align: 8
    .kernarg_segment_size: 100
    .language:       OpenCL C
    .language_version:
      - 2
      - 0
    .max_flat_workgroup_size: 256
    .name:           _ZL29rocblas_internal_gemmt_kernelIiLi16ELi32ELi8ELc67ELc78ELc85ELb1ELb0E19rocblas_complex_numIfEPKS1_S3_PS1_EviT_T9_T10_S5_lS7_S5_lS6_T11_S5_li
    .private_segment_fixed_size: 0
    .sgpr_count:     35
    .sgpr_spill_count: 0
    .symbol:         _ZL29rocblas_internal_gemmt_kernelIiLi16ELi32ELi8ELc67ELc78ELc85ELb1ELb0E19rocblas_complex_numIfEPKS1_S3_PS1_EviT_T9_T10_S5_lS7_S5_lS6_T11_S5_li.kd
    .uniform_work_group_size: 1
    .uses_dynamic_stack: false
    .vgpr_count:     54
    .vgpr_spill_count: 0
    .wavefront_size: 64
  - .agpr_count:     0
    .args:
      - .offset:         0
        .size:           4
        .value_kind:     by_value
      - .offset:         4
        .size:           4
        .value_kind:     by_value
      - .address_space:  global
        .offset:         8
        .size:           8
        .value_kind:     global_buffer
      - .address_space:  global
        .offset:         16
        .size:           8
        .value_kind:     global_buffer
      - .offset:         24
        .size:           4
        .value_kind:     by_value
      - .offset:         32
        .size:           8
        .value_kind:     by_value
      - .address_space:  global
        .offset:         40
        .size:           8
        .value_kind:     global_buffer
      - .offset:         48
        .size:           4
        .value_kind:     by_value
      - .offset:         56
        .size:           8
        .value_kind:     by_value
      - .address_space:  global
        .offset:         64
        .size:           8
        .value_kind:     global_buffer
      - .address_space:  global
        .offset:         72
        .size:           8
        .value_kind:     global_buffer
      - .offset:         80
        .size:           4
        .value_kind:     by_value
      - .offset:         88
        .size:           8
        .value_kind:     by_value
      - .offset:         96
        .size:           4
        .value_kind:     by_value
    .group_segment_fixed_size: 4096
    .kernarg_segment_align: 8
    .kernarg_segment_size: 100
    .language:       OpenCL C
    .language_version:
      - 2
      - 0
    .max_flat_workgroup_size: 256
    .name:           _ZL29rocblas_internal_gemmt_kernelIiLi16ELi32ELi8ELc67ELc84ELc85ELb1ELb0E19rocblas_complex_numIfEPKS1_S3_PS1_EviT_T9_T10_S5_lS7_S5_lS6_T11_S5_li
    .private_segment_fixed_size: 0
    .sgpr_count:     36
    .sgpr_spill_count: 0
    .symbol:         _ZL29rocblas_internal_gemmt_kernelIiLi16ELi32ELi8ELc67ELc84ELc85ELb1ELb0E19rocblas_complex_numIfEPKS1_S3_PS1_EviT_T9_T10_S5_lS7_S5_lS6_T11_S5_li.kd
    .uniform_work_group_size: 1
    .uses_dynamic_stack: false
    .vgpr_count:     54
    .vgpr_spill_count: 0
    .wavefront_size: 64
  - .agpr_count:     0
    .args:
      - .offset:         0
        .size:           4
        .value_kind:     by_value
      - .offset:         4
        .size:           4
        .value_kind:     by_value
      - .address_space:  global
        .offset:         8
        .size:           8
        .value_kind:     global_buffer
      - .address_space:  global
        .offset:         16
        .size:           8
        .value_kind:     global_buffer
      - .offset:         24
        .size:           4
        .value_kind:     by_value
      - .offset:         32
        .size:           8
        .value_kind:     by_value
      - .address_space:  global
        .offset:         40
        .size:           8
        .value_kind:     global_buffer
      - .offset:         48
        .size:           4
        .value_kind:     by_value
      - .offset:         56
        .size:           8
        .value_kind:     by_value
      - .address_space:  global
        .offset:         64
        .size:           8
        .value_kind:     global_buffer
      - .address_space:  global
        .offset:         72
        .size:           8
        .value_kind:     global_buffer
      - .offset:         80
        .size:           4
        .value_kind:     by_value
      - .offset:         88
        .size:           8
        .value_kind:     by_value
      - .offset:         96
        .size:           4
        .value_kind:     by_value
    .group_segment_fixed_size: 4096
    .kernarg_segment_align: 8
    .kernarg_segment_size: 100
    .language:       OpenCL C
    .language_version:
      - 2
      - 0
    .max_flat_workgroup_size: 256
    .name:           _ZL29rocblas_internal_gemmt_kernelIiLi16ELi32ELi8ELc67ELc67ELc85ELb1ELb1E19rocblas_complex_numIfEPKS1_S3_PS1_EviT_T9_T10_S5_lS7_S5_lS6_T11_S5_li
    .private_segment_fixed_size: 0
    .sgpr_count:     36
    .sgpr_spill_count: 0
    .symbol:         _ZL29rocblas_internal_gemmt_kernelIiLi16ELi32ELi8ELc67ELc67ELc85ELb1ELb1E19rocblas_complex_numIfEPKS1_S3_PS1_EviT_T9_T10_S5_lS7_S5_lS6_T11_S5_li.kd
    .uniform_work_group_size: 1
    .uses_dynamic_stack: false
    .vgpr_count:     54
    .vgpr_spill_count: 0
    .wavefront_size: 64
  - .agpr_count:     0
    .args:
      - .offset:         0
        .size:           4
        .value_kind:     by_value
      - .offset:         4
        .size:           4
        .value_kind:     by_value
      - .address_space:  global
        .offset:         8
        .size:           8
        .value_kind:     global_buffer
      - .address_space:  global
        .offset:         16
        .size:           8
        .value_kind:     global_buffer
      - .offset:         24
        .size:           4
        .value_kind:     by_value
      - .offset:         32
        .size:           8
        .value_kind:     by_value
      - .address_space:  global
        .offset:         40
        .size:           8
        .value_kind:     global_buffer
      - .offset:         48
        .size:           4
        .value_kind:     by_value
      - .offset:         56
        .size:           8
        .value_kind:     by_value
      - .address_space:  global
        .offset:         64
        .size:           8
        .value_kind:     global_buffer
      - .address_space:  global
        .offset:         72
        .size:           8
        .value_kind:     global_buffer
      - .offset:         80
        .size:           4
        .value_kind:     by_value
      - .offset:         88
        .size:           8
        .value_kind:     by_value
      - .offset:         96
        .size:           4
        .value_kind:     by_value
    .group_segment_fixed_size: 4096
    .kernarg_segment_align: 8
    .kernarg_segment_size: 100
    .language:       OpenCL C
    .language_version:
      - 2
      - 0
    .max_flat_workgroup_size: 256
    .name:           _ZL29rocblas_internal_gemmt_kernelIiLi16ELi32ELi8ELc78ELc78ELc76ELb0ELb0E19rocblas_complex_numIfEPKS1_S3_PS1_EviT_T9_T10_S5_lS7_S5_lS6_T11_S5_li
    .private_segment_fixed_size: 0
    .sgpr_count:     37
    .sgpr_spill_count: 0
    .symbol:         _ZL29rocblas_internal_gemmt_kernelIiLi16ELi32ELi8ELc78ELc78ELc76ELb0ELb0E19rocblas_complex_numIfEPKS1_S3_PS1_EviT_T9_T10_S5_lS7_S5_lS6_T11_S5_li.kd
    .uniform_work_group_size: 1
    .uses_dynamic_stack: false
    .vgpr_count:     52
    .vgpr_spill_count: 0
    .wavefront_size: 64
  - .agpr_count:     0
    .args:
      - .offset:         0
        .size:           4
        .value_kind:     by_value
      - .offset:         4
        .size:           4
        .value_kind:     by_value
      - .address_space:  global
        .offset:         8
        .size:           8
        .value_kind:     global_buffer
      - .address_space:  global
        .offset:         16
        .size:           8
        .value_kind:     global_buffer
      - .offset:         24
        .size:           4
        .value_kind:     by_value
      - .offset:         32
        .size:           8
        .value_kind:     by_value
      - .address_space:  global
        .offset:         40
        .size:           8
        .value_kind:     global_buffer
      - .offset:         48
        .size:           4
        .value_kind:     by_value
      - .offset:         56
        .size:           8
        .value_kind:     by_value
      - .address_space:  global
        .offset:         64
        .size:           8
        .value_kind:     global_buffer
      - .address_space:  global
        .offset:         72
        .size:           8
        .value_kind:     global_buffer
      - .offset:         80
        .size:           4
        .value_kind:     by_value
      - .offset:         88
        .size:           8
        .value_kind:     by_value
      - .offset:         96
        .size:           4
        .value_kind:     by_value
    .group_segment_fixed_size: 4096
    .kernarg_segment_align: 8
    .kernarg_segment_size: 100
    .language:       OpenCL C
    .language_version:
      - 2
      - 0
    .max_flat_workgroup_size: 256
    .name:           _ZL29rocblas_internal_gemmt_kernelIiLi16ELi32ELi8ELc78ELc84ELc76ELb0ELb0E19rocblas_complex_numIfEPKS1_S3_PS1_EviT_T9_T10_S5_lS7_S5_lS6_T11_S5_li
    .private_segment_fixed_size: 0
    .sgpr_count:     38
    .sgpr_spill_count: 0
    .symbol:         _ZL29rocblas_internal_gemmt_kernelIiLi16ELi32ELi8ELc78ELc84ELc76ELb0ELb0E19rocblas_complex_numIfEPKS1_S3_PS1_EviT_T9_T10_S5_lS7_S5_lS6_T11_S5_li.kd
    .uniform_work_group_size: 1
    .uses_dynamic_stack: false
    .vgpr_count:     52
    .vgpr_spill_count: 0
    .wavefront_size: 64
  - .agpr_count:     0
    .args:
      - .offset:         0
        .size:           4
        .value_kind:     by_value
      - .offset:         4
        .size:           4
        .value_kind:     by_value
      - .address_space:  global
        .offset:         8
        .size:           8
        .value_kind:     global_buffer
      - .address_space:  global
        .offset:         16
        .size:           8
        .value_kind:     global_buffer
      - .offset:         24
        .size:           4
        .value_kind:     by_value
      - .offset:         32
        .size:           8
        .value_kind:     by_value
      - .address_space:  global
        .offset:         40
        .size:           8
        .value_kind:     global_buffer
      - .offset:         48
        .size:           4
        .value_kind:     by_value
      - .offset:         56
        .size:           8
        .value_kind:     by_value
      - .address_space:  global
        .offset:         64
        .size:           8
        .value_kind:     global_buffer
      - .address_space:  global
        .offset:         72
        .size:           8
        .value_kind:     global_buffer
      - .offset:         80
        .size:           4
        .value_kind:     by_value
      - .offset:         88
        .size:           8
        .value_kind:     by_value
      - .offset:         96
        .size:           4
        .value_kind:     by_value
    .group_segment_fixed_size: 4096
    .kernarg_segment_align: 8
    .kernarg_segment_size: 100
    .language:       OpenCL C
    .language_version:
      - 2
      - 0
    .max_flat_workgroup_size: 256
    .name:           _ZL29rocblas_internal_gemmt_kernelIiLi16ELi32ELi8ELc78ELc67ELc76ELb0ELb1E19rocblas_complex_numIfEPKS1_S3_PS1_EviT_T9_T10_S5_lS7_S5_lS6_T11_S5_li
    .private_segment_fixed_size: 0
    .sgpr_count:     38
    .sgpr_spill_count: 0
    .symbol:         _ZL29rocblas_internal_gemmt_kernelIiLi16ELi32ELi8ELc78ELc67ELc76ELb0ELb1E19rocblas_complex_numIfEPKS1_S3_PS1_EviT_T9_T10_S5_lS7_S5_lS6_T11_S5_li.kd
    .uniform_work_group_size: 1
    .uses_dynamic_stack: false
    .vgpr_count:     54
    .vgpr_spill_count: 0
    .wavefront_size: 64
  - .agpr_count:     0
    .args:
      - .offset:         0
        .size:           4
        .value_kind:     by_value
      - .offset:         4
        .size:           4
        .value_kind:     by_value
      - .address_space:  global
        .offset:         8
        .size:           8
        .value_kind:     global_buffer
      - .address_space:  global
        .offset:         16
        .size:           8
        .value_kind:     global_buffer
      - .offset:         24
        .size:           4
        .value_kind:     by_value
      - .offset:         32
        .size:           8
        .value_kind:     by_value
      - .address_space:  global
        .offset:         40
        .size:           8
        .value_kind:     global_buffer
      - .offset:         48
        .size:           4
        .value_kind:     by_value
      - .offset:         56
        .size:           8
        .value_kind:     by_value
      - .address_space:  global
        .offset:         64
        .size:           8
        .value_kind:     global_buffer
      - .address_space:  global
        .offset:         72
        .size:           8
        .value_kind:     global_buffer
      - .offset:         80
        .size:           4
        .value_kind:     by_value
      - .offset:         88
        .size:           8
        .value_kind:     by_value
      - .offset:         96
        .size:           4
        .value_kind:     by_value
    .group_segment_fixed_size: 4096
    .kernarg_segment_align: 8
    .kernarg_segment_size: 100
    .language:       OpenCL C
    .language_version:
      - 2
      - 0
    .max_flat_workgroup_size: 256
    .name:           _ZL29rocblas_internal_gemmt_kernelIiLi16ELi32ELi8ELc84ELc78ELc76ELb0ELb0E19rocblas_complex_numIfEPKS1_S3_PS1_EviT_T9_T10_S5_lS7_S5_lS6_T11_S5_li
    .private_segment_fixed_size: 0
    .sgpr_count:     35
    .sgpr_spill_count: 0
    .symbol:         _ZL29rocblas_internal_gemmt_kernelIiLi16ELi32ELi8ELc84ELc78ELc76ELb0ELb0E19rocblas_complex_numIfEPKS1_S3_PS1_EviT_T9_T10_S5_lS7_S5_lS6_T11_S5_li.kd
    .uniform_work_group_size: 1
    .uses_dynamic_stack: false
    .vgpr_count:     52
    .vgpr_spill_count: 0
    .wavefront_size: 64
  - .agpr_count:     0
    .args:
      - .offset:         0
        .size:           4
        .value_kind:     by_value
      - .offset:         4
        .size:           4
        .value_kind:     by_value
      - .address_space:  global
        .offset:         8
        .size:           8
        .value_kind:     global_buffer
      - .address_space:  global
        .offset:         16
        .size:           8
        .value_kind:     global_buffer
      - .offset:         24
        .size:           4
        .value_kind:     by_value
      - .offset:         32
        .size:           8
        .value_kind:     by_value
      - .address_space:  global
        .offset:         40
        .size:           8
        .value_kind:     global_buffer
      - .offset:         48
        .size:           4
        .value_kind:     by_value
      - .offset:         56
        .size:           8
        .value_kind:     by_value
      - .address_space:  global
        .offset:         64
        .size:           8
        .value_kind:     global_buffer
      - .address_space:  global
        .offset:         72
        .size:           8
        .value_kind:     global_buffer
      - .offset:         80
        .size:           4
        .value_kind:     by_value
      - .offset:         88
        .size:           8
        .value_kind:     by_value
      - .offset:         96
        .size:           4
        .value_kind:     by_value
    .group_segment_fixed_size: 4096
    .kernarg_segment_align: 8
    .kernarg_segment_size: 100
    .language:       OpenCL C
    .language_version:
      - 2
      - 0
    .max_flat_workgroup_size: 256
    .name:           _ZL29rocblas_internal_gemmt_kernelIiLi16ELi32ELi8ELc84ELc84ELc76ELb0ELb0E19rocblas_complex_numIfEPKS1_S3_PS1_EviT_T9_T10_S5_lS7_S5_lS6_T11_S5_li
    .private_segment_fixed_size: 0
    .sgpr_count:     36
    .sgpr_spill_count: 0
    .symbol:         _ZL29rocblas_internal_gemmt_kernelIiLi16ELi32ELi8ELc84ELc84ELc76ELb0ELb0E19rocblas_complex_numIfEPKS1_S3_PS1_EviT_T9_T10_S5_lS7_S5_lS6_T11_S5_li.kd
    .uniform_work_group_size: 1
    .uses_dynamic_stack: false
    .vgpr_count:     52
    .vgpr_spill_count: 0
    .wavefront_size: 64
  - .agpr_count:     0
    .args:
      - .offset:         0
        .size:           4
        .value_kind:     by_value
      - .offset:         4
        .size:           4
        .value_kind:     by_value
      - .address_space:  global
        .offset:         8
        .size:           8
        .value_kind:     global_buffer
      - .address_space:  global
        .offset:         16
        .size:           8
        .value_kind:     global_buffer
      - .offset:         24
        .size:           4
        .value_kind:     by_value
      - .offset:         32
        .size:           8
        .value_kind:     by_value
      - .address_space:  global
        .offset:         40
        .size:           8
        .value_kind:     global_buffer
      - .offset:         48
        .size:           4
        .value_kind:     by_value
      - .offset:         56
        .size:           8
        .value_kind:     by_value
      - .address_space:  global
        .offset:         64
        .size:           8
        .value_kind:     global_buffer
      - .address_space:  global
        .offset:         72
        .size:           8
        .value_kind:     global_buffer
      - .offset:         80
        .size:           4
        .value_kind:     by_value
      - .offset:         88
        .size:           8
        .value_kind:     by_value
      - .offset:         96
        .size:           4
        .value_kind:     by_value
    .group_segment_fixed_size: 4096
    .kernarg_segment_align: 8
    .kernarg_segment_size: 100
    .language:       OpenCL C
    .language_version:
      - 2
      - 0
    .max_flat_workgroup_size: 256
    .name:           _ZL29rocblas_internal_gemmt_kernelIiLi16ELi32ELi8ELc84ELc67ELc76ELb0ELb1E19rocblas_complex_numIfEPKS1_S3_PS1_EviT_T9_T10_S5_lS7_S5_lS6_T11_S5_li
    .private_segment_fixed_size: 0
    .sgpr_count:     36
    .sgpr_spill_count: 0
    .symbol:         _ZL29rocblas_internal_gemmt_kernelIiLi16ELi32ELi8ELc84ELc67ELc76ELb0ELb1E19rocblas_complex_numIfEPKS1_S3_PS1_EviT_T9_T10_S5_lS7_S5_lS6_T11_S5_li.kd
    .uniform_work_group_size: 1
    .uses_dynamic_stack: false
    .vgpr_count:     54
    .vgpr_spill_count: 0
    .wavefront_size: 64
  - .agpr_count:     0
    .args:
      - .offset:         0
        .size:           4
        .value_kind:     by_value
      - .offset:         4
        .size:           4
        .value_kind:     by_value
      - .address_space:  global
        .offset:         8
        .size:           8
        .value_kind:     global_buffer
      - .address_space:  global
        .offset:         16
        .size:           8
        .value_kind:     global_buffer
      - .offset:         24
        .size:           4
        .value_kind:     by_value
      - .offset:         32
        .size:           8
        .value_kind:     by_value
      - .address_space:  global
        .offset:         40
        .size:           8
        .value_kind:     global_buffer
      - .offset:         48
        .size:           4
        .value_kind:     by_value
      - .offset:         56
        .size:           8
        .value_kind:     by_value
      - .address_space:  global
        .offset:         64
        .size:           8
        .value_kind:     global_buffer
      - .address_space:  global
        .offset:         72
        .size:           8
        .value_kind:     global_buffer
      - .offset:         80
        .size:           4
        .value_kind:     by_value
      - .offset:         88
        .size:           8
        .value_kind:     by_value
      - .offset:         96
        .size:           4
        .value_kind:     by_value
    .group_segment_fixed_size: 4096
    .kernarg_segment_align: 8
    .kernarg_segment_size: 100
    .language:       OpenCL C
    .language_version:
      - 2
      - 0
    .max_flat_workgroup_size: 256
    .name:           _ZL29rocblas_internal_gemmt_kernelIiLi16ELi32ELi8ELc67ELc78ELc76ELb1ELb0E19rocblas_complex_numIfEPKS1_S3_PS1_EviT_T9_T10_S5_lS7_S5_lS6_T11_S5_li
    .private_segment_fixed_size: 0
    .sgpr_count:     35
    .sgpr_spill_count: 0
    .symbol:         _ZL29rocblas_internal_gemmt_kernelIiLi16ELi32ELi8ELc67ELc78ELc76ELb1ELb0E19rocblas_complex_numIfEPKS1_S3_PS1_EviT_T9_T10_S5_lS7_S5_lS6_T11_S5_li.kd
    .uniform_work_group_size: 1
    .uses_dynamic_stack: false
    .vgpr_count:     54
    .vgpr_spill_count: 0
    .wavefront_size: 64
  - .agpr_count:     0
    .args:
      - .offset:         0
        .size:           4
        .value_kind:     by_value
      - .offset:         4
        .size:           4
        .value_kind:     by_value
      - .address_space:  global
        .offset:         8
        .size:           8
        .value_kind:     global_buffer
      - .address_space:  global
        .offset:         16
        .size:           8
        .value_kind:     global_buffer
      - .offset:         24
        .size:           4
        .value_kind:     by_value
      - .offset:         32
        .size:           8
        .value_kind:     by_value
      - .address_space:  global
        .offset:         40
        .size:           8
        .value_kind:     global_buffer
      - .offset:         48
        .size:           4
        .value_kind:     by_value
      - .offset:         56
        .size:           8
        .value_kind:     by_value
      - .address_space:  global
        .offset:         64
        .size:           8
        .value_kind:     global_buffer
      - .address_space:  global
        .offset:         72
        .size:           8
        .value_kind:     global_buffer
      - .offset:         80
        .size:           4
        .value_kind:     by_value
      - .offset:         88
        .size:           8
        .value_kind:     by_value
      - .offset:         96
        .size:           4
        .value_kind:     by_value
    .group_segment_fixed_size: 4096
    .kernarg_segment_align: 8
    .kernarg_segment_size: 100
    .language:       OpenCL C
    .language_version:
      - 2
      - 0
    .max_flat_workgroup_size: 256
    .name:           _ZL29rocblas_internal_gemmt_kernelIiLi16ELi32ELi8ELc67ELc84ELc76ELb1ELb0E19rocblas_complex_numIfEPKS1_S3_PS1_EviT_T9_T10_S5_lS7_S5_lS6_T11_S5_li
    .private_segment_fixed_size: 0
    .sgpr_count:     36
    .sgpr_spill_count: 0
    .symbol:         _ZL29rocblas_internal_gemmt_kernelIiLi16ELi32ELi8ELc67ELc84ELc76ELb1ELb0E19rocblas_complex_numIfEPKS1_S3_PS1_EviT_T9_T10_S5_lS7_S5_lS6_T11_S5_li.kd
    .uniform_work_group_size: 1
    .uses_dynamic_stack: false
    .vgpr_count:     54
    .vgpr_spill_count: 0
    .wavefront_size: 64
  - .agpr_count:     0
    .args:
      - .offset:         0
        .size:           4
        .value_kind:     by_value
      - .offset:         4
        .size:           4
        .value_kind:     by_value
      - .address_space:  global
        .offset:         8
        .size:           8
        .value_kind:     global_buffer
      - .address_space:  global
        .offset:         16
        .size:           8
        .value_kind:     global_buffer
      - .offset:         24
        .size:           4
        .value_kind:     by_value
      - .offset:         32
        .size:           8
        .value_kind:     by_value
      - .address_space:  global
        .offset:         40
        .size:           8
        .value_kind:     global_buffer
      - .offset:         48
        .size:           4
        .value_kind:     by_value
      - .offset:         56
        .size:           8
        .value_kind:     by_value
      - .address_space:  global
        .offset:         64
        .size:           8
        .value_kind:     global_buffer
      - .address_space:  global
        .offset:         72
        .size:           8
        .value_kind:     global_buffer
      - .offset:         80
        .size:           4
        .value_kind:     by_value
      - .offset:         88
        .size:           8
        .value_kind:     by_value
      - .offset:         96
        .size:           4
        .value_kind:     by_value
    .group_segment_fixed_size: 4096
    .kernarg_segment_align: 8
    .kernarg_segment_size: 100
    .language:       OpenCL C
    .language_version:
      - 2
      - 0
    .max_flat_workgroup_size: 256
    .name:           _ZL29rocblas_internal_gemmt_kernelIiLi16ELi32ELi8ELc67ELc67ELc76ELb1ELb1E19rocblas_complex_numIfEPKS1_S3_PS1_EviT_T9_T10_S5_lS7_S5_lS6_T11_S5_li
    .private_segment_fixed_size: 0
    .sgpr_count:     36
    .sgpr_spill_count: 0
    .symbol:         _ZL29rocblas_internal_gemmt_kernelIiLi16ELi32ELi8ELc67ELc67ELc76ELb1ELb1E19rocblas_complex_numIfEPKS1_S3_PS1_EviT_T9_T10_S5_lS7_S5_lS6_T11_S5_li.kd
    .uniform_work_group_size: 1
    .uses_dynamic_stack: false
    .vgpr_count:     54
    .vgpr_spill_count: 0
    .wavefront_size: 64
  - .agpr_count:     0
    .args:
      - .offset:         0
        .size:           4
        .value_kind:     by_value
      - .offset:         4
        .size:           4
        .value_kind:     by_value
      - .offset:         8
        .size:           8
        .value_kind:     by_value
      - .address_space:  global
        .offset:         16
        .size:           8
        .value_kind:     global_buffer
      - .offset:         24
        .size:           4
        .value_kind:     by_value
      - .offset:         32
        .size:           8
        .value_kind:     by_value
      - .address_space:  global
        .offset:         40
        .size:           8
        .value_kind:     global_buffer
      - .offset:         48
        .size:           4
        .value_kind:     by_value
      - .offset:         56
        .size:           8
        .value_kind:     by_value
      - .offset:         64
        .size:           8
        .value_kind:     by_value
      - .address_space:  global
        .offset:         72
        .size:           8
        .value_kind:     global_buffer
      - .offset:         80
        .size:           4
        .value_kind:     by_value
      - .offset:         88
        .size:           8
        .value_kind:     by_value
      - .offset:         96
        .size:           4
        .value_kind:     by_value
    .group_segment_fixed_size: 4096
    .kernarg_segment_align: 8
    .kernarg_segment_size: 100
    .language:       OpenCL C
    .language_version:
      - 2
      - 0
    .max_flat_workgroup_size: 256
    .name:           _ZL29rocblas_internal_gemmt_kernelIiLi16ELi32ELi8ELc78ELc78ELc85ELb0ELb0E19rocblas_complex_numIfES1_PKS1_PS1_EviT_T9_T10_S5_lS7_S5_lS6_T11_S5_li
    .private_segment_fixed_size: 0
    .sgpr_count:     35
    .sgpr_spill_count: 0
    .symbol:         _ZL29rocblas_internal_gemmt_kernelIiLi16ELi32ELi8ELc78ELc78ELc85ELb0ELb0E19rocblas_complex_numIfES1_PKS1_PS1_EviT_T9_T10_S5_lS7_S5_lS6_T11_S5_li.kd
    .uniform_work_group_size: 1
    .uses_dynamic_stack: false
    .vgpr_count:     52
    .vgpr_spill_count: 0
    .wavefront_size: 64
  - .agpr_count:     0
    .args:
      - .offset:         0
        .size:           4
        .value_kind:     by_value
      - .offset:         4
        .size:           4
        .value_kind:     by_value
      - .offset:         8
        .size:           8
        .value_kind:     by_value
      - .address_space:  global
        .offset:         16
        .size:           8
        .value_kind:     global_buffer
      - .offset:         24
        .size:           4
        .value_kind:     by_value
      - .offset:         32
        .size:           8
        .value_kind:     by_value
      - .address_space:  global
        .offset:         40
        .size:           8
        .value_kind:     global_buffer
      - .offset:         48
        .size:           4
        .value_kind:     by_value
      - .offset:         56
        .size:           8
        .value_kind:     by_value
      - .offset:         64
        .size:           8
        .value_kind:     by_value
      - .address_space:  global
        .offset:         72
        .size:           8
        .value_kind:     global_buffer
      - .offset:         80
        .size:           4
        .value_kind:     by_value
      - .offset:         88
        .size:           8
        .value_kind:     by_value
      - .offset:         96
        .size:           4
        .value_kind:     by_value
    .group_segment_fixed_size: 4096
    .kernarg_segment_align: 8
    .kernarg_segment_size: 100
    .language:       OpenCL C
    .language_version:
      - 2
      - 0
    .max_flat_workgroup_size: 256
    .name:           _ZL29rocblas_internal_gemmt_kernelIiLi16ELi32ELi8ELc78ELc84ELc85ELb0ELb0E19rocblas_complex_numIfES1_PKS1_PS1_EviT_T9_T10_S5_lS7_S5_lS6_T11_S5_li
    .private_segment_fixed_size: 0
    .sgpr_count:     36
    .sgpr_spill_count: 0
    .symbol:         _ZL29rocblas_internal_gemmt_kernelIiLi16ELi32ELi8ELc78ELc84ELc85ELb0ELb0E19rocblas_complex_numIfES1_PKS1_PS1_EviT_T9_T10_S5_lS7_S5_lS6_T11_S5_li.kd
    .uniform_work_group_size: 1
    .uses_dynamic_stack: false
    .vgpr_count:     52
    .vgpr_spill_count: 0
    .wavefront_size: 64
  - .agpr_count:     0
    .args:
      - .offset:         0
        .size:           4
        .value_kind:     by_value
      - .offset:         4
        .size:           4
        .value_kind:     by_value
      - .offset:         8
        .size:           8
        .value_kind:     by_value
      - .address_space:  global
        .offset:         16
        .size:           8
        .value_kind:     global_buffer
      - .offset:         24
        .size:           4
        .value_kind:     by_value
      - .offset:         32
        .size:           8
        .value_kind:     by_value
      - .address_space:  global
        .offset:         40
        .size:           8
        .value_kind:     global_buffer
      - .offset:         48
        .size:           4
        .value_kind:     by_value
      - .offset:         56
        .size:           8
        .value_kind:     by_value
      - .offset:         64
        .size:           8
        .value_kind:     by_value
      - .address_space:  global
        .offset:         72
        .size:           8
        .value_kind:     global_buffer
      - .offset:         80
        .size:           4
        .value_kind:     by_value
      - .offset:         88
        .size:           8
        .value_kind:     by_value
      - .offset:         96
        .size:           4
        .value_kind:     by_value
    .group_segment_fixed_size: 4096
    .kernarg_segment_align: 8
    .kernarg_segment_size: 100
    .language:       OpenCL C
    .language_version:
      - 2
      - 0
    .max_flat_workgroup_size: 256
    .name:           _ZL29rocblas_internal_gemmt_kernelIiLi16ELi32ELi8ELc78ELc67ELc85ELb0ELb1E19rocblas_complex_numIfES1_PKS1_PS1_EviT_T9_T10_S5_lS7_S5_lS6_T11_S5_li
    .private_segment_fixed_size: 0
    .sgpr_count:     36
    .sgpr_spill_count: 0
    .symbol:         _ZL29rocblas_internal_gemmt_kernelIiLi16ELi32ELi8ELc78ELc67ELc85ELb0ELb1E19rocblas_complex_numIfES1_PKS1_PS1_EviT_T9_T10_S5_lS7_S5_lS6_T11_S5_li.kd
    .uniform_work_group_size: 1
    .uses_dynamic_stack: false
    .vgpr_count:     54
    .vgpr_spill_count: 0
    .wavefront_size: 64
  - .agpr_count:     0
    .args:
      - .offset:         0
        .size:           4
        .value_kind:     by_value
      - .offset:         4
        .size:           4
        .value_kind:     by_value
      - .offset:         8
        .size:           8
        .value_kind:     by_value
      - .address_space:  global
        .offset:         16
        .size:           8
        .value_kind:     global_buffer
      - .offset:         24
        .size:           4
        .value_kind:     by_value
      - .offset:         32
        .size:           8
        .value_kind:     by_value
      - .address_space:  global
        .offset:         40
        .size:           8
        .value_kind:     global_buffer
      - .offset:         48
        .size:           4
        .value_kind:     by_value
      - .offset:         56
        .size:           8
        .value_kind:     by_value
      - .offset:         64
        .size:           8
        .value_kind:     by_value
      - .address_space:  global
        .offset:         72
        .size:           8
        .value_kind:     global_buffer
      - .offset:         80
        .size:           4
        .value_kind:     by_value
      - .offset:         88
        .size:           8
        .value_kind:     by_value
      - .offset:         96
        .size:           4
        .value_kind:     by_value
    .group_segment_fixed_size: 4096
    .kernarg_segment_align: 8
    .kernarg_segment_size: 100
    .language:       OpenCL C
    .language_version:
      - 2
      - 0
    .max_flat_workgroup_size: 256
    .name:           _ZL29rocblas_internal_gemmt_kernelIiLi16ELi32ELi8ELc84ELc78ELc85ELb0ELb0E19rocblas_complex_numIfES1_PKS1_PS1_EviT_T9_T10_S5_lS7_S5_lS6_T11_S5_li
    .private_segment_fixed_size: 0
    .sgpr_count:     33
    .sgpr_spill_count: 0
    .symbol:         _ZL29rocblas_internal_gemmt_kernelIiLi16ELi32ELi8ELc84ELc78ELc85ELb0ELb0E19rocblas_complex_numIfES1_PKS1_PS1_EviT_T9_T10_S5_lS7_S5_lS6_T11_S5_li.kd
    .uniform_work_group_size: 1
    .uses_dynamic_stack: false
    .vgpr_count:     52
    .vgpr_spill_count: 0
    .wavefront_size: 64
  - .agpr_count:     0
    .args:
      - .offset:         0
        .size:           4
        .value_kind:     by_value
      - .offset:         4
        .size:           4
        .value_kind:     by_value
      - .offset:         8
        .size:           8
        .value_kind:     by_value
      - .address_space:  global
        .offset:         16
        .size:           8
        .value_kind:     global_buffer
      - .offset:         24
        .size:           4
        .value_kind:     by_value
      - .offset:         32
        .size:           8
        .value_kind:     by_value
      - .address_space:  global
        .offset:         40
        .size:           8
        .value_kind:     global_buffer
      - .offset:         48
        .size:           4
        .value_kind:     by_value
      - .offset:         56
        .size:           8
        .value_kind:     by_value
      - .offset:         64
        .size:           8
        .value_kind:     by_value
      - .address_space:  global
        .offset:         72
        .size:           8
        .value_kind:     global_buffer
      - .offset:         80
        .size:           4
        .value_kind:     by_value
      - .offset:         88
        .size:           8
        .value_kind:     by_value
      - .offset:         96
        .size:           4
        .value_kind:     by_value
    .group_segment_fixed_size: 4096
    .kernarg_segment_align: 8
    .kernarg_segment_size: 100
    .language:       OpenCL C
    .language_version:
      - 2
      - 0
    .max_flat_workgroup_size: 256
    .name:           _ZL29rocblas_internal_gemmt_kernelIiLi16ELi32ELi8ELc84ELc84ELc85ELb0ELb0E19rocblas_complex_numIfES1_PKS1_PS1_EviT_T9_T10_S5_lS7_S5_lS6_T11_S5_li
    .private_segment_fixed_size: 0
    .sgpr_count:     34
    .sgpr_spill_count: 0
    .symbol:         _ZL29rocblas_internal_gemmt_kernelIiLi16ELi32ELi8ELc84ELc84ELc85ELb0ELb0E19rocblas_complex_numIfES1_PKS1_PS1_EviT_T9_T10_S5_lS7_S5_lS6_T11_S5_li.kd
    .uniform_work_group_size: 1
    .uses_dynamic_stack: false
    .vgpr_count:     52
    .vgpr_spill_count: 0
    .wavefront_size: 64
  - .agpr_count:     0
    .args:
      - .offset:         0
        .size:           4
        .value_kind:     by_value
      - .offset:         4
        .size:           4
        .value_kind:     by_value
      - .offset:         8
        .size:           8
        .value_kind:     by_value
      - .address_space:  global
        .offset:         16
        .size:           8
        .value_kind:     global_buffer
      - .offset:         24
        .size:           4
        .value_kind:     by_value
      - .offset:         32
        .size:           8
        .value_kind:     by_value
      - .address_space:  global
        .offset:         40
        .size:           8
        .value_kind:     global_buffer
      - .offset:         48
        .size:           4
        .value_kind:     by_value
      - .offset:         56
        .size:           8
        .value_kind:     by_value
      - .offset:         64
        .size:           8
        .value_kind:     by_value
      - .address_space:  global
        .offset:         72
        .size:           8
        .value_kind:     global_buffer
      - .offset:         80
        .size:           4
        .value_kind:     by_value
      - .offset:         88
        .size:           8
        .value_kind:     by_value
      - .offset:         96
        .size:           4
        .value_kind:     by_value
    .group_segment_fixed_size: 4096
    .kernarg_segment_align: 8
    .kernarg_segment_size: 100
    .language:       OpenCL C
    .language_version:
      - 2
      - 0
    .max_flat_workgroup_size: 256
    .name:           _ZL29rocblas_internal_gemmt_kernelIiLi16ELi32ELi8ELc84ELc67ELc85ELb0ELb1E19rocblas_complex_numIfES1_PKS1_PS1_EviT_T9_T10_S5_lS7_S5_lS6_T11_S5_li
    .private_segment_fixed_size: 0
    .sgpr_count:     34
    .sgpr_spill_count: 0
    .symbol:         _ZL29rocblas_internal_gemmt_kernelIiLi16ELi32ELi8ELc84ELc67ELc85ELb0ELb1E19rocblas_complex_numIfES1_PKS1_PS1_EviT_T9_T10_S5_lS7_S5_lS6_T11_S5_li.kd
    .uniform_work_group_size: 1
    .uses_dynamic_stack: false
    .vgpr_count:     54
    .vgpr_spill_count: 0
    .wavefront_size: 64
  - .agpr_count:     0
    .args:
      - .offset:         0
        .size:           4
        .value_kind:     by_value
      - .offset:         4
        .size:           4
        .value_kind:     by_value
      - .offset:         8
        .size:           8
        .value_kind:     by_value
      - .address_space:  global
        .offset:         16
        .size:           8
        .value_kind:     global_buffer
      - .offset:         24
        .size:           4
        .value_kind:     by_value
      - .offset:         32
        .size:           8
        .value_kind:     by_value
      - .address_space:  global
        .offset:         40
        .size:           8
        .value_kind:     global_buffer
      - .offset:         48
        .size:           4
        .value_kind:     by_value
      - .offset:         56
        .size:           8
        .value_kind:     by_value
      - .offset:         64
        .size:           8
        .value_kind:     by_value
      - .address_space:  global
        .offset:         72
        .size:           8
        .value_kind:     global_buffer
      - .offset:         80
        .size:           4
        .value_kind:     by_value
      - .offset:         88
        .size:           8
        .value_kind:     by_value
      - .offset:         96
        .size:           4
        .value_kind:     by_value
    .group_segment_fixed_size: 4096
    .kernarg_segment_align: 8
    .kernarg_segment_size: 100
    .language:       OpenCL C
    .language_version:
      - 2
      - 0
    .max_flat_workgroup_size: 256
    .name:           _ZL29rocblas_internal_gemmt_kernelIiLi16ELi32ELi8ELc67ELc78ELc85ELb1ELb0E19rocblas_complex_numIfES1_PKS1_PS1_EviT_T9_T10_S5_lS7_S5_lS6_T11_S5_li
    .private_segment_fixed_size: 0
    .sgpr_count:     33
    .sgpr_spill_count: 0
    .symbol:         _ZL29rocblas_internal_gemmt_kernelIiLi16ELi32ELi8ELc67ELc78ELc85ELb1ELb0E19rocblas_complex_numIfES1_PKS1_PS1_EviT_T9_T10_S5_lS7_S5_lS6_T11_S5_li.kd
    .uniform_work_group_size: 1
    .uses_dynamic_stack: false
    .vgpr_count:     54
    .vgpr_spill_count: 0
    .wavefront_size: 64
  - .agpr_count:     0
    .args:
      - .offset:         0
        .size:           4
        .value_kind:     by_value
      - .offset:         4
        .size:           4
        .value_kind:     by_value
      - .offset:         8
        .size:           8
        .value_kind:     by_value
      - .address_space:  global
        .offset:         16
        .size:           8
        .value_kind:     global_buffer
      - .offset:         24
        .size:           4
        .value_kind:     by_value
      - .offset:         32
        .size:           8
        .value_kind:     by_value
      - .address_space:  global
        .offset:         40
        .size:           8
        .value_kind:     global_buffer
      - .offset:         48
        .size:           4
        .value_kind:     by_value
      - .offset:         56
        .size:           8
        .value_kind:     by_value
      - .offset:         64
        .size:           8
        .value_kind:     by_value
      - .address_space:  global
        .offset:         72
        .size:           8
        .value_kind:     global_buffer
      - .offset:         80
        .size:           4
        .value_kind:     by_value
      - .offset:         88
        .size:           8
        .value_kind:     by_value
      - .offset:         96
        .size:           4
        .value_kind:     by_value
    .group_segment_fixed_size: 4096
    .kernarg_segment_align: 8
    .kernarg_segment_size: 100
    .language:       OpenCL C
    .language_version:
      - 2
      - 0
    .max_flat_workgroup_size: 256
    .name:           _ZL29rocblas_internal_gemmt_kernelIiLi16ELi32ELi8ELc67ELc84ELc85ELb1ELb0E19rocblas_complex_numIfES1_PKS1_PS1_EviT_T9_T10_S5_lS7_S5_lS6_T11_S5_li
    .private_segment_fixed_size: 0
    .sgpr_count:     34
    .sgpr_spill_count: 0
    .symbol:         _ZL29rocblas_internal_gemmt_kernelIiLi16ELi32ELi8ELc67ELc84ELc85ELb1ELb0E19rocblas_complex_numIfES1_PKS1_PS1_EviT_T9_T10_S5_lS7_S5_lS6_T11_S5_li.kd
    .uniform_work_group_size: 1
    .uses_dynamic_stack: false
    .vgpr_count:     54
    .vgpr_spill_count: 0
    .wavefront_size: 64
  - .agpr_count:     0
    .args:
      - .offset:         0
        .size:           4
        .value_kind:     by_value
      - .offset:         4
        .size:           4
        .value_kind:     by_value
      - .offset:         8
        .size:           8
        .value_kind:     by_value
      - .address_space:  global
        .offset:         16
        .size:           8
        .value_kind:     global_buffer
      - .offset:         24
        .size:           4
        .value_kind:     by_value
      - .offset:         32
        .size:           8
        .value_kind:     by_value
      - .address_space:  global
        .offset:         40
        .size:           8
        .value_kind:     global_buffer
      - .offset:         48
        .size:           4
        .value_kind:     by_value
      - .offset:         56
        .size:           8
        .value_kind:     by_value
      - .offset:         64
        .size:           8
        .value_kind:     by_value
      - .address_space:  global
        .offset:         72
        .size:           8
        .value_kind:     global_buffer
      - .offset:         80
        .size:           4
        .value_kind:     by_value
      - .offset:         88
        .size:           8
        .value_kind:     by_value
      - .offset:         96
        .size:           4
        .value_kind:     by_value
    .group_segment_fixed_size: 4096
    .kernarg_segment_align: 8
    .kernarg_segment_size: 100
    .language:       OpenCL C
    .language_version:
      - 2
      - 0
    .max_flat_workgroup_size: 256
    .name:           _ZL29rocblas_internal_gemmt_kernelIiLi16ELi32ELi8ELc67ELc67ELc85ELb1ELb1E19rocblas_complex_numIfES1_PKS1_PS1_EviT_T9_T10_S5_lS7_S5_lS6_T11_S5_li
    .private_segment_fixed_size: 0
    .sgpr_count:     34
    .sgpr_spill_count: 0
    .symbol:         _ZL29rocblas_internal_gemmt_kernelIiLi16ELi32ELi8ELc67ELc67ELc85ELb1ELb1E19rocblas_complex_numIfES1_PKS1_PS1_EviT_T9_T10_S5_lS7_S5_lS6_T11_S5_li.kd
    .uniform_work_group_size: 1
    .uses_dynamic_stack: false
    .vgpr_count:     54
    .vgpr_spill_count: 0
    .wavefront_size: 64
  - .agpr_count:     0
    .args:
      - .offset:         0
        .size:           4
        .value_kind:     by_value
      - .offset:         4
        .size:           4
        .value_kind:     by_value
      - .offset:         8
        .size:           8
        .value_kind:     by_value
      - .address_space:  global
        .offset:         16
        .size:           8
        .value_kind:     global_buffer
      - .offset:         24
        .size:           4
        .value_kind:     by_value
      - .offset:         32
        .size:           8
        .value_kind:     by_value
      - .address_space:  global
        .offset:         40
        .size:           8
        .value_kind:     global_buffer
      - .offset:         48
        .size:           4
        .value_kind:     by_value
      - .offset:         56
        .size:           8
        .value_kind:     by_value
      - .offset:         64
        .size:           8
        .value_kind:     by_value
      - .address_space:  global
        .offset:         72
        .size:           8
        .value_kind:     global_buffer
      - .offset:         80
        .size:           4
        .value_kind:     by_value
      - .offset:         88
        .size:           8
        .value_kind:     by_value
      - .offset:         96
        .size:           4
        .value_kind:     by_value
    .group_segment_fixed_size: 4096
    .kernarg_segment_align: 8
    .kernarg_segment_size: 100
    .language:       OpenCL C
    .language_version:
      - 2
      - 0
    .max_flat_workgroup_size: 256
    .name:           _ZL29rocblas_internal_gemmt_kernelIiLi16ELi32ELi8ELc78ELc78ELc76ELb0ELb0E19rocblas_complex_numIfES1_PKS1_PS1_EviT_T9_T10_S5_lS7_S5_lS6_T11_S5_li
    .private_segment_fixed_size: 0
    .sgpr_count:     35
    .sgpr_spill_count: 0
    .symbol:         _ZL29rocblas_internal_gemmt_kernelIiLi16ELi32ELi8ELc78ELc78ELc76ELb0ELb0E19rocblas_complex_numIfES1_PKS1_PS1_EviT_T9_T10_S5_lS7_S5_lS6_T11_S5_li.kd
    .uniform_work_group_size: 1
    .uses_dynamic_stack: false
    .vgpr_count:     52
    .vgpr_spill_count: 0
    .wavefront_size: 64
  - .agpr_count:     0
    .args:
      - .offset:         0
        .size:           4
        .value_kind:     by_value
      - .offset:         4
        .size:           4
        .value_kind:     by_value
      - .offset:         8
        .size:           8
        .value_kind:     by_value
      - .address_space:  global
        .offset:         16
        .size:           8
        .value_kind:     global_buffer
      - .offset:         24
        .size:           4
        .value_kind:     by_value
      - .offset:         32
        .size:           8
        .value_kind:     by_value
      - .address_space:  global
        .offset:         40
        .size:           8
        .value_kind:     global_buffer
      - .offset:         48
        .size:           4
        .value_kind:     by_value
      - .offset:         56
        .size:           8
        .value_kind:     by_value
      - .offset:         64
        .size:           8
        .value_kind:     by_value
      - .address_space:  global
        .offset:         72
        .size:           8
        .value_kind:     global_buffer
      - .offset:         80
        .size:           4
        .value_kind:     by_value
      - .offset:         88
        .size:           8
        .value_kind:     by_value
      - .offset:         96
        .size:           4
        .value_kind:     by_value
    .group_segment_fixed_size: 4096
    .kernarg_segment_align: 8
    .kernarg_segment_size: 100
    .language:       OpenCL C
    .language_version:
      - 2
      - 0
    .max_flat_workgroup_size: 256
    .name:           _ZL29rocblas_internal_gemmt_kernelIiLi16ELi32ELi8ELc78ELc84ELc76ELb0ELb0E19rocblas_complex_numIfES1_PKS1_PS1_EviT_T9_T10_S5_lS7_S5_lS6_T11_S5_li
    .private_segment_fixed_size: 0
    .sgpr_count:     36
    .sgpr_spill_count: 0
    .symbol:         _ZL29rocblas_internal_gemmt_kernelIiLi16ELi32ELi8ELc78ELc84ELc76ELb0ELb0E19rocblas_complex_numIfES1_PKS1_PS1_EviT_T9_T10_S5_lS7_S5_lS6_T11_S5_li.kd
    .uniform_work_group_size: 1
    .uses_dynamic_stack: false
    .vgpr_count:     52
    .vgpr_spill_count: 0
    .wavefront_size: 64
  - .agpr_count:     0
    .args:
      - .offset:         0
        .size:           4
        .value_kind:     by_value
      - .offset:         4
        .size:           4
        .value_kind:     by_value
      - .offset:         8
        .size:           8
        .value_kind:     by_value
      - .address_space:  global
        .offset:         16
        .size:           8
        .value_kind:     global_buffer
      - .offset:         24
        .size:           4
        .value_kind:     by_value
      - .offset:         32
        .size:           8
        .value_kind:     by_value
      - .address_space:  global
        .offset:         40
        .size:           8
        .value_kind:     global_buffer
      - .offset:         48
        .size:           4
        .value_kind:     by_value
      - .offset:         56
        .size:           8
        .value_kind:     by_value
      - .offset:         64
        .size:           8
        .value_kind:     by_value
      - .address_space:  global
        .offset:         72
        .size:           8
        .value_kind:     global_buffer
      - .offset:         80
        .size:           4
        .value_kind:     by_value
      - .offset:         88
        .size:           8
        .value_kind:     by_value
      - .offset:         96
        .size:           4
        .value_kind:     by_value
    .group_segment_fixed_size: 4096
    .kernarg_segment_align: 8
    .kernarg_segment_size: 100
    .language:       OpenCL C
    .language_version:
      - 2
      - 0
    .max_flat_workgroup_size: 256
    .name:           _ZL29rocblas_internal_gemmt_kernelIiLi16ELi32ELi8ELc78ELc67ELc76ELb0ELb1E19rocblas_complex_numIfES1_PKS1_PS1_EviT_T9_T10_S5_lS7_S5_lS6_T11_S5_li
    .private_segment_fixed_size: 0
    .sgpr_count:     36
    .sgpr_spill_count: 0
    .symbol:         _ZL29rocblas_internal_gemmt_kernelIiLi16ELi32ELi8ELc78ELc67ELc76ELb0ELb1E19rocblas_complex_numIfES1_PKS1_PS1_EviT_T9_T10_S5_lS7_S5_lS6_T11_S5_li.kd
    .uniform_work_group_size: 1
    .uses_dynamic_stack: false
    .vgpr_count:     54
    .vgpr_spill_count: 0
    .wavefront_size: 64
  - .agpr_count:     0
    .args:
      - .offset:         0
        .size:           4
        .value_kind:     by_value
      - .offset:         4
        .size:           4
        .value_kind:     by_value
      - .offset:         8
        .size:           8
        .value_kind:     by_value
      - .address_space:  global
        .offset:         16
        .size:           8
        .value_kind:     global_buffer
      - .offset:         24
        .size:           4
        .value_kind:     by_value
      - .offset:         32
        .size:           8
        .value_kind:     by_value
      - .address_space:  global
        .offset:         40
        .size:           8
        .value_kind:     global_buffer
      - .offset:         48
        .size:           4
        .value_kind:     by_value
      - .offset:         56
        .size:           8
        .value_kind:     by_value
      - .offset:         64
        .size:           8
        .value_kind:     by_value
      - .address_space:  global
        .offset:         72
        .size:           8
        .value_kind:     global_buffer
      - .offset:         80
        .size:           4
        .value_kind:     by_value
      - .offset:         88
        .size:           8
        .value_kind:     by_value
      - .offset:         96
        .size:           4
        .value_kind:     by_value
    .group_segment_fixed_size: 4096
    .kernarg_segment_align: 8
    .kernarg_segment_size: 100
    .language:       OpenCL C
    .language_version:
      - 2
      - 0
    .max_flat_workgroup_size: 256
    .name:           _ZL29rocblas_internal_gemmt_kernelIiLi16ELi32ELi8ELc84ELc78ELc76ELb0ELb0E19rocblas_complex_numIfES1_PKS1_PS1_EviT_T9_T10_S5_lS7_S5_lS6_T11_S5_li
    .private_segment_fixed_size: 0
    .sgpr_count:     33
    .sgpr_spill_count: 0
    .symbol:         _ZL29rocblas_internal_gemmt_kernelIiLi16ELi32ELi8ELc84ELc78ELc76ELb0ELb0E19rocblas_complex_numIfES1_PKS1_PS1_EviT_T9_T10_S5_lS7_S5_lS6_T11_S5_li.kd
    .uniform_work_group_size: 1
    .uses_dynamic_stack: false
    .vgpr_count:     52
    .vgpr_spill_count: 0
    .wavefront_size: 64
  - .agpr_count:     0
    .args:
      - .offset:         0
        .size:           4
        .value_kind:     by_value
      - .offset:         4
        .size:           4
        .value_kind:     by_value
      - .offset:         8
        .size:           8
        .value_kind:     by_value
      - .address_space:  global
        .offset:         16
        .size:           8
        .value_kind:     global_buffer
      - .offset:         24
        .size:           4
        .value_kind:     by_value
      - .offset:         32
        .size:           8
        .value_kind:     by_value
      - .address_space:  global
        .offset:         40
        .size:           8
        .value_kind:     global_buffer
      - .offset:         48
        .size:           4
        .value_kind:     by_value
      - .offset:         56
        .size:           8
        .value_kind:     by_value
      - .offset:         64
        .size:           8
        .value_kind:     by_value
      - .address_space:  global
        .offset:         72
        .size:           8
        .value_kind:     global_buffer
      - .offset:         80
        .size:           4
        .value_kind:     by_value
      - .offset:         88
        .size:           8
        .value_kind:     by_value
      - .offset:         96
        .size:           4
        .value_kind:     by_value
    .group_segment_fixed_size: 4096
    .kernarg_segment_align: 8
    .kernarg_segment_size: 100
    .language:       OpenCL C
    .language_version:
      - 2
      - 0
    .max_flat_workgroup_size: 256
    .name:           _ZL29rocblas_internal_gemmt_kernelIiLi16ELi32ELi8ELc84ELc84ELc76ELb0ELb0E19rocblas_complex_numIfES1_PKS1_PS1_EviT_T9_T10_S5_lS7_S5_lS6_T11_S5_li
    .private_segment_fixed_size: 0
    .sgpr_count:     34
    .sgpr_spill_count: 0
    .symbol:         _ZL29rocblas_internal_gemmt_kernelIiLi16ELi32ELi8ELc84ELc84ELc76ELb0ELb0E19rocblas_complex_numIfES1_PKS1_PS1_EviT_T9_T10_S5_lS7_S5_lS6_T11_S5_li.kd
    .uniform_work_group_size: 1
    .uses_dynamic_stack: false
    .vgpr_count:     52
    .vgpr_spill_count: 0
    .wavefront_size: 64
  - .agpr_count:     0
    .args:
      - .offset:         0
        .size:           4
        .value_kind:     by_value
      - .offset:         4
        .size:           4
        .value_kind:     by_value
      - .offset:         8
        .size:           8
        .value_kind:     by_value
      - .address_space:  global
        .offset:         16
        .size:           8
        .value_kind:     global_buffer
      - .offset:         24
        .size:           4
        .value_kind:     by_value
      - .offset:         32
        .size:           8
        .value_kind:     by_value
      - .address_space:  global
        .offset:         40
        .size:           8
        .value_kind:     global_buffer
      - .offset:         48
        .size:           4
        .value_kind:     by_value
      - .offset:         56
        .size:           8
        .value_kind:     by_value
      - .offset:         64
        .size:           8
        .value_kind:     by_value
      - .address_space:  global
        .offset:         72
        .size:           8
        .value_kind:     global_buffer
      - .offset:         80
        .size:           4
        .value_kind:     by_value
      - .offset:         88
        .size:           8
        .value_kind:     by_value
      - .offset:         96
        .size:           4
        .value_kind:     by_value
    .group_segment_fixed_size: 4096
    .kernarg_segment_align: 8
    .kernarg_segment_size: 100
    .language:       OpenCL C
    .language_version:
      - 2
      - 0
    .max_flat_workgroup_size: 256
    .name:           _ZL29rocblas_internal_gemmt_kernelIiLi16ELi32ELi8ELc84ELc67ELc76ELb0ELb1E19rocblas_complex_numIfES1_PKS1_PS1_EviT_T9_T10_S5_lS7_S5_lS6_T11_S5_li
    .private_segment_fixed_size: 0
    .sgpr_count:     34
    .sgpr_spill_count: 0
    .symbol:         _ZL29rocblas_internal_gemmt_kernelIiLi16ELi32ELi8ELc84ELc67ELc76ELb0ELb1E19rocblas_complex_numIfES1_PKS1_PS1_EviT_T9_T10_S5_lS7_S5_lS6_T11_S5_li.kd
    .uniform_work_group_size: 1
    .uses_dynamic_stack: false
    .vgpr_count:     54
    .vgpr_spill_count: 0
    .wavefront_size: 64
  - .agpr_count:     0
    .args:
      - .offset:         0
        .size:           4
        .value_kind:     by_value
      - .offset:         4
        .size:           4
        .value_kind:     by_value
      - .offset:         8
        .size:           8
        .value_kind:     by_value
      - .address_space:  global
        .offset:         16
        .size:           8
        .value_kind:     global_buffer
      - .offset:         24
        .size:           4
        .value_kind:     by_value
      - .offset:         32
        .size:           8
        .value_kind:     by_value
      - .address_space:  global
        .offset:         40
        .size:           8
        .value_kind:     global_buffer
      - .offset:         48
        .size:           4
        .value_kind:     by_value
      - .offset:         56
        .size:           8
        .value_kind:     by_value
      - .offset:         64
        .size:           8
        .value_kind:     by_value
      - .address_space:  global
        .offset:         72
        .size:           8
        .value_kind:     global_buffer
      - .offset:         80
        .size:           4
        .value_kind:     by_value
      - .offset:         88
        .size:           8
        .value_kind:     by_value
      - .offset:         96
        .size:           4
        .value_kind:     by_value
    .group_segment_fixed_size: 4096
    .kernarg_segment_align: 8
    .kernarg_segment_size: 100
    .language:       OpenCL C
    .language_version:
      - 2
      - 0
    .max_flat_workgroup_size: 256
    .name:           _ZL29rocblas_internal_gemmt_kernelIiLi16ELi32ELi8ELc67ELc78ELc76ELb1ELb0E19rocblas_complex_numIfES1_PKS1_PS1_EviT_T9_T10_S5_lS7_S5_lS6_T11_S5_li
    .private_segment_fixed_size: 0
    .sgpr_count:     33
    .sgpr_spill_count: 0
    .symbol:         _ZL29rocblas_internal_gemmt_kernelIiLi16ELi32ELi8ELc67ELc78ELc76ELb1ELb0E19rocblas_complex_numIfES1_PKS1_PS1_EviT_T9_T10_S5_lS7_S5_lS6_T11_S5_li.kd
    .uniform_work_group_size: 1
    .uses_dynamic_stack: false
    .vgpr_count:     54
    .vgpr_spill_count: 0
    .wavefront_size: 64
  - .agpr_count:     0
    .args:
      - .offset:         0
        .size:           4
        .value_kind:     by_value
      - .offset:         4
        .size:           4
        .value_kind:     by_value
      - .offset:         8
        .size:           8
        .value_kind:     by_value
      - .address_space:  global
        .offset:         16
        .size:           8
        .value_kind:     global_buffer
      - .offset:         24
        .size:           4
        .value_kind:     by_value
      - .offset:         32
        .size:           8
        .value_kind:     by_value
      - .address_space:  global
        .offset:         40
        .size:           8
        .value_kind:     global_buffer
      - .offset:         48
        .size:           4
        .value_kind:     by_value
      - .offset:         56
        .size:           8
        .value_kind:     by_value
      - .offset:         64
        .size:           8
        .value_kind:     by_value
      - .address_space:  global
        .offset:         72
        .size:           8
        .value_kind:     global_buffer
      - .offset:         80
        .size:           4
        .value_kind:     by_value
      - .offset:         88
        .size:           8
        .value_kind:     by_value
      - .offset:         96
        .size:           4
        .value_kind:     by_value
    .group_segment_fixed_size: 4096
    .kernarg_segment_align: 8
    .kernarg_segment_size: 100
    .language:       OpenCL C
    .language_version:
      - 2
      - 0
    .max_flat_workgroup_size: 256
    .name:           _ZL29rocblas_internal_gemmt_kernelIiLi16ELi32ELi8ELc67ELc84ELc76ELb1ELb0E19rocblas_complex_numIfES1_PKS1_PS1_EviT_T9_T10_S5_lS7_S5_lS6_T11_S5_li
    .private_segment_fixed_size: 0
    .sgpr_count:     34
    .sgpr_spill_count: 0
    .symbol:         _ZL29rocblas_internal_gemmt_kernelIiLi16ELi32ELi8ELc67ELc84ELc76ELb1ELb0E19rocblas_complex_numIfES1_PKS1_PS1_EviT_T9_T10_S5_lS7_S5_lS6_T11_S5_li.kd
    .uniform_work_group_size: 1
    .uses_dynamic_stack: false
    .vgpr_count:     54
    .vgpr_spill_count: 0
    .wavefront_size: 64
  - .agpr_count:     0
    .args:
      - .offset:         0
        .size:           4
        .value_kind:     by_value
      - .offset:         4
        .size:           4
        .value_kind:     by_value
      - .offset:         8
        .size:           8
        .value_kind:     by_value
      - .address_space:  global
        .offset:         16
        .size:           8
        .value_kind:     global_buffer
      - .offset:         24
        .size:           4
        .value_kind:     by_value
      - .offset:         32
        .size:           8
        .value_kind:     by_value
      - .address_space:  global
        .offset:         40
        .size:           8
        .value_kind:     global_buffer
      - .offset:         48
        .size:           4
        .value_kind:     by_value
      - .offset:         56
        .size:           8
        .value_kind:     by_value
      - .offset:         64
        .size:           8
        .value_kind:     by_value
      - .address_space:  global
        .offset:         72
        .size:           8
        .value_kind:     global_buffer
      - .offset:         80
        .size:           4
        .value_kind:     by_value
      - .offset:         88
        .size:           8
        .value_kind:     by_value
      - .offset:         96
        .size:           4
        .value_kind:     by_value
    .group_segment_fixed_size: 4096
    .kernarg_segment_align: 8
    .kernarg_segment_size: 100
    .language:       OpenCL C
    .language_version:
      - 2
      - 0
    .max_flat_workgroup_size: 256
    .name:           _ZL29rocblas_internal_gemmt_kernelIiLi16ELi32ELi8ELc67ELc67ELc76ELb1ELb1E19rocblas_complex_numIfES1_PKS1_PS1_EviT_T9_T10_S5_lS7_S5_lS6_T11_S5_li
    .private_segment_fixed_size: 0
    .sgpr_count:     34
    .sgpr_spill_count: 0
    .symbol:         _ZL29rocblas_internal_gemmt_kernelIiLi16ELi32ELi8ELc67ELc67ELc76ELb1ELb1E19rocblas_complex_numIfES1_PKS1_PS1_EviT_T9_T10_S5_lS7_S5_lS6_T11_S5_li.kd
    .uniform_work_group_size: 1
    .uses_dynamic_stack: false
    .vgpr_count:     54
    .vgpr_spill_count: 0
    .wavefront_size: 64
  - .agpr_count:     0
    .args:
      - .offset:         0
        .size:           4
        .value_kind:     by_value
      - .offset:         4
        .size:           4
        .value_kind:     by_value
      - .address_space:  global
        .offset:         8
        .size:           8
        .value_kind:     global_buffer
      - .address_space:  global
        .offset:         16
        .size:           8
        .value_kind:     global_buffer
      - .offset:         24
        .size:           4
        .value_kind:     by_value
      - .offset:         32
        .size:           8
        .value_kind:     by_value
      - .address_space:  global
        .offset:         40
        .size:           8
        .value_kind:     global_buffer
      - .offset:         48
        .size:           4
        .value_kind:     by_value
      - .offset:         56
        .size:           8
        .value_kind:     by_value
      - .address_space:  global
        .offset:         64
        .size:           8
        .value_kind:     global_buffer
      - .address_space:  global
        .offset:         72
        .size:           8
        .value_kind:     global_buffer
      - .offset:         80
        .size:           4
        .value_kind:     by_value
      - .offset:         88
        .size:           8
        .value_kind:     by_value
      - .offset:         96
        .size:           4
        .value_kind:     by_value
    .group_segment_fixed_size: 8192
    .kernarg_segment_align: 8
    .kernarg_segment_size: 100
    .language:       OpenCL C
    .language_version:
      - 2
      - 0
    .max_flat_workgroup_size: 256
    .name:           _ZL29rocblas_internal_gemmt_kernelIiLi16ELi32ELi8ELc78ELc78ELc85ELb0ELb0E19rocblas_complex_numIdEPKS1_S3_PS1_EviT_T9_T10_S5_lS7_S5_lS6_T11_S5_li
    .private_segment_fixed_size: 0
    .sgpr_count:     42
    .sgpr_spill_count: 0
    .symbol:         _ZL29rocblas_internal_gemmt_kernelIiLi16ELi32ELi8ELc78ELc78ELc85ELb0ELb0E19rocblas_complex_numIdEPKS1_S3_PS1_EviT_T9_T10_S5_lS7_S5_lS6_T11_S5_li.kd
    .uniform_work_group_size: 1
    .uses_dynamic_stack: false
    .vgpr_count:     62
    .vgpr_spill_count: 0
    .wavefront_size: 64
  - .agpr_count:     0
    .args:
      - .offset:         0
        .size:           4
        .value_kind:     by_value
      - .offset:         4
        .size:           4
        .value_kind:     by_value
      - .address_space:  global
        .offset:         8
        .size:           8
        .value_kind:     global_buffer
      - .address_space:  global
        .offset:         16
        .size:           8
        .value_kind:     global_buffer
      - .offset:         24
        .size:           4
        .value_kind:     by_value
      - .offset:         32
        .size:           8
        .value_kind:     by_value
      - .address_space:  global
        .offset:         40
        .size:           8
        .value_kind:     global_buffer
      - .offset:         48
        .size:           4
        .value_kind:     by_value
      - .offset:         56
        .size:           8
        .value_kind:     by_value
      - .address_space:  global
        .offset:         64
        .size:           8
        .value_kind:     global_buffer
      - .address_space:  global
        .offset:         72
        .size:           8
        .value_kind:     global_buffer
      - .offset:         80
        .size:           4
        .value_kind:     by_value
      - .offset:         88
        .size:           8
        .value_kind:     by_value
      - .offset:         96
        .size:           4
        .value_kind:     by_value
    .group_segment_fixed_size: 8192
    .kernarg_segment_align: 8
    .kernarg_segment_size: 100
    .language:       OpenCL C
    .language_version:
      - 2
      - 0
    .max_flat_workgroup_size: 256
    .name:           _ZL29rocblas_internal_gemmt_kernelIiLi16ELi32ELi8ELc78ELc84ELc85ELb0ELb0E19rocblas_complex_numIdEPKS1_S3_PS1_EviT_T9_T10_S5_lS7_S5_lS6_T11_S5_li
    .private_segment_fixed_size: 0
    .sgpr_count:     44
    .sgpr_spill_count: 0
    .symbol:         _ZL29rocblas_internal_gemmt_kernelIiLi16ELi32ELi8ELc78ELc84ELc85ELb0ELb0E19rocblas_complex_numIdEPKS1_S3_PS1_EviT_T9_T10_S5_lS7_S5_lS6_T11_S5_li.kd
    .uniform_work_group_size: 1
    .uses_dynamic_stack: false
    .vgpr_count:     62
    .vgpr_spill_count: 0
    .wavefront_size: 64
  - .agpr_count:     0
    .args:
      - .offset:         0
        .size:           4
        .value_kind:     by_value
      - .offset:         4
        .size:           4
        .value_kind:     by_value
      - .address_space:  global
        .offset:         8
        .size:           8
        .value_kind:     global_buffer
      - .address_space:  global
        .offset:         16
        .size:           8
        .value_kind:     global_buffer
      - .offset:         24
        .size:           4
        .value_kind:     by_value
      - .offset:         32
        .size:           8
        .value_kind:     by_value
      - .address_space:  global
        .offset:         40
        .size:           8
        .value_kind:     global_buffer
      - .offset:         48
        .size:           4
        .value_kind:     by_value
      - .offset:         56
        .size:           8
        .value_kind:     by_value
      - .address_space:  global
        .offset:         64
        .size:           8
        .value_kind:     global_buffer
      - .address_space:  global
        .offset:         72
        .size:           8
        .value_kind:     global_buffer
      - .offset:         80
        .size:           4
        .value_kind:     by_value
      - .offset:         88
        .size:           8
        .value_kind:     by_value
      - .offset:         96
        .size:           4
        .value_kind:     by_value
    .group_segment_fixed_size: 8192
    .kernarg_segment_align: 8
    .kernarg_segment_size: 100
    .language:       OpenCL C
    .language_version:
      - 2
      - 0
    .max_flat_workgroup_size: 256
    .name:           _ZL29rocblas_internal_gemmt_kernelIiLi16ELi32ELi8ELc78ELc67ELc85ELb0ELb1E19rocblas_complex_numIdEPKS1_S3_PS1_EviT_T9_T10_S5_lS7_S5_lS6_T11_S5_li
    .private_segment_fixed_size: 0
    .sgpr_count:     44
    .sgpr_spill_count: 0
    .symbol:         _ZL29rocblas_internal_gemmt_kernelIiLi16ELi32ELi8ELc78ELc67ELc85ELb0ELb1E19rocblas_complex_numIdEPKS1_S3_PS1_EviT_T9_T10_S5_lS7_S5_lS6_T11_S5_li.kd
    .uniform_work_group_size: 1
    .uses_dynamic_stack: false
    .vgpr_count:     62
    .vgpr_spill_count: 0
    .wavefront_size: 64
  - .agpr_count:     0
    .args:
      - .offset:         0
        .size:           4
        .value_kind:     by_value
      - .offset:         4
        .size:           4
        .value_kind:     by_value
      - .address_space:  global
        .offset:         8
        .size:           8
        .value_kind:     global_buffer
      - .address_space:  global
        .offset:         16
        .size:           8
        .value_kind:     global_buffer
      - .offset:         24
        .size:           4
        .value_kind:     by_value
      - .offset:         32
        .size:           8
        .value_kind:     by_value
      - .address_space:  global
        .offset:         40
        .size:           8
        .value_kind:     global_buffer
      - .offset:         48
        .size:           4
        .value_kind:     by_value
      - .offset:         56
        .size:           8
        .value_kind:     by_value
      - .address_space:  global
        .offset:         64
        .size:           8
        .value_kind:     global_buffer
      - .address_space:  global
        .offset:         72
        .size:           8
        .value_kind:     global_buffer
      - .offset:         80
        .size:           4
        .value_kind:     by_value
      - .offset:         88
        .size:           8
        .value_kind:     by_value
      - .offset:         96
        .size:           4
        .value_kind:     by_value
    .group_segment_fixed_size: 8192
    .kernarg_segment_align: 8
    .kernarg_segment_size: 100
    .language:       OpenCL C
    .language_version:
      - 2
      - 0
    .max_flat_workgroup_size: 256
    .name:           _ZL29rocblas_internal_gemmt_kernelIiLi16ELi32ELi8ELc84ELc78ELc85ELb0ELb0E19rocblas_complex_numIdEPKS1_S3_PS1_EviT_T9_T10_S5_lS7_S5_lS6_T11_S5_li
    .private_segment_fixed_size: 0
    .sgpr_count:     40
    .sgpr_spill_count: 0
    .symbol:         _ZL29rocblas_internal_gemmt_kernelIiLi16ELi32ELi8ELc84ELc78ELc85ELb0ELb0E19rocblas_complex_numIdEPKS1_S3_PS1_EviT_T9_T10_S5_lS7_S5_lS6_T11_S5_li.kd
    .uniform_work_group_size: 1
    .uses_dynamic_stack: false
    .vgpr_count:     62
    .vgpr_spill_count: 0
    .wavefront_size: 64
  - .agpr_count:     0
    .args:
      - .offset:         0
        .size:           4
        .value_kind:     by_value
      - .offset:         4
        .size:           4
        .value_kind:     by_value
      - .address_space:  global
        .offset:         8
        .size:           8
        .value_kind:     global_buffer
      - .address_space:  global
        .offset:         16
        .size:           8
        .value_kind:     global_buffer
      - .offset:         24
        .size:           4
        .value_kind:     by_value
      - .offset:         32
        .size:           8
        .value_kind:     by_value
      - .address_space:  global
        .offset:         40
        .size:           8
        .value_kind:     global_buffer
      - .offset:         48
        .size:           4
        .value_kind:     by_value
      - .offset:         56
        .size:           8
        .value_kind:     by_value
      - .address_space:  global
        .offset:         64
        .size:           8
        .value_kind:     global_buffer
      - .address_space:  global
        .offset:         72
        .size:           8
        .value_kind:     global_buffer
      - .offset:         80
        .size:           4
        .value_kind:     by_value
      - .offset:         88
        .size:           8
        .value_kind:     by_value
      - .offset:         96
        .size:           4
        .value_kind:     by_value
    .group_segment_fixed_size: 8192
    .kernarg_segment_align: 8
    .kernarg_segment_size: 100
    .language:       OpenCL C
    .language_version:
      - 2
      - 0
    .max_flat_workgroup_size: 256
    .name:           _ZL29rocblas_internal_gemmt_kernelIiLi16ELi32ELi8ELc84ELc84ELc85ELb0ELb0E19rocblas_complex_numIdEPKS1_S3_PS1_EviT_T9_T10_S5_lS7_S5_lS6_T11_S5_li
    .private_segment_fixed_size: 0
    .sgpr_count:     42
    .sgpr_spill_count: 0
    .symbol:         _ZL29rocblas_internal_gemmt_kernelIiLi16ELi32ELi8ELc84ELc84ELc85ELb0ELb0E19rocblas_complex_numIdEPKS1_S3_PS1_EviT_T9_T10_S5_lS7_S5_lS6_T11_S5_li.kd
    .uniform_work_group_size: 1
    .uses_dynamic_stack: false
    .vgpr_count:     62
    .vgpr_spill_count: 0
    .wavefront_size: 64
  - .agpr_count:     0
    .args:
      - .offset:         0
        .size:           4
        .value_kind:     by_value
      - .offset:         4
        .size:           4
        .value_kind:     by_value
      - .address_space:  global
        .offset:         8
        .size:           8
        .value_kind:     global_buffer
      - .address_space:  global
        .offset:         16
        .size:           8
        .value_kind:     global_buffer
      - .offset:         24
        .size:           4
        .value_kind:     by_value
      - .offset:         32
        .size:           8
        .value_kind:     by_value
      - .address_space:  global
        .offset:         40
        .size:           8
        .value_kind:     global_buffer
      - .offset:         48
        .size:           4
        .value_kind:     by_value
      - .offset:         56
        .size:           8
        .value_kind:     by_value
      - .address_space:  global
        .offset:         64
        .size:           8
        .value_kind:     global_buffer
      - .address_space:  global
        .offset:         72
        .size:           8
        .value_kind:     global_buffer
      - .offset:         80
        .size:           4
        .value_kind:     by_value
      - .offset:         88
        .size:           8
        .value_kind:     by_value
      - .offset:         96
        .size:           4
        .value_kind:     by_value
    .group_segment_fixed_size: 8192
    .kernarg_segment_align: 8
    .kernarg_segment_size: 100
    .language:       OpenCL C
    .language_version:
      - 2
      - 0
    .max_flat_workgroup_size: 256
    .name:           _ZL29rocblas_internal_gemmt_kernelIiLi16ELi32ELi8ELc84ELc67ELc85ELb0ELb1E19rocblas_complex_numIdEPKS1_S3_PS1_EviT_T9_T10_S5_lS7_S5_lS6_T11_S5_li
    .private_segment_fixed_size: 0
    .sgpr_count:     42
    .sgpr_spill_count: 0
    .symbol:         _ZL29rocblas_internal_gemmt_kernelIiLi16ELi32ELi8ELc84ELc67ELc85ELb0ELb1E19rocblas_complex_numIdEPKS1_S3_PS1_EviT_T9_T10_S5_lS7_S5_lS6_T11_S5_li.kd
    .uniform_work_group_size: 1
    .uses_dynamic_stack: false
    .vgpr_count:     62
    .vgpr_spill_count: 0
    .wavefront_size: 64
  - .agpr_count:     0
    .args:
      - .offset:         0
        .size:           4
        .value_kind:     by_value
      - .offset:         4
        .size:           4
        .value_kind:     by_value
      - .address_space:  global
        .offset:         8
        .size:           8
        .value_kind:     global_buffer
      - .address_space:  global
        .offset:         16
        .size:           8
        .value_kind:     global_buffer
      - .offset:         24
        .size:           4
        .value_kind:     by_value
      - .offset:         32
        .size:           8
        .value_kind:     by_value
      - .address_space:  global
        .offset:         40
        .size:           8
        .value_kind:     global_buffer
      - .offset:         48
        .size:           4
        .value_kind:     by_value
      - .offset:         56
        .size:           8
        .value_kind:     by_value
      - .address_space:  global
        .offset:         64
        .size:           8
        .value_kind:     global_buffer
      - .address_space:  global
        .offset:         72
        .size:           8
        .value_kind:     global_buffer
      - .offset:         80
        .size:           4
        .value_kind:     by_value
      - .offset:         88
        .size:           8
        .value_kind:     by_value
      - .offset:         96
        .size:           4
        .value_kind:     by_value
    .group_segment_fixed_size: 8192
    .kernarg_segment_align: 8
    .kernarg_segment_size: 100
    .language:       OpenCL C
    .language_version:
      - 2
      - 0
    .max_flat_workgroup_size: 256
    .name:           _ZL29rocblas_internal_gemmt_kernelIiLi16ELi32ELi8ELc67ELc78ELc85ELb1ELb0E19rocblas_complex_numIdEPKS1_S3_PS1_EviT_T9_T10_S5_lS7_S5_lS6_T11_S5_li
    .private_segment_fixed_size: 0
    .sgpr_count:     40
    .sgpr_spill_count: 0
    .symbol:         _ZL29rocblas_internal_gemmt_kernelIiLi16ELi32ELi8ELc67ELc78ELc85ELb1ELb0E19rocblas_complex_numIdEPKS1_S3_PS1_EviT_T9_T10_S5_lS7_S5_lS6_T11_S5_li.kd
    .uniform_work_group_size: 1
    .uses_dynamic_stack: false
    .vgpr_count:     62
    .vgpr_spill_count: 0
    .wavefront_size: 64
  - .agpr_count:     0
    .args:
      - .offset:         0
        .size:           4
        .value_kind:     by_value
      - .offset:         4
        .size:           4
        .value_kind:     by_value
      - .address_space:  global
        .offset:         8
        .size:           8
        .value_kind:     global_buffer
      - .address_space:  global
        .offset:         16
        .size:           8
        .value_kind:     global_buffer
      - .offset:         24
        .size:           4
        .value_kind:     by_value
      - .offset:         32
        .size:           8
        .value_kind:     by_value
      - .address_space:  global
        .offset:         40
        .size:           8
        .value_kind:     global_buffer
      - .offset:         48
        .size:           4
        .value_kind:     by_value
      - .offset:         56
        .size:           8
        .value_kind:     by_value
      - .address_space:  global
        .offset:         64
        .size:           8
        .value_kind:     global_buffer
      - .address_space:  global
        .offset:         72
        .size:           8
        .value_kind:     global_buffer
      - .offset:         80
        .size:           4
        .value_kind:     by_value
      - .offset:         88
        .size:           8
        .value_kind:     by_value
      - .offset:         96
        .size:           4
        .value_kind:     by_value
    .group_segment_fixed_size: 8192
    .kernarg_segment_align: 8
    .kernarg_segment_size: 100
    .language:       OpenCL C
    .language_version:
      - 2
      - 0
    .max_flat_workgroup_size: 256
    .name:           _ZL29rocblas_internal_gemmt_kernelIiLi16ELi32ELi8ELc67ELc84ELc85ELb1ELb0E19rocblas_complex_numIdEPKS1_S3_PS1_EviT_T9_T10_S5_lS7_S5_lS6_T11_S5_li
    .private_segment_fixed_size: 0
    .sgpr_count:     42
    .sgpr_spill_count: 0
    .symbol:         _ZL29rocblas_internal_gemmt_kernelIiLi16ELi32ELi8ELc67ELc84ELc85ELb1ELb0E19rocblas_complex_numIdEPKS1_S3_PS1_EviT_T9_T10_S5_lS7_S5_lS6_T11_S5_li.kd
    .uniform_work_group_size: 1
    .uses_dynamic_stack: false
    .vgpr_count:     62
    .vgpr_spill_count: 0
    .wavefront_size: 64
  - .agpr_count:     0
    .args:
      - .offset:         0
        .size:           4
        .value_kind:     by_value
      - .offset:         4
        .size:           4
        .value_kind:     by_value
      - .address_space:  global
        .offset:         8
        .size:           8
        .value_kind:     global_buffer
      - .address_space:  global
        .offset:         16
        .size:           8
        .value_kind:     global_buffer
      - .offset:         24
        .size:           4
        .value_kind:     by_value
      - .offset:         32
        .size:           8
        .value_kind:     by_value
      - .address_space:  global
        .offset:         40
        .size:           8
        .value_kind:     global_buffer
      - .offset:         48
        .size:           4
        .value_kind:     by_value
      - .offset:         56
        .size:           8
        .value_kind:     by_value
      - .address_space:  global
        .offset:         64
        .size:           8
        .value_kind:     global_buffer
      - .address_space:  global
        .offset:         72
        .size:           8
        .value_kind:     global_buffer
      - .offset:         80
        .size:           4
        .value_kind:     by_value
      - .offset:         88
        .size:           8
        .value_kind:     by_value
      - .offset:         96
        .size:           4
        .value_kind:     by_value
    .group_segment_fixed_size: 8192
    .kernarg_segment_align: 8
    .kernarg_segment_size: 100
    .language:       OpenCL C
    .language_version:
      - 2
      - 0
    .max_flat_workgroup_size: 256
    .name:           _ZL29rocblas_internal_gemmt_kernelIiLi16ELi32ELi8ELc67ELc67ELc85ELb1ELb1E19rocblas_complex_numIdEPKS1_S3_PS1_EviT_T9_T10_S5_lS7_S5_lS6_T11_S5_li
    .private_segment_fixed_size: 0
    .sgpr_count:     42
    .sgpr_spill_count: 0
    .symbol:         _ZL29rocblas_internal_gemmt_kernelIiLi16ELi32ELi8ELc67ELc67ELc85ELb1ELb1E19rocblas_complex_numIdEPKS1_S3_PS1_EviT_T9_T10_S5_lS7_S5_lS6_T11_S5_li.kd
    .uniform_work_group_size: 1
    .uses_dynamic_stack: false
    .vgpr_count:     58
    .vgpr_spill_count: 0
    .wavefront_size: 64
  - .agpr_count:     0
    .args:
      - .offset:         0
        .size:           4
        .value_kind:     by_value
      - .offset:         4
        .size:           4
        .value_kind:     by_value
      - .address_space:  global
        .offset:         8
        .size:           8
        .value_kind:     global_buffer
      - .address_space:  global
        .offset:         16
        .size:           8
        .value_kind:     global_buffer
      - .offset:         24
        .size:           4
        .value_kind:     by_value
      - .offset:         32
        .size:           8
        .value_kind:     by_value
      - .address_space:  global
        .offset:         40
        .size:           8
        .value_kind:     global_buffer
      - .offset:         48
        .size:           4
        .value_kind:     by_value
      - .offset:         56
        .size:           8
        .value_kind:     by_value
      - .address_space:  global
        .offset:         64
        .size:           8
        .value_kind:     global_buffer
      - .address_space:  global
        .offset:         72
        .size:           8
        .value_kind:     global_buffer
      - .offset:         80
        .size:           4
        .value_kind:     by_value
      - .offset:         88
        .size:           8
        .value_kind:     by_value
      - .offset:         96
        .size:           4
        .value_kind:     by_value
    .group_segment_fixed_size: 8192
    .kernarg_segment_align: 8
    .kernarg_segment_size: 100
    .language:       OpenCL C
    .language_version:
      - 2
      - 0
    .max_flat_workgroup_size: 256
    .name:           _ZL29rocblas_internal_gemmt_kernelIiLi16ELi32ELi8ELc78ELc78ELc76ELb0ELb0E19rocblas_complex_numIdEPKS1_S3_PS1_EviT_T9_T10_S5_lS7_S5_lS6_T11_S5_li
    .private_segment_fixed_size: 0
    .sgpr_count:     42
    .sgpr_spill_count: 0
    .symbol:         _ZL29rocblas_internal_gemmt_kernelIiLi16ELi32ELi8ELc78ELc78ELc76ELb0ELb0E19rocblas_complex_numIdEPKS1_S3_PS1_EviT_T9_T10_S5_lS7_S5_lS6_T11_S5_li.kd
    .uniform_work_group_size: 1
    .uses_dynamic_stack: false
    .vgpr_count:     62
    .vgpr_spill_count: 0
    .wavefront_size: 64
  - .agpr_count:     0
    .args:
      - .offset:         0
        .size:           4
        .value_kind:     by_value
      - .offset:         4
        .size:           4
        .value_kind:     by_value
      - .address_space:  global
        .offset:         8
        .size:           8
        .value_kind:     global_buffer
      - .address_space:  global
        .offset:         16
        .size:           8
        .value_kind:     global_buffer
      - .offset:         24
        .size:           4
        .value_kind:     by_value
      - .offset:         32
        .size:           8
        .value_kind:     by_value
      - .address_space:  global
        .offset:         40
        .size:           8
        .value_kind:     global_buffer
      - .offset:         48
        .size:           4
        .value_kind:     by_value
      - .offset:         56
        .size:           8
        .value_kind:     by_value
      - .address_space:  global
        .offset:         64
        .size:           8
        .value_kind:     global_buffer
      - .address_space:  global
        .offset:         72
        .size:           8
        .value_kind:     global_buffer
      - .offset:         80
        .size:           4
        .value_kind:     by_value
      - .offset:         88
        .size:           8
        .value_kind:     by_value
      - .offset:         96
        .size:           4
        .value_kind:     by_value
    .group_segment_fixed_size: 8192
    .kernarg_segment_align: 8
    .kernarg_segment_size: 100
    .language:       OpenCL C
    .language_version:
      - 2
      - 0
    .max_flat_workgroup_size: 256
    .name:           _ZL29rocblas_internal_gemmt_kernelIiLi16ELi32ELi8ELc78ELc84ELc76ELb0ELb0E19rocblas_complex_numIdEPKS1_S3_PS1_EviT_T9_T10_S5_lS7_S5_lS6_T11_S5_li
    .private_segment_fixed_size: 0
    .sgpr_count:     44
    .sgpr_spill_count: 0
    .symbol:         _ZL29rocblas_internal_gemmt_kernelIiLi16ELi32ELi8ELc78ELc84ELc76ELb0ELb0E19rocblas_complex_numIdEPKS1_S3_PS1_EviT_T9_T10_S5_lS7_S5_lS6_T11_S5_li.kd
    .uniform_work_group_size: 1
    .uses_dynamic_stack: false
    .vgpr_count:     62
    .vgpr_spill_count: 0
    .wavefront_size: 64
  - .agpr_count:     0
    .args:
      - .offset:         0
        .size:           4
        .value_kind:     by_value
      - .offset:         4
        .size:           4
        .value_kind:     by_value
      - .address_space:  global
        .offset:         8
        .size:           8
        .value_kind:     global_buffer
      - .address_space:  global
        .offset:         16
        .size:           8
        .value_kind:     global_buffer
      - .offset:         24
        .size:           4
        .value_kind:     by_value
      - .offset:         32
        .size:           8
        .value_kind:     by_value
      - .address_space:  global
        .offset:         40
        .size:           8
        .value_kind:     global_buffer
      - .offset:         48
        .size:           4
        .value_kind:     by_value
      - .offset:         56
        .size:           8
        .value_kind:     by_value
      - .address_space:  global
        .offset:         64
        .size:           8
        .value_kind:     global_buffer
      - .address_space:  global
        .offset:         72
        .size:           8
        .value_kind:     global_buffer
      - .offset:         80
        .size:           4
        .value_kind:     by_value
      - .offset:         88
        .size:           8
        .value_kind:     by_value
      - .offset:         96
        .size:           4
        .value_kind:     by_value
    .group_segment_fixed_size: 8192
    .kernarg_segment_align: 8
    .kernarg_segment_size: 100
    .language:       OpenCL C
    .language_version:
      - 2
      - 0
    .max_flat_workgroup_size: 256
    .name:           _ZL29rocblas_internal_gemmt_kernelIiLi16ELi32ELi8ELc78ELc67ELc76ELb0ELb1E19rocblas_complex_numIdEPKS1_S3_PS1_EviT_T9_T10_S5_lS7_S5_lS6_T11_S5_li
    .private_segment_fixed_size: 0
    .sgpr_count:     44
    .sgpr_spill_count: 0
    .symbol:         _ZL29rocblas_internal_gemmt_kernelIiLi16ELi32ELi8ELc78ELc67ELc76ELb0ELb1E19rocblas_complex_numIdEPKS1_S3_PS1_EviT_T9_T10_S5_lS7_S5_lS6_T11_S5_li.kd
    .uniform_work_group_size: 1
    .uses_dynamic_stack: false
    .vgpr_count:     62
    .vgpr_spill_count: 0
    .wavefront_size: 64
  - .agpr_count:     0
    .args:
      - .offset:         0
        .size:           4
        .value_kind:     by_value
      - .offset:         4
        .size:           4
        .value_kind:     by_value
      - .address_space:  global
        .offset:         8
        .size:           8
        .value_kind:     global_buffer
      - .address_space:  global
        .offset:         16
        .size:           8
        .value_kind:     global_buffer
      - .offset:         24
        .size:           4
        .value_kind:     by_value
      - .offset:         32
        .size:           8
        .value_kind:     by_value
      - .address_space:  global
        .offset:         40
        .size:           8
        .value_kind:     global_buffer
      - .offset:         48
        .size:           4
        .value_kind:     by_value
      - .offset:         56
        .size:           8
        .value_kind:     by_value
      - .address_space:  global
        .offset:         64
        .size:           8
        .value_kind:     global_buffer
      - .address_space:  global
        .offset:         72
        .size:           8
        .value_kind:     global_buffer
      - .offset:         80
        .size:           4
        .value_kind:     by_value
      - .offset:         88
        .size:           8
        .value_kind:     by_value
      - .offset:         96
        .size:           4
        .value_kind:     by_value
    .group_segment_fixed_size: 8192
    .kernarg_segment_align: 8
    .kernarg_segment_size: 100
    .language:       OpenCL C
    .language_version:
      - 2
      - 0
    .max_flat_workgroup_size: 256
    .name:           _ZL29rocblas_internal_gemmt_kernelIiLi16ELi32ELi8ELc84ELc78ELc76ELb0ELb0E19rocblas_complex_numIdEPKS1_S3_PS1_EviT_T9_T10_S5_lS7_S5_lS6_T11_S5_li
    .private_segment_fixed_size: 0
    .sgpr_count:     40
    .sgpr_spill_count: 0
    .symbol:         _ZL29rocblas_internal_gemmt_kernelIiLi16ELi32ELi8ELc84ELc78ELc76ELb0ELb0E19rocblas_complex_numIdEPKS1_S3_PS1_EviT_T9_T10_S5_lS7_S5_lS6_T11_S5_li.kd
    .uniform_work_group_size: 1
    .uses_dynamic_stack: false
    .vgpr_count:     62
    .vgpr_spill_count: 0
    .wavefront_size: 64
  - .agpr_count:     0
    .args:
      - .offset:         0
        .size:           4
        .value_kind:     by_value
      - .offset:         4
        .size:           4
        .value_kind:     by_value
      - .address_space:  global
        .offset:         8
        .size:           8
        .value_kind:     global_buffer
      - .address_space:  global
        .offset:         16
        .size:           8
        .value_kind:     global_buffer
      - .offset:         24
        .size:           4
        .value_kind:     by_value
      - .offset:         32
        .size:           8
        .value_kind:     by_value
      - .address_space:  global
        .offset:         40
        .size:           8
        .value_kind:     global_buffer
      - .offset:         48
        .size:           4
        .value_kind:     by_value
      - .offset:         56
        .size:           8
        .value_kind:     by_value
      - .address_space:  global
        .offset:         64
        .size:           8
        .value_kind:     global_buffer
      - .address_space:  global
        .offset:         72
        .size:           8
        .value_kind:     global_buffer
      - .offset:         80
        .size:           4
        .value_kind:     by_value
      - .offset:         88
        .size:           8
        .value_kind:     by_value
      - .offset:         96
        .size:           4
        .value_kind:     by_value
    .group_segment_fixed_size: 8192
    .kernarg_segment_align: 8
    .kernarg_segment_size: 100
    .language:       OpenCL C
    .language_version:
      - 2
      - 0
    .max_flat_workgroup_size: 256
    .name:           _ZL29rocblas_internal_gemmt_kernelIiLi16ELi32ELi8ELc84ELc84ELc76ELb0ELb0E19rocblas_complex_numIdEPKS1_S3_PS1_EviT_T9_T10_S5_lS7_S5_lS6_T11_S5_li
    .private_segment_fixed_size: 0
    .sgpr_count:     42
    .sgpr_spill_count: 0
    .symbol:         _ZL29rocblas_internal_gemmt_kernelIiLi16ELi32ELi8ELc84ELc84ELc76ELb0ELb0E19rocblas_complex_numIdEPKS1_S3_PS1_EviT_T9_T10_S5_lS7_S5_lS6_T11_S5_li.kd
    .uniform_work_group_size: 1
    .uses_dynamic_stack: false
    .vgpr_count:     62
    .vgpr_spill_count: 0
    .wavefront_size: 64
  - .agpr_count:     0
    .args:
      - .offset:         0
        .size:           4
        .value_kind:     by_value
      - .offset:         4
        .size:           4
        .value_kind:     by_value
      - .address_space:  global
        .offset:         8
        .size:           8
        .value_kind:     global_buffer
      - .address_space:  global
        .offset:         16
        .size:           8
        .value_kind:     global_buffer
      - .offset:         24
        .size:           4
        .value_kind:     by_value
      - .offset:         32
        .size:           8
        .value_kind:     by_value
      - .address_space:  global
        .offset:         40
        .size:           8
        .value_kind:     global_buffer
      - .offset:         48
        .size:           4
        .value_kind:     by_value
      - .offset:         56
        .size:           8
        .value_kind:     by_value
      - .address_space:  global
        .offset:         64
        .size:           8
        .value_kind:     global_buffer
      - .address_space:  global
        .offset:         72
        .size:           8
        .value_kind:     global_buffer
      - .offset:         80
        .size:           4
        .value_kind:     by_value
      - .offset:         88
        .size:           8
        .value_kind:     by_value
      - .offset:         96
        .size:           4
        .value_kind:     by_value
    .group_segment_fixed_size: 8192
    .kernarg_segment_align: 8
    .kernarg_segment_size: 100
    .language:       OpenCL C
    .language_version:
      - 2
      - 0
    .max_flat_workgroup_size: 256
    .name:           _ZL29rocblas_internal_gemmt_kernelIiLi16ELi32ELi8ELc84ELc67ELc76ELb0ELb1E19rocblas_complex_numIdEPKS1_S3_PS1_EviT_T9_T10_S5_lS7_S5_lS6_T11_S5_li
    .private_segment_fixed_size: 0
    .sgpr_count:     42
    .sgpr_spill_count: 0
    .symbol:         _ZL29rocblas_internal_gemmt_kernelIiLi16ELi32ELi8ELc84ELc67ELc76ELb0ELb1E19rocblas_complex_numIdEPKS1_S3_PS1_EviT_T9_T10_S5_lS7_S5_lS6_T11_S5_li.kd
    .uniform_work_group_size: 1
    .uses_dynamic_stack: false
    .vgpr_count:     62
    .vgpr_spill_count: 0
    .wavefront_size: 64
  - .agpr_count:     0
    .args:
      - .offset:         0
        .size:           4
        .value_kind:     by_value
      - .offset:         4
        .size:           4
        .value_kind:     by_value
      - .address_space:  global
        .offset:         8
        .size:           8
        .value_kind:     global_buffer
      - .address_space:  global
        .offset:         16
        .size:           8
        .value_kind:     global_buffer
      - .offset:         24
        .size:           4
        .value_kind:     by_value
      - .offset:         32
        .size:           8
        .value_kind:     by_value
      - .address_space:  global
        .offset:         40
        .size:           8
        .value_kind:     global_buffer
      - .offset:         48
        .size:           4
        .value_kind:     by_value
      - .offset:         56
        .size:           8
        .value_kind:     by_value
      - .address_space:  global
        .offset:         64
        .size:           8
        .value_kind:     global_buffer
      - .address_space:  global
        .offset:         72
        .size:           8
        .value_kind:     global_buffer
      - .offset:         80
        .size:           4
        .value_kind:     by_value
      - .offset:         88
        .size:           8
        .value_kind:     by_value
      - .offset:         96
        .size:           4
        .value_kind:     by_value
    .group_segment_fixed_size: 8192
    .kernarg_segment_align: 8
    .kernarg_segment_size: 100
    .language:       OpenCL C
    .language_version:
      - 2
      - 0
    .max_flat_workgroup_size: 256
    .name:           _ZL29rocblas_internal_gemmt_kernelIiLi16ELi32ELi8ELc67ELc78ELc76ELb1ELb0E19rocblas_complex_numIdEPKS1_S3_PS1_EviT_T9_T10_S5_lS7_S5_lS6_T11_S5_li
    .private_segment_fixed_size: 0
    .sgpr_count:     40
    .sgpr_spill_count: 0
    .symbol:         _ZL29rocblas_internal_gemmt_kernelIiLi16ELi32ELi8ELc67ELc78ELc76ELb1ELb0E19rocblas_complex_numIdEPKS1_S3_PS1_EviT_T9_T10_S5_lS7_S5_lS6_T11_S5_li.kd
    .uniform_work_group_size: 1
    .uses_dynamic_stack: false
    .vgpr_count:     62
    .vgpr_spill_count: 0
    .wavefront_size: 64
  - .agpr_count:     0
    .args:
      - .offset:         0
        .size:           4
        .value_kind:     by_value
      - .offset:         4
        .size:           4
        .value_kind:     by_value
      - .address_space:  global
        .offset:         8
        .size:           8
        .value_kind:     global_buffer
      - .address_space:  global
        .offset:         16
        .size:           8
        .value_kind:     global_buffer
      - .offset:         24
        .size:           4
        .value_kind:     by_value
      - .offset:         32
        .size:           8
        .value_kind:     by_value
      - .address_space:  global
        .offset:         40
        .size:           8
        .value_kind:     global_buffer
      - .offset:         48
        .size:           4
        .value_kind:     by_value
      - .offset:         56
        .size:           8
        .value_kind:     by_value
      - .address_space:  global
        .offset:         64
        .size:           8
        .value_kind:     global_buffer
      - .address_space:  global
        .offset:         72
        .size:           8
        .value_kind:     global_buffer
      - .offset:         80
        .size:           4
        .value_kind:     by_value
      - .offset:         88
        .size:           8
        .value_kind:     by_value
      - .offset:         96
        .size:           4
        .value_kind:     by_value
    .group_segment_fixed_size: 8192
    .kernarg_segment_align: 8
    .kernarg_segment_size: 100
    .language:       OpenCL C
    .language_version:
      - 2
      - 0
    .max_flat_workgroup_size: 256
    .name:           _ZL29rocblas_internal_gemmt_kernelIiLi16ELi32ELi8ELc67ELc84ELc76ELb1ELb0E19rocblas_complex_numIdEPKS1_S3_PS1_EviT_T9_T10_S5_lS7_S5_lS6_T11_S5_li
    .private_segment_fixed_size: 0
    .sgpr_count:     42
    .sgpr_spill_count: 0
    .symbol:         _ZL29rocblas_internal_gemmt_kernelIiLi16ELi32ELi8ELc67ELc84ELc76ELb1ELb0E19rocblas_complex_numIdEPKS1_S3_PS1_EviT_T9_T10_S5_lS7_S5_lS6_T11_S5_li.kd
    .uniform_work_group_size: 1
    .uses_dynamic_stack: false
    .vgpr_count:     62
    .vgpr_spill_count: 0
    .wavefront_size: 64
  - .agpr_count:     0
    .args:
      - .offset:         0
        .size:           4
        .value_kind:     by_value
      - .offset:         4
        .size:           4
        .value_kind:     by_value
      - .address_space:  global
        .offset:         8
        .size:           8
        .value_kind:     global_buffer
      - .address_space:  global
        .offset:         16
        .size:           8
        .value_kind:     global_buffer
      - .offset:         24
        .size:           4
        .value_kind:     by_value
      - .offset:         32
        .size:           8
        .value_kind:     by_value
      - .address_space:  global
        .offset:         40
        .size:           8
        .value_kind:     global_buffer
      - .offset:         48
        .size:           4
        .value_kind:     by_value
      - .offset:         56
        .size:           8
        .value_kind:     by_value
      - .address_space:  global
        .offset:         64
        .size:           8
        .value_kind:     global_buffer
      - .address_space:  global
        .offset:         72
        .size:           8
        .value_kind:     global_buffer
      - .offset:         80
        .size:           4
        .value_kind:     by_value
      - .offset:         88
        .size:           8
        .value_kind:     by_value
      - .offset:         96
        .size:           4
        .value_kind:     by_value
    .group_segment_fixed_size: 8192
    .kernarg_segment_align: 8
    .kernarg_segment_size: 100
    .language:       OpenCL C
    .language_version:
      - 2
      - 0
    .max_flat_workgroup_size: 256
    .name:           _ZL29rocblas_internal_gemmt_kernelIiLi16ELi32ELi8ELc67ELc67ELc76ELb1ELb1E19rocblas_complex_numIdEPKS1_S3_PS1_EviT_T9_T10_S5_lS7_S5_lS6_T11_S5_li
    .private_segment_fixed_size: 0
    .sgpr_count:     42
    .sgpr_spill_count: 0
    .symbol:         _ZL29rocblas_internal_gemmt_kernelIiLi16ELi32ELi8ELc67ELc67ELc76ELb1ELb1E19rocblas_complex_numIdEPKS1_S3_PS1_EviT_T9_T10_S5_lS7_S5_lS6_T11_S5_li.kd
    .uniform_work_group_size: 1
    .uses_dynamic_stack: false
    .vgpr_count:     58
    .vgpr_spill_count: 0
    .wavefront_size: 64
  - .agpr_count:     0
    .args:
      - .offset:         0
        .size:           4
        .value_kind:     by_value
      - .offset:         4
        .size:           4
        .value_kind:     by_value
      - .offset:         8
        .size:           16
        .value_kind:     by_value
      - .address_space:  global
        .offset:         24
        .size:           8
        .value_kind:     global_buffer
      - .offset:         32
        .size:           4
        .value_kind:     by_value
      - .offset:         40
        .size:           8
        .value_kind:     by_value
      - .address_space:  global
        .offset:         48
        .size:           8
        .value_kind:     global_buffer
      - .offset:         56
        .size:           4
        .value_kind:     by_value
      - .offset:         64
        .size:           8
        .value_kind:     by_value
      - .offset:         72
        .size:           16
        .value_kind:     by_value
      - .address_space:  global
        .offset:         88
        .size:           8
        .value_kind:     global_buffer
      - .offset:         96
        .size:           4
        .value_kind:     by_value
      - .offset:         104
        .size:           8
        .value_kind:     by_value
      - .offset:         112
        .size:           4
        .value_kind:     by_value
    .group_segment_fixed_size: 8192
    .kernarg_segment_align: 8
    .kernarg_segment_size: 116
    .language:       OpenCL C
    .language_version:
      - 2
      - 0
    .max_flat_workgroup_size: 256
    .name:           _ZL29rocblas_internal_gemmt_kernelIiLi16ELi32ELi8ELc78ELc78ELc85ELb0ELb0E19rocblas_complex_numIdES1_PKS1_PS1_EviT_T9_T10_S5_lS7_S5_lS6_T11_S5_li
    .private_segment_fixed_size: 0
    .sgpr_count:     42
    .sgpr_spill_count: 0
    .symbol:         _ZL29rocblas_internal_gemmt_kernelIiLi16ELi32ELi8ELc78ELc78ELc85ELb0ELb0E19rocblas_complex_numIdES1_PKS1_PS1_EviT_T9_T10_S5_lS7_S5_lS6_T11_S5_li.kd
    .uniform_work_group_size: 1
    .uses_dynamic_stack: false
    .vgpr_count:     62
    .vgpr_spill_count: 0
    .wavefront_size: 64
  - .agpr_count:     0
    .args:
      - .offset:         0
        .size:           4
        .value_kind:     by_value
      - .offset:         4
        .size:           4
        .value_kind:     by_value
      - .offset:         8
        .size:           16
        .value_kind:     by_value
      - .address_space:  global
        .offset:         24
        .size:           8
        .value_kind:     global_buffer
      - .offset:         32
        .size:           4
        .value_kind:     by_value
      - .offset:         40
        .size:           8
        .value_kind:     by_value
      - .address_space:  global
        .offset:         48
        .size:           8
        .value_kind:     global_buffer
      - .offset:         56
        .size:           4
        .value_kind:     by_value
      - .offset:         64
        .size:           8
        .value_kind:     by_value
      - .offset:         72
        .size:           16
        .value_kind:     by_value
      - .address_space:  global
        .offset:         88
        .size:           8
        .value_kind:     global_buffer
      - .offset:         96
        .size:           4
        .value_kind:     by_value
      - .offset:         104
        .size:           8
        .value_kind:     by_value
      - .offset:         112
        .size:           4
        .value_kind:     by_value
    .group_segment_fixed_size: 8192
    .kernarg_segment_align: 8
    .kernarg_segment_size: 116
    .language:       OpenCL C
    .language_version:
      - 2
      - 0
    .max_flat_workgroup_size: 256
    .name:           _ZL29rocblas_internal_gemmt_kernelIiLi16ELi32ELi8ELc78ELc84ELc85ELb0ELb0E19rocblas_complex_numIdES1_PKS1_PS1_EviT_T9_T10_S5_lS7_S5_lS6_T11_S5_li
    .private_segment_fixed_size: 0
    .sgpr_count:     44
    .sgpr_spill_count: 0
    .symbol:         _ZL29rocblas_internal_gemmt_kernelIiLi16ELi32ELi8ELc78ELc84ELc85ELb0ELb0E19rocblas_complex_numIdES1_PKS1_PS1_EviT_T9_T10_S5_lS7_S5_lS6_T11_S5_li.kd
    .uniform_work_group_size: 1
    .uses_dynamic_stack: false
    .vgpr_count:     62
    .vgpr_spill_count: 0
    .wavefront_size: 64
  - .agpr_count:     0
    .args:
      - .offset:         0
        .size:           4
        .value_kind:     by_value
      - .offset:         4
        .size:           4
        .value_kind:     by_value
      - .offset:         8
        .size:           16
        .value_kind:     by_value
      - .address_space:  global
        .offset:         24
        .size:           8
        .value_kind:     global_buffer
      - .offset:         32
        .size:           4
        .value_kind:     by_value
      - .offset:         40
        .size:           8
        .value_kind:     by_value
      - .address_space:  global
        .offset:         48
        .size:           8
        .value_kind:     global_buffer
      - .offset:         56
        .size:           4
        .value_kind:     by_value
      - .offset:         64
        .size:           8
        .value_kind:     by_value
      - .offset:         72
        .size:           16
        .value_kind:     by_value
      - .address_space:  global
        .offset:         88
        .size:           8
        .value_kind:     global_buffer
      - .offset:         96
        .size:           4
        .value_kind:     by_value
      - .offset:         104
        .size:           8
        .value_kind:     by_value
      - .offset:         112
        .size:           4
        .value_kind:     by_value
    .group_segment_fixed_size: 8192
    .kernarg_segment_align: 8
    .kernarg_segment_size: 116
    .language:       OpenCL C
    .language_version:
      - 2
      - 0
    .max_flat_workgroup_size: 256
    .name:           _ZL29rocblas_internal_gemmt_kernelIiLi16ELi32ELi8ELc78ELc67ELc85ELb0ELb1E19rocblas_complex_numIdES1_PKS1_PS1_EviT_T9_T10_S5_lS7_S5_lS6_T11_S5_li
    .private_segment_fixed_size: 0
    .sgpr_count:     44
    .sgpr_spill_count: 0
    .symbol:         _ZL29rocblas_internal_gemmt_kernelIiLi16ELi32ELi8ELc78ELc67ELc85ELb0ELb1E19rocblas_complex_numIdES1_PKS1_PS1_EviT_T9_T10_S5_lS7_S5_lS6_T11_S5_li.kd
    .uniform_work_group_size: 1
    .uses_dynamic_stack: false
    .vgpr_count:     62
    .vgpr_spill_count: 0
    .wavefront_size: 64
  - .agpr_count:     0
    .args:
      - .offset:         0
        .size:           4
        .value_kind:     by_value
      - .offset:         4
        .size:           4
        .value_kind:     by_value
      - .offset:         8
        .size:           16
        .value_kind:     by_value
      - .address_space:  global
        .offset:         24
        .size:           8
        .value_kind:     global_buffer
      - .offset:         32
        .size:           4
        .value_kind:     by_value
      - .offset:         40
        .size:           8
        .value_kind:     by_value
      - .address_space:  global
        .offset:         48
        .size:           8
        .value_kind:     global_buffer
      - .offset:         56
        .size:           4
        .value_kind:     by_value
      - .offset:         64
        .size:           8
        .value_kind:     by_value
      - .offset:         72
        .size:           16
        .value_kind:     by_value
      - .address_space:  global
        .offset:         88
        .size:           8
        .value_kind:     global_buffer
      - .offset:         96
        .size:           4
        .value_kind:     by_value
      - .offset:         104
        .size:           8
        .value_kind:     by_value
      - .offset:         112
        .size:           4
        .value_kind:     by_value
    .group_segment_fixed_size: 8192
    .kernarg_segment_align: 8
    .kernarg_segment_size: 116
    .language:       OpenCL C
    .language_version:
      - 2
      - 0
    .max_flat_workgroup_size: 256
    .name:           _ZL29rocblas_internal_gemmt_kernelIiLi16ELi32ELi8ELc84ELc78ELc85ELb0ELb0E19rocblas_complex_numIdES1_PKS1_PS1_EviT_T9_T10_S5_lS7_S5_lS6_T11_S5_li
    .private_segment_fixed_size: 0
    .sgpr_count:     40
    .sgpr_spill_count: 0
    .symbol:         _ZL29rocblas_internal_gemmt_kernelIiLi16ELi32ELi8ELc84ELc78ELc85ELb0ELb0E19rocblas_complex_numIdES1_PKS1_PS1_EviT_T9_T10_S5_lS7_S5_lS6_T11_S5_li.kd
    .uniform_work_group_size: 1
    .uses_dynamic_stack: false
    .vgpr_count:     62
    .vgpr_spill_count: 0
    .wavefront_size: 64
  - .agpr_count:     0
    .args:
      - .offset:         0
        .size:           4
        .value_kind:     by_value
      - .offset:         4
        .size:           4
        .value_kind:     by_value
      - .offset:         8
        .size:           16
        .value_kind:     by_value
      - .address_space:  global
        .offset:         24
        .size:           8
        .value_kind:     global_buffer
      - .offset:         32
        .size:           4
        .value_kind:     by_value
      - .offset:         40
        .size:           8
        .value_kind:     by_value
      - .address_space:  global
        .offset:         48
        .size:           8
        .value_kind:     global_buffer
      - .offset:         56
        .size:           4
        .value_kind:     by_value
      - .offset:         64
        .size:           8
        .value_kind:     by_value
      - .offset:         72
        .size:           16
        .value_kind:     by_value
      - .address_space:  global
        .offset:         88
        .size:           8
        .value_kind:     global_buffer
      - .offset:         96
        .size:           4
        .value_kind:     by_value
      - .offset:         104
        .size:           8
        .value_kind:     by_value
      - .offset:         112
        .size:           4
        .value_kind:     by_value
    .group_segment_fixed_size: 8192
    .kernarg_segment_align: 8
    .kernarg_segment_size: 116
    .language:       OpenCL C
    .language_version:
      - 2
      - 0
    .max_flat_workgroup_size: 256
    .name:           _ZL29rocblas_internal_gemmt_kernelIiLi16ELi32ELi8ELc84ELc84ELc85ELb0ELb0E19rocblas_complex_numIdES1_PKS1_PS1_EviT_T9_T10_S5_lS7_S5_lS6_T11_S5_li
    .private_segment_fixed_size: 0
    .sgpr_count:     42
    .sgpr_spill_count: 0
    .symbol:         _ZL29rocblas_internal_gemmt_kernelIiLi16ELi32ELi8ELc84ELc84ELc85ELb0ELb0E19rocblas_complex_numIdES1_PKS1_PS1_EviT_T9_T10_S5_lS7_S5_lS6_T11_S5_li.kd
    .uniform_work_group_size: 1
    .uses_dynamic_stack: false
    .vgpr_count:     62
    .vgpr_spill_count: 0
    .wavefront_size: 64
  - .agpr_count:     0
    .args:
      - .offset:         0
        .size:           4
        .value_kind:     by_value
      - .offset:         4
        .size:           4
        .value_kind:     by_value
      - .offset:         8
        .size:           16
        .value_kind:     by_value
      - .address_space:  global
        .offset:         24
        .size:           8
        .value_kind:     global_buffer
      - .offset:         32
        .size:           4
        .value_kind:     by_value
      - .offset:         40
        .size:           8
        .value_kind:     by_value
      - .address_space:  global
        .offset:         48
        .size:           8
        .value_kind:     global_buffer
      - .offset:         56
        .size:           4
        .value_kind:     by_value
      - .offset:         64
        .size:           8
        .value_kind:     by_value
      - .offset:         72
        .size:           16
        .value_kind:     by_value
      - .address_space:  global
        .offset:         88
        .size:           8
        .value_kind:     global_buffer
      - .offset:         96
        .size:           4
        .value_kind:     by_value
      - .offset:         104
        .size:           8
        .value_kind:     by_value
      - .offset:         112
        .size:           4
        .value_kind:     by_value
    .group_segment_fixed_size: 8192
    .kernarg_segment_align: 8
    .kernarg_segment_size: 116
    .language:       OpenCL C
    .language_version:
      - 2
      - 0
    .max_flat_workgroup_size: 256
    .name:           _ZL29rocblas_internal_gemmt_kernelIiLi16ELi32ELi8ELc84ELc67ELc85ELb0ELb1E19rocblas_complex_numIdES1_PKS1_PS1_EviT_T9_T10_S5_lS7_S5_lS6_T11_S5_li
    .private_segment_fixed_size: 0
    .sgpr_count:     42
    .sgpr_spill_count: 0
    .symbol:         _ZL29rocblas_internal_gemmt_kernelIiLi16ELi32ELi8ELc84ELc67ELc85ELb0ELb1E19rocblas_complex_numIdES1_PKS1_PS1_EviT_T9_T10_S5_lS7_S5_lS6_T11_S5_li.kd
    .uniform_work_group_size: 1
    .uses_dynamic_stack: false
    .vgpr_count:     62
    .vgpr_spill_count: 0
    .wavefront_size: 64
  - .agpr_count:     0
    .args:
      - .offset:         0
        .size:           4
        .value_kind:     by_value
      - .offset:         4
        .size:           4
        .value_kind:     by_value
      - .offset:         8
        .size:           16
        .value_kind:     by_value
      - .address_space:  global
        .offset:         24
        .size:           8
        .value_kind:     global_buffer
      - .offset:         32
        .size:           4
        .value_kind:     by_value
      - .offset:         40
        .size:           8
        .value_kind:     by_value
      - .address_space:  global
        .offset:         48
        .size:           8
        .value_kind:     global_buffer
      - .offset:         56
        .size:           4
        .value_kind:     by_value
      - .offset:         64
        .size:           8
        .value_kind:     by_value
      - .offset:         72
        .size:           16
        .value_kind:     by_value
      - .address_space:  global
        .offset:         88
        .size:           8
        .value_kind:     global_buffer
      - .offset:         96
        .size:           4
        .value_kind:     by_value
      - .offset:         104
        .size:           8
        .value_kind:     by_value
      - .offset:         112
        .size:           4
        .value_kind:     by_value
    .group_segment_fixed_size: 8192
    .kernarg_segment_align: 8
    .kernarg_segment_size: 116
    .language:       OpenCL C
    .language_version:
      - 2
      - 0
    .max_flat_workgroup_size: 256
    .name:           _ZL29rocblas_internal_gemmt_kernelIiLi16ELi32ELi8ELc67ELc78ELc85ELb1ELb0E19rocblas_complex_numIdES1_PKS1_PS1_EviT_T9_T10_S5_lS7_S5_lS6_T11_S5_li
    .private_segment_fixed_size: 0
    .sgpr_count:     40
    .sgpr_spill_count: 0
    .symbol:         _ZL29rocblas_internal_gemmt_kernelIiLi16ELi32ELi8ELc67ELc78ELc85ELb1ELb0E19rocblas_complex_numIdES1_PKS1_PS1_EviT_T9_T10_S5_lS7_S5_lS6_T11_S5_li.kd
    .uniform_work_group_size: 1
    .uses_dynamic_stack: false
    .vgpr_count:     62
    .vgpr_spill_count: 0
    .wavefront_size: 64
  - .agpr_count:     0
    .args:
      - .offset:         0
        .size:           4
        .value_kind:     by_value
      - .offset:         4
        .size:           4
        .value_kind:     by_value
      - .offset:         8
        .size:           16
        .value_kind:     by_value
      - .address_space:  global
        .offset:         24
        .size:           8
        .value_kind:     global_buffer
      - .offset:         32
        .size:           4
        .value_kind:     by_value
      - .offset:         40
        .size:           8
        .value_kind:     by_value
      - .address_space:  global
        .offset:         48
        .size:           8
        .value_kind:     global_buffer
      - .offset:         56
        .size:           4
        .value_kind:     by_value
      - .offset:         64
        .size:           8
        .value_kind:     by_value
      - .offset:         72
        .size:           16
        .value_kind:     by_value
      - .address_space:  global
        .offset:         88
        .size:           8
        .value_kind:     global_buffer
      - .offset:         96
        .size:           4
        .value_kind:     by_value
      - .offset:         104
        .size:           8
        .value_kind:     by_value
      - .offset:         112
        .size:           4
        .value_kind:     by_value
    .group_segment_fixed_size: 8192
    .kernarg_segment_align: 8
    .kernarg_segment_size: 116
    .language:       OpenCL C
    .language_version:
      - 2
      - 0
    .max_flat_workgroup_size: 256
    .name:           _ZL29rocblas_internal_gemmt_kernelIiLi16ELi32ELi8ELc67ELc84ELc85ELb1ELb0E19rocblas_complex_numIdES1_PKS1_PS1_EviT_T9_T10_S5_lS7_S5_lS6_T11_S5_li
    .private_segment_fixed_size: 0
    .sgpr_count:     42
    .sgpr_spill_count: 0
    .symbol:         _ZL29rocblas_internal_gemmt_kernelIiLi16ELi32ELi8ELc67ELc84ELc85ELb1ELb0E19rocblas_complex_numIdES1_PKS1_PS1_EviT_T9_T10_S5_lS7_S5_lS6_T11_S5_li.kd
    .uniform_work_group_size: 1
    .uses_dynamic_stack: false
    .vgpr_count:     62
    .vgpr_spill_count: 0
    .wavefront_size: 64
  - .agpr_count:     0
    .args:
      - .offset:         0
        .size:           4
        .value_kind:     by_value
      - .offset:         4
        .size:           4
        .value_kind:     by_value
      - .offset:         8
        .size:           16
        .value_kind:     by_value
      - .address_space:  global
        .offset:         24
        .size:           8
        .value_kind:     global_buffer
      - .offset:         32
        .size:           4
        .value_kind:     by_value
      - .offset:         40
        .size:           8
        .value_kind:     by_value
      - .address_space:  global
        .offset:         48
        .size:           8
        .value_kind:     global_buffer
      - .offset:         56
        .size:           4
        .value_kind:     by_value
      - .offset:         64
        .size:           8
        .value_kind:     by_value
      - .offset:         72
        .size:           16
        .value_kind:     by_value
      - .address_space:  global
        .offset:         88
        .size:           8
        .value_kind:     global_buffer
      - .offset:         96
        .size:           4
        .value_kind:     by_value
      - .offset:         104
        .size:           8
        .value_kind:     by_value
      - .offset:         112
        .size:           4
        .value_kind:     by_value
    .group_segment_fixed_size: 8192
    .kernarg_segment_align: 8
    .kernarg_segment_size: 116
    .language:       OpenCL C
    .language_version:
      - 2
      - 0
    .max_flat_workgroup_size: 256
    .name:           _ZL29rocblas_internal_gemmt_kernelIiLi16ELi32ELi8ELc67ELc67ELc85ELb1ELb1E19rocblas_complex_numIdES1_PKS1_PS1_EviT_T9_T10_S5_lS7_S5_lS6_T11_S5_li
    .private_segment_fixed_size: 0
    .sgpr_count:     42
    .sgpr_spill_count: 0
    .symbol:         _ZL29rocblas_internal_gemmt_kernelIiLi16ELi32ELi8ELc67ELc67ELc85ELb1ELb1E19rocblas_complex_numIdES1_PKS1_PS1_EviT_T9_T10_S5_lS7_S5_lS6_T11_S5_li.kd
    .uniform_work_group_size: 1
    .uses_dynamic_stack: false
    .vgpr_count:     58
    .vgpr_spill_count: 0
    .wavefront_size: 64
  - .agpr_count:     0
    .args:
      - .offset:         0
        .size:           4
        .value_kind:     by_value
      - .offset:         4
        .size:           4
        .value_kind:     by_value
      - .offset:         8
        .size:           16
        .value_kind:     by_value
      - .address_space:  global
        .offset:         24
        .size:           8
        .value_kind:     global_buffer
      - .offset:         32
        .size:           4
        .value_kind:     by_value
      - .offset:         40
        .size:           8
        .value_kind:     by_value
      - .address_space:  global
        .offset:         48
        .size:           8
        .value_kind:     global_buffer
      - .offset:         56
        .size:           4
        .value_kind:     by_value
      - .offset:         64
        .size:           8
        .value_kind:     by_value
      - .offset:         72
        .size:           16
        .value_kind:     by_value
      - .address_space:  global
        .offset:         88
        .size:           8
        .value_kind:     global_buffer
      - .offset:         96
        .size:           4
        .value_kind:     by_value
      - .offset:         104
        .size:           8
        .value_kind:     by_value
      - .offset:         112
        .size:           4
        .value_kind:     by_value
    .group_segment_fixed_size: 8192
    .kernarg_segment_align: 8
    .kernarg_segment_size: 116
    .language:       OpenCL C
    .language_version:
      - 2
      - 0
    .max_flat_workgroup_size: 256
    .name:           _ZL29rocblas_internal_gemmt_kernelIiLi16ELi32ELi8ELc78ELc78ELc76ELb0ELb0E19rocblas_complex_numIdES1_PKS1_PS1_EviT_T9_T10_S5_lS7_S5_lS6_T11_S5_li
    .private_segment_fixed_size: 0
    .sgpr_count:     42
    .sgpr_spill_count: 0
    .symbol:         _ZL29rocblas_internal_gemmt_kernelIiLi16ELi32ELi8ELc78ELc78ELc76ELb0ELb0E19rocblas_complex_numIdES1_PKS1_PS1_EviT_T9_T10_S5_lS7_S5_lS6_T11_S5_li.kd
    .uniform_work_group_size: 1
    .uses_dynamic_stack: false
    .vgpr_count:     62
    .vgpr_spill_count: 0
    .wavefront_size: 64
  - .agpr_count:     0
    .args:
      - .offset:         0
        .size:           4
        .value_kind:     by_value
      - .offset:         4
        .size:           4
        .value_kind:     by_value
      - .offset:         8
        .size:           16
        .value_kind:     by_value
      - .address_space:  global
        .offset:         24
        .size:           8
        .value_kind:     global_buffer
      - .offset:         32
        .size:           4
        .value_kind:     by_value
      - .offset:         40
        .size:           8
        .value_kind:     by_value
      - .address_space:  global
        .offset:         48
        .size:           8
        .value_kind:     global_buffer
      - .offset:         56
        .size:           4
        .value_kind:     by_value
      - .offset:         64
        .size:           8
        .value_kind:     by_value
      - .offset:         72
        .size:           16
        .value_kind:     by_value
      - .address_space:  global
        .offset:         88
        .size:           8
        .value_kind:     global_buffer
      - .offset:         96
        .size:           4
        .value_kind:     by_value
      - .offset:         104
        .size:           8
        .value_kind:     by_value
      - .offset:         112
        .size:           4
        .value_kind:     by_value
    .group_segment_fixed_size: 8192
    .kernarg_segment_align: 8
    .kernarg_segment_size: 116
    .language:       OpenCL C
    .language_version:
      - 2
      - 0
    .max_flat_workgroup_size: 256
    .name:           _ZL29rocblas_internal_gemmt_kernelIiLi16ELi32ELi8ELc78ELc84ELc76ELb0ELb0E19rocblas_complex_numIdES1_PKS1_PS1_EviT_T9_T10_S5_lS7_S5_lS6_T11_S5_li
    .private_segment_fixed_size: 0
    .sgpr_count:     44
    .sgpr_spill_count: 0
    .symbol:         _ZL29rocblas_internal_gemmt_kernelIiLi16ELi32ELi8ELc78ELc84ELc76ELb0ELb0E19rocblas_complex_numIdES1_PKS1_PS1_EviT_T9_T10_S5_lS7_S5_lS6_T11_S5_li.kd
    .uniform_work_group_size: 1
    .uses_dynamic_stack: false
    .vgpr_count:     62
    .vgpr_spill_count: 0
    .wavefront_size: 64
  - .agpr_count:     0
    .args:
      - .offset:         0
        .size:           4
        .value_kind:     by_value
      - .offset:         4
        .size:           4
        .value_kind:     by_value
      - .offset:         8
        .size:           16
        .value_kind:     by_value
      - .address_space:  global
        .offset:         24
        .size:           8
        .value_kind:     global_buffer
      - .offset:         32
        .size:           4
        .value_kind:     by_value
      - .offset:         40
        .size:           8
        .value_kind:     by_value
      - .address_space:  global
        .offset:         48
        .size:           8
        .value_kind:     global_buffer
      - .offset:         56
        .size:           4
        .value_kind:     by_value
      - .offset:         64
        .size:           8
        .value_kind:     by_value
      - .offset:         72
        .size:           16
        .value_kind:     by_value
      - .address_space:  global
        .offset:         88
        .size:           8
        .value_kind:     global_buffer
      - .offset:         96
        .size:           4
        .value_kind:     by_value
      - .offset:         104
        .size:           8
        .value_kind:     by_value
      - .offset:         112
        .size:           4
        .value_kind:     by_value
    .group_segment_fixed_size: 8192
    .kernarg_segment_align: 8
    .kernarg_segment_size: 116
    .language:       OpenCL C
    .language_version:
      - 2
      - 0
    .max_flat_workgroup_size: 256
    .name:           _ZL29rocblas_internal_gemmt_kernelIiLi16ELi32ELi8ELc78ELc67ELc76ELb0ELb1E19rocblas_complex_numIdES1_PKS1_PS1_EviT_T9_T10_S5_lS7_S5_lS6_T11_S5_li
    .private_segment_fixed_size: 0
    .sgpr_count:     44
    .sgpr_spill_count: 0
    .symbol:         _ZL29rocblas_internal_gemmt_kernelIiLi16ELi32ELi8ELc78ELc67ELc76ELb0ELb1E19rocblas_complex_numIdES1_PKS1_PS1_EviT_T9_T10_S5_lS7_S5_lS6_T11_S5_li.kd
    .uniform_work_group_size: 1
    .uses_dynamic_stack: false
    .vgpr_count:     62
    .vgpr_spill_count: 0
    .wavefront_size: 64
  - .agpr_count:     0
    .args:
      - .offset:         0
        .size:           4
        .value_kind:     by_value
      - .offset:         4
        .size:           4
        .value_kind:     by_value
      - .offset:         8
        .size:           16
        .value_kind:     by_value
      - .address_space:  global
        .offset:         24
        .size:           8
        .value_kind:     global_buffer
      - .offset:         32
        .size:           4
        .value_kind:     by_value
      - .offset:         40
        .size:           8
        .value_kind:     by_value
      - .address_space:  global
        .offset:         48
        .size:           8
        .value_kind:     global_buffer
      - .offset:         56
        .size:           4
        .value_kind:     by_value
      - .offset:         64
        .size:           8
        .value_kind:     by_value
      - .offset:         72
        .size:           16
        .value_kind:     by_value
      - .address_space:  global
        .offset:         88
        .size:           8
        .value_kind:     global_buffer
      - .offset:         96
        .size:           4
        .value_kind:     by_value
      - .offset:         104
        .size:           8
        .value_kind:     by_value
      - .offset:         112
        .size:           4
        .value_kind:     by_value
    .group_segment_fixed_size: 8192
    .kernarg_segment_align: 8
    .kernarg_segment_size: 116
    .language:       OpenCL C
    .language_version:
      - 2
      - 0
    .max_flat_workgroup_size: 256
    .name:           _ZL29rocblas_internal_gemmt_kernelIiLi16ELi32ELi8ELc84ELc78ELc76ELb0ELb0E19rocblas_complex_numIdES1_PKS1_PS1_EviT_T9_T10_S5_lS7_S5_lS6_T11_S5_li
    .private_segment_fixed_size: 0
    .sgpr_count:     40
    .sgpr_spill_count: 0
    .symbol:         _ZL29rocblas_internal_gemmt_kernelIiLi16ELi32ELi8ELc84ELc78ELc76ELb0ELb0E19rocblas_complex_numIdES1_PKS1_PS1_EviT_T9_T10_S5_lS7_S5_lS6_T11_S5_li.kd
    .uniform_work_group_size: 1
    .uses_dynamic_stack: false
    .vgpr_count:     62
    .vgpr_spill_count: 0
    .wavefront_size: 64
  - .agpr_count:     0
    .args:
      - .offset:         0
        .size:           4
        .value_kind:     by_value
      - .offset:         4
        .size:           4
        .value_kind:     by_value
      - .offset:         8
        .size:           16
        .value_kind:     by_value
      - .address_space:  global
        .offset:         24
        .size:           8
        .value_kind:     global_buffer
      - .offset:         32
        .size:           4
        .value_kind:     by_value
      - .offset:         40
        .size:           8
        .value_kind:     by_value
      - .address_space:  global
        .offset:         48
        .size:           8
        .value_kind:     global_buffer
      - .offset:         56
        .size:           4
        .value_kind:     by_value
      - .offset:         64
        .size:           8
        .value_kind:     by_value
      - .offset:         72
        .size:           16
        .value_kind:     by_value
      - .address_space:  global
        .offset:         88
        .size:           8
        .value_kind:     global_buffer
      - .offset:         96
        .size:           4
        .value_kind:     by_value
      - .offset:         104
        .size:           8
        .value_kind:     by_value
      - .offset:         112
        .size:           4
        .value_kind:     by_value
    .group_segment_fixed_size: 8192
    .kernarg_segment_align: 8
    .kernarg_segment_size: 116
    .language:       OpenCL C
    .language_version:
      - 2
      - 0
    .max_flat_workgroup_size: 256
    .name:           _ZL29rocblas_internal_gemmt_kernelIiLi16ELi32ELi8ELc84ELc84ELc76ELb0ELb0E19rocblas_complex_numIdES1_PKS1_PS1_EviT_T9_T10_S5_lS7_S5_lS6_T11_S5_li
    .private_segment_fixed_size: 0
    .sgpr_count:     42
    .sgpr_spill_count: 0
    .symbol:         _ZL29rocblas_internal_gemmt_kernelIiLi16ELi32ELi8ELc84ELc84ELc76ELb0ELb0E19rocblas_complex_numIdES1_PKS1_PS1_EviT_T9_T10_S5_lS7_S5_lS6_T11_S5_li.kd
    .uniform_work_group_size: 1
    .uses_dynamic_stack: false
    .vgpr_count:     62
    .vgpr_spill_count: 0
    .wavefront_size: 64
  - .agpr_count:     0
    .args:
      - .offset:         0
        .size:           4
        .value_kind:     by_value
      - .offset:         4
        .size:           4
        .value_kind:     by_value
      - .offset:         8
        .size:           16
        .value_kind:     by_value
      - .address_space:  global
        .offset:         24
        .size:           8
        .value_kind:     global_buffer
      - .offset:         32
        .size:           4
        .value_kind:     by_value
      - .offset:         40
        .size:           8
        .value_kind:     by_value
      - .address_space:  global
        .offset:         48
        .size:           8
        .value_kind:     global_buffer
      - .offset:         56
        .size:           4
        .value_kind:     by_value
      - .offset:         64
        .size:           8
        .value_kind:     by_value
      - .offset:         72
        .size:           16
        .value_kind:     by_value
      - .address_space:  global
        .offset:         88
        .size:           8
        .value_kind:     global_buffer
      - .offset:         96
        .size:           4
        .value_kind:     by_value
      - .offset:         104
        .size:           8
        .value_kind:     by_value
      - .offset:         112
        .size:           4
        .value_kind:     by_value
    .group_segment_fixed_size: 8192
    .kernarg_segment_align: 8
    .kernarg_segment_size: 116
    .language:       OpenCL C
    .language_version:
      - 2
      - 0
    .max_flat_workgroup_size: 256
    .name:           _ZL29rocblas_internal_gemmt_kernelIiLi16ELi32ELi8ELc84ELc67ELc76ELb0ELb1E19rocblas_complex_numIdES1_PKS1_PS1_EviT_T9_T10_S5_lS7_S5_lS6_T11_S5_li
    .private_segment_fixed_size: 0
    .sgpr_count:     42
    .sgpr_spill_count: 0
    .symbol:         _ZL29rocblas_internal_gemmt_kernelIiLi16ELi32ELi8ELc84ELc67ELc76ELb0ELb1E19rocblas_complex_numIdES1_PKS1_PS1_EviT_T9_T10_S5_lS7_S5_lS6_T11_S5_li.kd
    .uniform_work_group_size: 1
    .uses_dynamic_stack: false
    .vgpr_count:     62
    .vgpr_spill_count: 0
    .wavefront_size: 64
  - .agpr_count:     0
    .args:
      - .offset:         0
        .size:           4
        .value_kind:     by_value
      - .offset:         4
        .size:           4
        .value_kind:     by_value
      - .offset:         8
        .size:           16
        .value_kind:     by_value
      - .address_space:  global
        .offset:         24
        .size:           8
        .value_kind:     global_buffer
      - .offset:         32
        .size:           4
        .value_kind:     by_value
      - .offset:         40
        .size:           8
        .value_kind:     by_value
      - .address_space:  global
        .offset:         48
        .size:           8
        .value_kind:     global_buffer
      - .offset:         56
        .size:           4
        .value_kind:     by_value
      - .offset:         64
        .size:           8
        .value_kind:     by_value
      - .offset:         72
        .size:           16
        .value_kind:     by_value
      - .address_space:  global
        .offset:         88
        .size:           8
        .value_kind:     global_buffer
      - .offset:         96
        .size:           4
        .value_kind:     by_value
      - .offset:         104
        .size:           8
        .value_kind:     by_value
      - .offset:         112
        .size:           4
        .value_kind:     by_value
    .group_segment_fixed_size: 8192
    .kernarg_segment_align: 8
    .kernarg_segment_size: 116
    .language:       OpenCL C
    .language_version:
      - 2
      - 0
    .max_flat_workgroup_size: 256
    .name:           _ZL29rocblas_internal_gemmt_kernelIiLi16ELi32ELi8ELc67ELc78ELc76ELb1ELb0E19rocblas_complex_numIdES1_PKS1_PS1_EviT_T9_T10_S5_lS7_S5_lS6_T11_S5_li
    .private_segment_fixed_size: 0
    .sgpr_count:     40
    .sgpr_spill_count: 0
    .symbol:         _ZL29rocblas_internal_gemmt_kernelIiLi16ELi32ELi8ELc67ELc78ELc76ELb1ELb0E19rocblas_complex_numIdES1_PKS1_PS1_EviT_T9_T10_S5_lS7_S5_lS6_T11_S5_li.kd
    .uniform_work_group_size: 1
    .uses_dynamic_stack: false
    .vgpr_count:     62
    .vgpr_spill_count: 0
    .wavefront_size: 64
  - .agpr_count:     0
    .args:
      - .offset:         0
        .size:           4
        .value_kind:     by_value
      - .offset:         4
        .size:           4
        .value_kind:     by_value
      - .offset:         8
        .size:           16
        .value_kind:     by_value
      - .address_space:  global
        .offset:         24
        .size:           8
        .value_kind:     global_buffer
      - .offset:         32
        .size:           4
        .value_kind:     by_value
      - .offset:         40
        .size:           8
        .value_kind:     by_value
      - .address_space:  global
        .offset:         48
        .size:           8
        .value_kind:     global_buffer
      - .offset:         56
        .size:           4
        .value_kind:     by_value
      - .offset:         64
        .size:           8
        .value_kind:     by_value
      - .offset:         72
        .size:           16
        .value_kind:     by_value
      - .address_space:  global
        .offset:         88
        .size:           8
        .value_kind:     global_buffer
      - .offset:         96
        .size:           4
        .value_kind:     by_value
      - .offset:         104
        .size:           8
        .value_kind:     by_value
      - .offset:         112
        .size:           4
        .value_kind:     by_value
    .group_segment_fixed_size: 8192
    .kernarg_segment_align: 8
    .kernarg_segment_size: 116
    .language:       OpenCL C
    .language_version:
      - 2
      - 0
    .max_flat_workgroup_size: 256
    .name:           _ZL29rocblas_internal_gemmt_kernelIiLi16ELi32ELi8ELc67ELc84ELc76ELb1ELb0E19rocblas_complex_numIdES1_PKS1_PS1_EviT_T9_T10_S5_lS7_S5_lS6_T11_S5_li
    .private_segment_fixed_size: 0
    .sgpr_count:     42
    .sgpr_spill_count: 0
    .symbol:         _ZL29rocblas_internal_gemmt_kernelIiLi16ELi32ELi8ELc67ELc84ELc76ELb1ELb0E19rocblas_complex_numIdES1_PKS1_PS1_EviT_T9_T10_S5_lS7_S5_lS6_T11_S5_li.kd
    .uniform_work_group_size: 1
    .uses_dynamic_stack: false
    .vgpr_count:     62
    .vgpr_spill_count: 0
    .wavefront_size: 64
  - .agpr_count:     0
    .args:
      - .offset:         0
        .size:           4
        .value_kind:     by_value
      - .offset:         4
        .size:           4
        .value_kind:     by_value
      - .offset:         8
        .size:           16
        .value_kind:     by_value
      - .address_space:  global
        .offset:         24
        .size:           8
        .value_kind:     global_buffer
      - .offset:         32
        .size:           4
        .value_kind:     by_value
      - .offset:         40
        .size:           8
        .value_kind:     by_value
      - .address_space:  global
        .offset:         48
        .size:           8
        .value_kind:     global_buffer
      - .offset:         56
        .size:           4
        .value_kind:     by_value
      - .offset:         64
        .size:           8
        .value_kind:     by_value
      - .offset:         72
        .size:           16
        .value_kind:     by_value
      - .address_space:  global
        .offset:         88
        .size:           8
        .value_kind:     global_buffer
      - .offset:         96
        .size:           4
        .value_kind:     by_value
      - .offset:         104
        .size:           8
        .value_kind:     by_value
      - .offset:         112
        .size:           4
        .value_kind:     by_value
    .group_segment_fixed_size: 8192
    .kernarg_segment_align: 8
    .kernarg_segment_size: 116
    .language:       OpenCL C
    .language_version:
      - 2
      - 0
    .max_flat_workgroup_size: 256
    .name:           _ZL29rocblas_internal_gemmt_kernelIiLi16ELi32ELi8ELc67ELc67ELc76ELb1ELb1E19rocblas_complex_numIdES1_PKS1_PS1_EviT_T9_T10_S5_lS7_S5_lS6_T11_S5_li
    .private_segment_fixed_size: 0
    .sgpr_count:     42
    .sgpr_spill_count: 0
    .symbol:         _ZL29rocblas_internal_gemmt_kernelIiLi16ELi32ELi8ELc67ELc67ELc76ELb1ELb1E19rocblas_complex_numIdES1_PKS1_PS1_EviT_T9_T10_S5_lS7_S5_lS6_T11_S5_li.kd
    .uniform_work_group_size: 1
    .uses_dynamic_stack: false
    .vgpr_count:     58
    .vgpr_spill_count: 0
    .wavefront_size: 64
  - .agpr_count:     0
    .args:
      - .offset:         0
        .size:           4
        .value_kind:     by_value
      - .offset:         8
        .size:           8
        .value_kind:     by_value
      - .address_space:  global
        .offset:         16
        .size:           8
        .value_kind:     global_buffer
      - .address_space:  global
        .offset:         24
        .size:           8
        .value_kind:     global_buffer
      - .offset:         32
        .size:           8
        .value_kind:     by_value
      - .offset:         40
        .size:           8
        .value_kind:     by_value
      - .address_space:  global
        .offset:         48
        .size:           8
        .value_kind:     global_buffer
      - .offset:         56
        .size:           8
        .value_kind:     by_value
      - .offset:         64
        .size:           8
        .value_kind:     by_value
      - .address_space:  global
        .offset:         72
        .size:           8
        .value_kind:     global_buffer
      - .address_space:  global
        .offset:         80
        .size:           8
        .value_kind:     global_buffer
      - .offset:         88
        .size:           8
        .value_kind:     by_value
      - .offset:         96
        .size:           8
        .value_kind:     by_value
      - .offset:         104
        .size:           4
        .value_kind:     by_value
    .group_segment_fixed_size: 2048
    .kernarg_segment_align: 8
    .kernarg_segment_size: 108
    .language:       OpenCL C
    .language_version:
      - 2
      - 0
    .max_flat_workgroup_size: 256
    .name:           _ZL29rocblas_internal_gemmt_kernelIlLi16ELi32ELi8ELc78ELc78ELc85ELb0ELb0EfPKfS1_PfEviT_T9_T10_S3_lS5_S3_lS4_T11_S3_li
    .private_segment_fixed_size: 0
    .sgpr_count:     42
    .sgpr_spill_count: 0
    .symbol:         _ZL29rocblas_internal_gemmt_kernelIlLi16ELi32ELi8ELc78ELc78ELc85ELb0ELb0EfPKfS1_PfEviT_T9_T10_S3_lS5_S3_lS4_T11_S3_li.kd
    .uniform_work_group_size: 1
    .uses_dynamic_stack: false
    .vgpr_count:     50
    .vgpr_spill_count: 0
    .wavefront_size: 64
  - .agpr_count:     0
    .args:
      - .offset:         0
        .size:           4
        .value_kind:     by_value
      - .offset:         8
        .size:           8
        .value_kind:     by_value
      - .address_space:  global
        .offset:         16
        .size:           8
        .value_kind:     global_buffer
      - .address_space:  global
        .offset:         24
        .size:           8
        .value_kind:     global_buffer
      - .offset:         32
        .size:           8
        .value_kind:     by_value
      - .offset:         40
        .size:           8
        .value_kind:     by_value
      - .address_space:  global
        .offset:         48
        .size:           8
        .value_kind:     global_buffer
      - .offset:         56
        .size:           8
        .value_kind:     by_value
      - .offset:         64
        .size:           8
        .value_kind:     by_value
      - .address_space:  global
        .offset:         72
        .size:           8
        .value_kind:     global_buffer
      - .address_space:  global
        .offset:         80
        .size:           8
        .value_kind:     global_buffer
      - .offset:         88
        .size:           8
        .value_kind:     by_value
      - .offset:         96
        .size:           8
        .value_kind:     by_value
      - .offset:         104
        .size:           4
        .value_kind:     by_value
    .group_segment_fixed_size: 2048
    .kernarg_segment_align: 8
    .kernarg_segment_size: 108
    .language:       OpenCL C
    .language_version:
      - 2
      - 0
    .max_flat_workgroup_size: 256
    .name:           _ZL29rocblas_internal_gemmt_kernelIlLi16ELi32ELi8ELc78ELc84ELc85ELb0ELb0EfPKfS1_PfEviT_T9_T10_S3_lS5_S3_lS4_T11_S3_li
    .private_segment_fixed_size: 0
    .sgpr_count:     42
    .sgpr_spill_count: 0
    .symbol:         _ZL29rocblas_internal_gemmt_kernelIlLi16ELi32ELi8ELc78ELc84ELc85ELb0ELb0EfPKfS1_PfEviT_T9_T10_S3_lS5_S3_lS4_T11_S3_li.kd
    .uniform_work_group_size: 1
    .uses_dynamic_stack: false
    .vgpr_count:     50
    .vgpr_spill_count: 0
    .wavefront_size: 64
  - .agpr_count:     0
    .args:
      - .offset:         0
        .size:           4
        .value_kind:     by_value
      - .offset:         8
        .size:           8
        .value_kind:     by_value
      - .address_space:  global
        .offset:         16
        .size:           8
        .value_kind:     global_buffer
      - .address_space:  global
        .offset:         24
        .size:           8
        .value_kind:     global_buffer
      - .offset:         32
        .size:           8
        .value_kind:     by_value
      - .offset:         40
        .size:           8
        .value_kind:     by_value
      - .address_space:  global
        .offset:         48
        .size:           8
        .value_kind:     global_buffer
      - .offset:         56
        .size:           8
        .value_kind:     by_value
      - .offset:         64
        .size:           8
        .value_kind:     by_value
      - .address_space:  global
        .offset:         72
        .size:           8
        .value_kind:     global_buffer
      - .address_space:  global
        .offset:         80
        .size:           8
        .value_kind:     global_buffer
      - .offset:         88
        .size:           8
        .value_kind:     by_value
      - .offset:         96
        .size:           8
        .value_kind:     by_value
      - .offset:         104
        .size:           4
        .value_kind:     by_value
    .group_segment_fixed_size: 2048
    .kernarg_segment_align: 8
    .kernarg_segment_size: 108
    .language:       OpenCL C
    .language_version:
      - 2
      - 0
    .max_flat_workgroup_size: 256
    .name:           _ZL29rocblas_internal_gemmt_kernelIlLi16ELi32ELi8ELc78ELc67ELc85ELb0ELb0EfPKfS1_PfEviT_T9_T10_S3_lS5_S3_lS4_T11_S3_li
    .private_segment_fixed_size: 0
    .sgpr_count:     42
    .sgpr_spill_count: 0
    .symbol:         _ZL29rocblas_internal_gemmt_kernelIlLi16ELi32ELi8ELc78ELc67ELc85ELb0ELb0EfPKfS1_PfEviT_T9_T10_S3_lS5_S3_lS4_T11_S3_li.kd
    .uniform_work_group_size: 1
    .uses_dynamic_stack: false
    .vgpr_count:     50
    .vgpr_spill_count: 0
    .wavefront_size: 64
  - .agpr_count:     0
    .args:
      - .offset:         0
        .size:           4
        .value_kind:     by_value
      - .offset:         8
        .size:           8
        .value_kind:     by_value
      - .address_space:  global
        .offset:         16
        .size:           8
        .value_kind:     global_buffer
      - .address_space:  global
        .offset:         24
        .size:           8
        .value_kind:     global_buffer
      - .offset:         32
        .size:           8
        .value_kind:     by_value
      - .offset:         40
        .size:           8
        .value_kind:     by_value
      - .address_space:  global
        .offset:         48
        .size:           8
        .value_kind:     global_buffer
      - .offset:         56
        .size:           8
        .value_kind:     by_value
      - .offset:         64
        .size:           8
        .value_kind:     by_value
      - .address_space:  global
        .offset:         72
        .size:           8
        .value_kind:     global_buffer
      - .address_space:  global
        .offset:         80
        .size:           8
        .value_kind:     global_buffer
      - .offset:         88
        .size:           8
        .value_kind:     by_value
      - .offset:         96
        .size:           8
        .value_kind:     by_value
      - .offset:         104
        .size:           4
        .value_kind:     by_value
    .group_segment_fixed_size: 2048
    .kernarg_segment_align: 8
    .kernarg_segment_size: 108
    .language:       OpenCL C
    .language_version:
      - 2
      - 0
    .max_flat_workgroup_size: 256
    .name:           _ZL29rocblas_internal_gemmt_kernelIlLi16ELi32ELi8ELc84ELc78ELc85ELb0ELb0EfPKfS1_PfEviT_T9_T10_S3_lS5_S3_lS4_T11_S3_li
    .private_segment_fixed_size: 0
    .sgpr_count:     42
    .sgpr_spill_count: 0
    .symbol:         _ZL29rocblas_internal_gemmt_kernelIlLi16ELi32ELi8ELc84ELc78ELc85ELb0ELb0EfPKfS1_PfEviT_T9_T10_S3_lS5_S3_lS4_T11_S3_li.kd
    .uniform_work_group_size: 1
    .uses_dynamic_stack: false
    .vgpr_count:     50
    .vgpr_spill_count: 0
    .wavefront_size: 64
  - .agpr_count:     0
    .args:
      - .offset:         0
        .size:           4
        .value_kind:     by_value
      - .offset:         8
        .size:           8
        .value_kind:     by_value
      - .address_space:  global
        .offset:         16
        .size:           8
        .value_kind:     global_buffer
      - .address_space:  global
        .offset:         24
        .size:           8
        .value_kind:     global_buffer
      - .offset:         32
        .size:           8
        .value_kind:     by_value
      - .offset:         40
        .size:           8
        .value_kind:     by_value
      - .address_space:  global
        .offset:         48
        .size:           8
        .value_kind:     global_buffer
      - .offset:         56
        .size:           8
        .value_kind:     by_value
      - .offset:         64
        .size:           8
        .value_kind:     by_value
      - .address_space:  global
        .offset:         72
        .size:           8
        .value_kind:     global_buffer
      - .address_space:  global
        .offset:         80
        .size:           8
        .value_kind:     global_buffer
      - .offset:         88
        .size:           8
        .value_kind:     by_value
      - .offset:         96
        .size:           8
        .value_kind:     by_value
      - .offset:         104
        .size:           4
        .value_kind:     by_value
    .group_segment_fixed_size: 2048
    .kernarg_segment_align: 8
    .kernarg_segment_size: 108
    .language:       OpenCL C
    .language_version:
      - 2
      - 0
    .max_flat_workgroup_size: 256
    .name:           _ZL29rocblas_internal_gemmt_kernelIlLi16ELi32ELi8ELc84ELc84ELc85ELb0ELb0EfPKfS1_PfEviT_T9_T10_S3_lS5_S3_lS4_T11_S3_li
    .private_segment_fixed_size: 0
    .sgpr_count:     42
    .sgpr_spill_count: 0
    .symbol:         _ZL29rocblas_internal_gemmt_kernelIlLi16ELi32ELi8ELc84ELc84ELc85ELb0ELb0EfPKfS1_PfEviT_T9_T10_S3_lS5_S3_lS4_T11_S3_li.kd
    .uniform_work_group_size: 1
    .uses_dynamic_stack: false
    .vgpr_count:     50
    .vgpr_spill_count: 0
    .wavefront_size: 64
  - .agpr_count:     0
    .args:
      - .offset:         0
        .size:           4
        .value_kind:     by_value
      - .offset:         8
        .size:           8
        .value_kind:     by_value
      - .address_space:  global
        .offset:         16
        .size:           8
        .value_kind:     global_buffer
      - .address_space:  global
        .offset:         24
        .size:           8
        .value_kind:     global_buffer
      - .offset:         32
        .size:           8
        .value_kind:     by_value
      - .offset:         40
        .size:           8
        .value_kind:     by_value
      - .address_space:  global
        .offset:         48
        .size:           8
        .value_kind:     global_buffer
      - .offset:         56
        .size:           8
        .value_kind:     by_value
      - .offset:         64
        .size:           8
        .value_kind:     by_value
      - .address_space:  global
        .offset:         72
        .size:           8
        .value_kind:     global_buffer
      - .address_space:  global
        .offset:         80
        .size:           8
        .value_kind:     global_buffer
      - .offset:         88
        .size:           8
        .value_kind:     by_value
      - .offset:         96
        .size:           8
        .value_kind:     by_value
      - .offset:         104
        .size:           4
        .value_kind:     by_value
    .group_segment_fixed_size: 2048
    .kernarg_segment_align: 8
    .kernarg_segment_size: 108
    .language:       OpenCL C
    .language_version:
      - 2
      - 0
    .max_flat_workgroup_size: 256
    .name:           _ZL29rocblas_internal_gemmt_kernelIlLi16ELi32ELi8ELc84ELc67ELc85ELb0ELb0EfPKfS1_PfEviT_T9_T10_S3_lS5_S3_lS4_T11_S3_li
    .private_segment_fixed_size: 0
    .sgpr_count:     42
    .sgpr_spill_count: 0
    .symbol:         _ZL29rocblas_internal_gemmt_kernelIlLi16ELi32ELi8ELc84ELc67ELc85ELb0ELb0EfPKfS1_PfEviT_T9_T10_S3_lS5_S3_lS4_T11_S3_li.kd
    .uniform_work_group_size: 1
    .uses_dynamic_stack: false
    .vgpr_count:     50
    .vgpr_spill_count: 0
    .wavefront_size: 64
  - .agpr_count:     0
    .args:
      - .offset:         0
        .size:           4
        .value_kind:     by_value
      - .offset:         8
        .size:           8
        .value_kind:     by_value
      - .address_space:  global
        .offset:         16
        .size:           8
        .value_kind:     global_buffer
      - .address_space:  global
        .offset:         24
        .size:           8
        .value_kind:     global_buffer
      - .offset:         32
        .size:           8
        .value_kind:     by_value
      - .offset:         40
        .size:           8
        .value_kind:     by_value
      - .address_space:  global
        .offset:         48
        .size:           8
        .value_kind:     global_buffer
      - .offset:         56
        .size:           8
        .value_kind:     by_value
      - .offset:         64
        .size:           8
        .value_kind:     by_value
      - .address_space:  global
        .offset:         72
        .size:           8
        .value_kind:     global_buffer
      - .address_space:  global
        .offset:         80
        .size:           8
        .value_kind:     global_buffer
      - .offset:         88
        .size:           8
        .value_kind:     by_value
      - .offset:         96
        .size:           8
        .value_kind:     by_value
      - .offset:         104
        .size:           4
        .value_kind:     by_value
    .group_segment_fixed_size: 2048
    .kernarg_segment_align: 8
    .kernarg_segment_size: 108
    .language:       OpenCL C
    .language_version:
      - 2
      - 0
    .max_flat_workgroup_size: 256
    .name:           _ZL29rocblas_internal_gemmt_kernelIlLi16ELi32ELi8ELc67ELc78ELc85ELb0ELb0EfPKfS1_PfEviT_T9_T10_S3_lS5_S3_lS4_T11_S3_li
    .private_segment_fixed_size: 0
    .sgpr_count:     42
    .sgpr_spill_count: 0
    .symbol:         _ZL29rocblas_internal_gemmt_kernelIlLi16ELi32ELi8ELc67ELc78ELc85ELb0ELb0EfPKfS1_PfEviT_T9_T10_S3_lS5_S3_lS4_T11_S3_li.kd
    .uniform_work_group_size: 1
    .uses_dynamic_stack: false
    .vgpr_count:     50
    .vgpr_spill_count: 0
    .wavefront_size: 64
  - .agpr_count:     0
    .args:
      - .offset:         0
        .size:           4
        .value_kind:     by_value
      - .offset:         8
        .size:           8
        .value_kind:     by_value
      - .address_space:  global
        .offset:         16
        .size:           8
        .value_kind:     global_buffer
      - .address_space:  global
        .offset:         24
        .size:           8
        .value_kind:     global_buffer
      - .offset:         32
        .size:           8
        .value_kind:     by_value
      - .offset:         40
        .size:           8
        .value_kind:     by_value
      - .address_space:  global
        .offset:         48
        .size:           8
        .value_kind:     global_buffer
      - .offset:         56
        .size:           8
        .value_kind:     by_value
      - .offset:         64
        .size:           8
        .value_kind:     by_value
      - .address_space:  global
        .offset:         72
        .size:           8
        .value_kind:     global_buffer
      - .address_space:  global
        .offset:         80
        .size:           8
        .value_kind:     global_buffer
      - .offset:         88
        .size:           8
        .value_kind:     by_value
      - .offset:         96
        .size:           8
        .value_kind:     by_value
      - .offset:         104
        .size:           4
        .value_kind:     by_value
    .group_segment_fixed_size: 2048
    .kernarg_segment_align: 8
    .kernarg_segment_size: 108
    .language:       OpenCL C
    .language_version:
      - 2
      - 0
    .max_flat_workgroup_size: 256
    .name:           _ZL29rocblas_internal_gemmt_kernelIlLi16ELi32ELi8ELc67ELc84ELc85ELb0ELb0EfPKfS1_PfEviT_T9_T10_S3_lS5_S3_lS4_T11_S3_li
    .private_segment_fixed_size: 0
    .sgpr_count:     42
    .sgpr_spill_count: 0
    .symbol:         _ZL29rocblas_internal_gemmt_kernelIlLi16ELi32ELi8ELc67ELc84ELc85ELb0ELb0EfPKfS1_PfEviT_T9_T10_S3_lS5_S3_lS4_T11_S3_li.kd
    .uniform_work_group_size: 1
    .uses_dynamic_stack: false
    .vgpr_count:     50
    .vgpr_spill_count: 0
    .wavefront_size: 64
  - .agpr_count:     0
    .args:
      - .offset:         0
        .size:           4
        .value_kind:     by_value
      - .offset:         8
        .size:           8
        .value_kind:     by_value
      - .address_space:  global
        .offset:         16
        .size:           8
        .value_kind:     global_buffer
      - .address_space:  global
        .offset:         24
        .size:           8
        .value_kind:     global_buffer
      - .offset:         32
        .size:           8
        .value_kind:     by_value
      - .offset:         40
        .size:           8
        .value_kind:     by_value
      - .address_space:  global
        .offset:         48
        .size:           8
        .value_kind:     global_buffer
      - .offset:         56
        .size:           8
        .value_kind:     by_value
      - .offset:         64
        .size:           8
        .value_kind:     by_value
      - .address_space:  global
        .offset:         72
        .size:           8
        .value_kind:     global_buffer
      - .address_space:  global
        .offset:         80
        .size:           8
        .value_kind:     global_buffer
      - .offset:         88
        .size:           8
        .value_kind:     by_value
      - .offset:         96
        .size:           8
        .value_kind:     by_value
      - .offset:         104
        .size:           4
        .value_kind:     by_value
    .group_segment_fixed_size: 2048
    .kernarg_segment_align: 8
    .kernarg_segment_size: 108
    .language:       OpenCL C
    .language_version:
      - 2
      - 0
    .max_flat_workgroup_size: 256
    .name:           _ZL29rocblas_internal_gemmt_kernelIlLi16ELi32ELi8ELc67ELc67ELc85ELb0ELb0EfPKfS1_PfEviT_T9_T10_S3_lS5_S3_lS4_T11_S3_li
    .private_segment_fixed_size: 0
    .sgpr_count:     42
    .sgpr_spill_count: 0
    .symbol:         _ZL29rocblas_internal_gemmt_kernelIlLi16ELi32ELi8ELc67ELc67ELc85ELb0ELb0EfPKfS1_PfEviT_T9_T10_S3_lS5_S3_lS4_T11_S3_li.kd
    .uniform_work_group_size: 1
    .uses_dynamic_stack: false
    .vgpr_count:     50
    .vgpr_spill_count: 0
    .wavefront_size: 64
  - .agpr_count:     0
    .args:
      - .offset:         0
        .size:           4
        .value_kind:     by_value
      - .offset:         8
        .size:           8
        .value_kind:     by_value
      - .address_space:  global
        .offset:         16
        .size:           8
        .value_kind:     global_buffer
      - .address_space:  global
        .offset:         24
        .size:           8
        .value_kind:     global_buffer
      - .offset:         32
        .size:           8
        .value_kind:     by_value
      - .offset:         40
        .size:           8
        .value_kind:     by_value
      - .address_space:  global
        .offset:         48
        .size:           8
        .value_kind:     global_buffer
      - .offset:         56
        .size:           8
        .value_kind:     by_value
      - .offset:         64
        .size:           8
        .value_kind:     by_value
      - .address_space:  global
        .offset:         72
        .size:           8
        .value_kind:     global_buffer
      - .address_space:  global
        .offset:         80
        .size:           8
        .value_kind:     global_buffer
      - .offset:         88
        .size:           8
        .value_kind:     by_value
      - .offset:         96
        .size:           8
        .value_kind:     by_value
      - .offset:         104
        .size:           4
        .value_kind:     by_value
    .group_segment_fixed_size: 2048
    .kernarg_segment_align: 8
    .kernarg_segment_size: 108
    .language:       OpenCL C
    .language_version:
      - 2
      - 0
    .max_flat_workgroup_size: 256
    .name:           _ZL29rocblas_internal_gemmt_kernelIlLi16ELi32ELi8ELc78ELc78ELc76ELb0ELb0EfPKfS1_PfEviT_T9_T10_S3_lS5_S3_lS4_T11_S3_li
    .private_segment_fixed_size: 0
    .sgpr_count:     41
    .sgpr_spill_count: 0
    .symbol:         _ZL29rocblas_internal_gemmt_kernelIlLi16ELi32ELi8ELc78ELc78ELc76ELb0ELb0EfPKfS1_PfEviT_T9_T10_S3_lS5_S3_lS4_T11_S3_li.kd
    .uniform_work_group_size: 1
    .uses_dynamic_stack: false
    .vgpr_count:     50
    .vgpr_spill_count: 0
    .wavefront_size: 64
  - .agpr_count:     0
    .args:
      - .offset:         0
        .size:           4
        .value_kind:     by_value
      - .offset:         8
        .size:           8
        .value_kind:     by_value
      - .address_space:  global
        .offset:         16
        .size:           8
        .value_kind:     global_buffer
      - .address_space:  global
        .offset:         24
        .size:           8
        .value_kind:     global_buffer
      - .offset:         32
        .size:           8
        .value_kind:     by_value
      - .offset:         40
        .size:           8
        .value_kind:     by_value
      - .address_space:  global
        .offset:         48
        .size:           8
        .value_kind:     global_buffer
      - .offset:         56
        .size:           8
        .value_kind:     by_value
      - .offset:         64
        .size:           8
        .value_kind:     by_value
      - .address_space:  global
        .offset:         72
        .size:           8
        .value_kind:     global_buffer
      - .address_space:  global
        .offset:         80
        .size:           8
        .value_kind:     global_buffer
      - .offset:         88
        .size:           8
        .value_kind:     by_value
      - .offset:         96
        .size:           8
        .value_kind:     by_value
      - .offset:         104
        .size:           4
        .value_kind:     by_value
    .group_segment_fixed_size: 2048
    .kernarg_segment_align: 8
    .kernarg_segment_size: 108
    .language:       OpenCL C
    .language_version:
      - 2
      - 0
    .max_flat_workgroup_size: 256
    .name:           _ZL29rocblas_internal_gemmt_kernelIlLi16ELi32ELi8ELc78ELc84ELc76ELb0ELb0EfPKfS1_PfEviT_T9_T10_S3_lS5_S3_lS4_T11_S3_li
    .private_segment_fixed_size: 0
    .sgpr_count:     41
    .sgpr_spill_count: 0
    .symbol:         _ZL29rocblas_internal_gemmt_kernelIlLi16ELi32ELi8ELc78ELc84ELc76ELb0ELb0EfPKfS1_PfEviT_T9_T10_S3_lS5_S3_lS4_T11_S3_li.kd
    .uniform_work_group_size: 1
    .uses_dynamic_stack: false
    .vgpr_count:     50
    .vgpr_spill_count: 0
    .wavefront_size: 64
  - .agpr_count:     0
    .args:
      - .offset:         0
        .size:           4
        .value_kind:     by_value
      - .offset:         8
        .size:           8
        .value_kind:     by_value
      - .address_space:  global
        .offset:         16
        .size:           8
        .value_kind:     global_buffer
      - .address_space:  global
        .offset:         24
        .size:           8
        .value_kind:     global_buffer
      - .offset:         32
        .size:           8
        .value_kind:     by_value
      - .offset:         40
        .size:           8
        .value_kind:     by_value
      - .address_space:  global
        .offset:         48
        .size:           8
        .value_kind:     global_buffer
      - .offset:         56
        .size:           8
        .value_kind:     by_value
      - .offset:         64
        .size:           8
        .value_kind:     by_value
      - .address_space:  global
        .offset:         72
        .size:           8
        .value_kind:     global_buffer
      - .address_space:  global
        .offset:         80
        .size:           8
        .value_kind:     global_buffer
      - .offset:         88
        .size:           8
        .value_kind:     by_value
      - .offset:         96
        .size:           8
        .value_kind:     by_value
      - .offset:         104
        .size:           4
        .value_kind:     by_value
    .group_segment_fixed_size: 2048
    .kernarg_segment_align: 8
    .kernarg_segment_size: 108
    .language:       OpenCL C
    .language_version:
      - 2
      - 0
    .max_flat_workgroup_size: 256
    .name:           _ZL29rocblas_internal_gemmt_kernelIlLi16ELi32ELi8ELc78ELc67ELc76ELb0ELb0EfPKfS1_PfEviT_T9_T10_S3_lS5_S3_lS4_T11_S3_li
    .private_segment_fixed_size: 0
    .sgpr_count:     41
    .sgpr_spill_count: 0
    .symbol:         _ZL29rocblas_internal_gemmt_kernelIlLi16ELi32ELi8ELc78ELc67ELc76ELb0ELb0EfPKfS1_PfEviT_T9_T10_S3_lS5_S3_lS4_T11_S3_li.kd
    .uniform_work_group_size: 1
    .uses_dynamic_stack: false
    .vgpr_count:     50
    .vgpr_spill_count: 0
    .wavefront_size: 64
  - .agpr_count:     0
    .args:
      - .offset:         0
        .size:           4
        .value_kind:     by_value
      - .offset:         8
        .size:           8
        .value_kind:     by_value
      - .address_space:  global
        .offset:         16
        .size:           8
        .value_kind:     global_buffer
      - .address_space:  global
        .offset:         24
        .size:           8
        .value_kind:     global_buffer
      - .offset:         32
        .size:           8
        .value_kind:     by_value
      - .offset:         40
        .size:           8
        .value_kind:     by_value
      - .address_space:  global
        .offset:         48
        .size:           8
        .value_kind:     global_buffer
      - .offset:         56
        .size:           8
        .value_kind:     by_value
      - .offset:         64
        .size:           8
        .value_kind:     by_value
      - .address_space:  global
        .offset:         72
        .size:           8
        .value_kind:     global_buffer
      - .address_space:  global
        .offset:         80
        .size:           8
        .value_kind:     global_buffer
      - .offset:         88
        .size:           8
        .value_kind:     by_value
      - .offset:         96
        .size:           8
        .value_kind:     by_value
      - .offset:         104
        .size:           4
        .value_kind:     by_value
    .group_segment_fixed_size: 2048
    .kernarg_segment_align: 8
    .kernarg_segment_size: 108
    .language:       OpenCL C
    .language_version:
      - 2
      - 0
    .max_flat_workgroup_size: 256
    .name:           _ZL29rocblas_internal_gemmt_kernelIlLi16ELi32ELi8ELc84ELc78ELc76ELb0ELb0EfPKfS1_PfEviT_T9_T10_S3_lS5_S3_lS4_T11_S3_li
    .private_segment_fixed_size: 0
    .sgpr_count:     41
    .sgpr_spill_count: 0
    .symbol:         _ZL29rocblas_internal_gemmt_kernelIlLi16ELi32ELi8ELc84ELc78ELc76ELb0ELb0EfPKfS1_PfEviT_T9_T10_S3_lS5_S3_lS4_T11_S3_li.kd
    .uniform_work_group_size: 1
    .uses_dynamic_stack: false
    .vgpr_count:     50
    .vgpr_spill_count: 0
    .wavefront_size: 64
  - .agpr_count:     0
    .args:
      - .offset:         0
        .size:           4
        .value_kind:     by_value
      - .offset:         8
        .size:           8
        .value_kind:     by_value
      - .address_space:  global
        .offset:         16
        .size:           8
        .value_kind:     global_buffer
      - .address_space:  global
        .offset:         24
        .size:           8
        .value_kind:     global_buffer
      - .offset:         32
        .size:           8
        .value_kind:     by_value
      - .offset:         40
        .size:           8
        .value_kind:     by_value
      - .address_space:  global
        .offset:         48
        .size:           8
        .value_kind:     global_buffer
      - .offset:         56
        .size:           8
        .value_kind:     by_value
      - .offset:         64
        .size:           8
        .value_kind:     by_value
      - .address_space:  global
        .offset:         72
        .size:           8
        .value_kind:     global_buffer
      - .address_space:  global
        .offset:         80
        .size:           8
        .value_kind:     global_buffer
      - .offset:         88
        .size:           8
        .value_kind:     by_value
      - .offset:         96
        .size:           8
        .value_kind:     by_value
      - .offset:         104
        .size:           4
        .value_kind:     by_value
    .group_segment_fixed_size: 2048
    .kernarg_segment_align: 8
    .kernarg_segment_size: 108
    .language:       OpenCL C
    .language_version:
      - 2
      - 0
    .max_flat_workgroup_size: 256
    .name:           _ZL29rocblas_internal_gemmt_kernelIlLi16ELi32ELi8ELc84ELc84ELc76ELb0ELb0EfPKfS1_PfEviT_T9_T10_S3_lS5_S3_lS4_T11_S3_li
    .private_segment_fixed_size: 0
    .sgpr_count:     41
    .sgpr_spill_count: 0
    .symbol:         _ZL29rocblas_internal_gemmt_kernelIlLi16ELi32ELi8ELc84ELc84ELc76ELb0ELb0EfPKfS1_PfEviT_T9_T10_S3_lS5_S3_lS4_T11_S3_li.kd
    .uniform_work_group_size: 1
    .uses_dynamic_stack: false
    .vgpr_count:     50
    .vgpr_spill_count: 0
    .wavefront_size: 64
  - .agpr_count:     0
    .args:
      - .offset:         0
        .size:           4
        .value_kind:     by_value
      - .offset:         8
        .size:           8
        .value_kind:     by_value
      - .address_space:  global
        .offset:         16
        .size:           8
        .value_kind:     global_buffer
      - .address_space:  global
        .offset:         24
        .size:           8
        .value_kind:     global_buffer
      - .offset:         32
        .size:           8
        .value_kind:     by_value
      - .offset:         40
        .size:           8
        .value_kind:     by_value
      - .address_space:  global
        .offset:         48
        .size:           8
        .value_kind:     global_buffer
      - .offset:         56
        .size:           8
        .value_kind:     by_value
      - .offset:         64
        .size:           8
        .value_kind:     by_value
      - .address_space:  global
        .offset:         72
        .size:           8
        .value_kind:     global_buffer
      - .address_space:  global
        .offset:         80
        .size:           8
        .value_kind:     global_buffer
      - .offset:         88
        .size:           8
        .value_kind:     by_value
      - .offset:         96
        .size:           8
        .value_kind:     by_value
      - .offset:         104
        .size:           4
        .value_kind:     by_value
    .group_segment_fixed_size: 2048
    .kernarg_segment_align: 8
    .kernarg_segment_size: 108
    .language:       OpenCL C
    .language_version:
      - 2
      - 0
    .max_flat_workgroup_size: 256
    .name:           _ZL29rocblas_internal_gemmt_kernelIlLi16ELi32ELi8ELc84ELc67ELc76ELb0ELb0EfPKfS1_PfEviT_T9_T10_S3_lS5_S3_lS4_T11_S3_li
    .private_segment_fixed_size: 0
    .sgpr_count:     41
    .sgpr_spill_count: 0
    .symbol:         _ZL29rocblas_internal_gemmt_kernelIlLi16ELi32ELi8ELc84ELc67ELc76ELb0ELb0EfPKfS1_PfEviT_T9_T10_S3_lS5_S3_lS4_T11_S3_li.kd
    .uniform_work_group_size: 1
    .uses_dynamic_stack: false
    .vgpr_count:     50
    .vgpr_spill_count: 0
    .wavefront_size: 64
  - .agpr_count:     0
    .args:
      - .offset:         0
        .size:           4
        .value_kind:     by_value
      - .offset:         8
        .size:           8
        .value_kind:     by_value
      - .address_space:  global
        .offset:         16
        .size:           8
        .value_kind:     global_buffer
      - .address_space:  global
        .offset:         24
        .size:           8
        .value_kind:     global_buffer
      - .offset:         32
        .size:           8
        .value_kind:     by_value
      - .offset:         40
        .size:           8
        .value_kind:     by_value
      - .address_space:  global
        .offset:         48
        .size:           8
        .value_kind:     global_buffer
      - .offset:         56
        .size:           8
        .value_kind:     by_value
      - .offset:         64
        .size:           8
        .value_kind:     by_value
      - .address_space:  global
        .offset:         72
        .size:           8
        .value_kind:     global_buffer
      - .address_space:  global
        .offset:         80
        .size:           8
        .value_kind:     global_buffer
      - .offset:         88
        .size:           8
        .value_kind:     by_value
      - .offset:         96
        .size:           8
        .value_kind:     by_value
      - .offset:         104
        .size:           4
        .value_kind:     by_value
    .group_segment_fixed_size: 2048
    .kernarg_segment_align: 8
    .kernarg_segment_size: 108
    .language:       OpenCL C
    .language_version:
      - 2
      - 0
    .max_flat_workgroup_size: 256
    .name:           _ZL29rocblas_internal_gemmt_kernelIlLi16ELi32ELi8ELc67ELc78ELc76ELb0ELb0EfPKfS1_PfEviT_T9_T10_S3_lS5_S3_lS4_T11_S3_li
    .private_segment_fixed_size: 0
    .sgpr_count:     41
    .sgpr_spill_count: 0
    .symbol:         _ZL29rocblas_internal_gemmt_kernelIlLi16ELi32ELi8ELc67ELc78ELc76ELb0ELb0EfPKfS1_PfEviT_T9_T10_S3_lS5_S3_lS4_T11_S3_li.kd
    .uniform_work_group_size: 1
    .uses_dynamic_stack: false
    .vgpr_count:     50
    .vgpr_spill_count: 0
    .wavefront_size: 64
  - .agpr_count:     0
    .args:
      - .offset:         0
        .size:           4
        .value_kind:     by_value
      - .offset:         8
        .size:           8
        .value_kind:     by_value
      - .address_space:  global
        .offset:         16
        .size:           8
        .value_kind:     global_buffer
      - .address_space:  global
        .offset:         24
        .size:           8
        .value_kind:     global_buffer
      - .offset:         32
        .size:           8
        .value_kind:     by_value
      - .offset:         40
        .size:           8
        .value_kind:     by_value
      - .address_space:  global
        .offset:         48
        .size:           8
        .value_kind:     global_buffer
      - .offset:         56
        .size:           8
        .value_kind:     by_value
      - .offset:         64
        .size:           8
        .value_kind:     by_value
      - .address_space:  global
        .offset:         72
        .size:           8
        .value_kind:     global_buffer
      - .address_space:  global
        .offset:         80
        .size:           8
        .value_kind:     global_buffer
      - .offset:         88
        .size:           8
        .value_kind:     by_value
      - .offset:         96
        .size:           8
        .value_kind:     by_value
      - .offset:         104
        .size:           4
        .value_kind:     by_value
    .group_segment_fixed_size: 2048
    .kernarg_segment_align: 8
    .kernarg_segment_size: 108
    .language:       OpenCL C
    .language_version:
      - 2
      - 0
    .max_flat_workgroup_size: 256
    .name:           _ZL29rocblas_internal_gemmt_kernelIlLi16ELi32ELi8ELc67ELc84ELc76ELb0ELb0EfPKfS1_PfEviT_T9_T10_S3_lS5_S3_lS4_T11_S3_li
    .private_segment_fixed_size: 0
    .sgpr_count:     41
    .sgpr_spill_count: 0
    .symbol:         _ZL29rocblas_internal_gemmt_kernelIlLi16ELi32ELi8ELc67ELc84ELc76ELb0ELb0EfPKfS1_PfEviT_T9_T10_S3_lS5_S3_lS4_T11_S3_li.kd
    .uniform_work_group_size: 1
    .uses_dynamic_stack: false
    .vgpr_count:     50
    .vgpr_spill_count: 0
    .wavefront_size: 64
  - .agpr_count:     0
    .args:
      - .offset:         0
        .size:           4
        .value_kind:     by_value
      - .offset:         8
        .size:           8
        .value_kind:     by_value
      - .address_space:  global
        .offset:         16
        .size:           8
        .value_kind:     global_buffer
      - .address_space:  global
        .offset:         24
        .size:           8
        .value_kind:     global_buffer
      - .offset:         32
        .size:           8
        .value_kind:     by_value
      - .offset:         40
        .size:           8
        .value_kind:     by_value
      - .address_space:  global
        .offset:         48
        .size:           8
        .value_kind:     global_buffer
      - .offset:         56
        .size:           8
        .value_kind:     by_value
      - .offset:         64
        .size:           8
        .value_kind:     by_value
      - .address_space:  global
        .offset:         72
        .size:           8
        .value_kind:     global_buffer
      - .address_space:  global
        .offset:         80
        .size:           8
        .value_kind:     global_buffer
      - .offset:         88
        .size:           8
        .value_kind:     by_value
      - .offset:         96
        .size:           8
        .value_kind:     by_value
      - .offset:         104
        .size:           4
        .value_kind:     by_value
    .group_segment_fixed_size: 2048
    .kernarg_segment_align: 8
    .kernarg_segment_size: 108
    .language:       OpenCL C
    .language_version:
      - 2
      - 0
    .max_flat_workgroup_size: 256
    .name:           _ZL29rocblas_internal_gemmt_kernelIlLi16ELi32ELi8ELc67ELc67ELc76ELb0ELb0EfPKfS1_PfEviT_T9_T10_S3_lS5_S3_lS4_T11_S3_li
    .private_segment_fixed_size: 0
    .sgpr_count:     41
    .sgpr_spill_count: 0
    .symbol:         _ZL29rocblas_internal_gemmt_kernelIlLi16ELi32ELi8ELc67ELc67ELc76ELb0ELb0EfPKfS1_PfEviT_T9_T10_S3_lS5_S3_lS4_T11_S3_li.kd
    .uniform_work_group_size: 1
    .uses_dynamic_stack: false
    .vgpr_count:     50
    .vgpr_spill_count: 0
    .wavefront_size: 64
  - .agpr_count:     0
    .args:
      - .offset:         0
        .size:           4
        .value_kind:     by_value
      - .offset:         8
        .size:           8
        .value_kind:     by_value
      - .offset:         16
        .size:           4
        .value_kind:     by_value
      - .address_space:  global
        .offset:         24
        .size:           8
        .value_kind:     global_buffer
      - .offset:         32
        .size:           8
        .value_kind:     by_value
      - .offset:         40
        .size:           8
        .value_kind:     by_value
      - .address_space:  global
        .offset:         48
        .size:           8
        .value_kind:     global_buffer
      - .offset:         56
        .size:           8
        .value_kind:     by_value
      - .offset:         64
        .size:           8
        .value_kind:     by_value
      - .offset:         72
        .size:           4
        .value_kind:     by_value
      - .address_space:  global
        .offset:         80
        .size:           8
        .value_kind:     global_buffer
      - .offset:         88
        .size:           8
        .value_kind:     by_value
      - .offset:         96
        .size:           8
        .value_kind:     by_value
      - .offset:         104
        .size:           4
        .value_kind:     by_value
    .group_segment_fixed_size: 2048
    .kernarg_segment_align: 8
    .kernarg_segment_size: 108
    .language:       OpenCL C
    .language_version:
      - 2
      - 0
    .max_flat_workgroup_size: 256
    .name:           _ZL29rocblas_internal_gemmt_kernelIlLi16ELi32ELi8ELc78ELc78ELc85ELb0ELb0EffPKfPfEviT_T9_T10_S3_lS5_S3_lS4_T11_S3_li
    .private_segment_fixed_size: 0
    .sgpr_count:     34
    .sgpr_spill_count: 0
    .symbol:         _ZL29rocblas_internal_gemmt_kernelIlLi16ELi32ELi8ELc78ELc78ELc85ELb0ELb0EffPKfPfEviT_T9_T10_S3_lS5_S3_lS4_T11_S3_li.kd
    .uniform_work_group_size: 1
    .uses_dynamic_stack: false
    .vgpr_count:     50
    .vgpr_spill_count: 0
    .wavefront_size: 64
  - .agpr_count:     0
    .args:
      - .offset:         0
        .size:           4
        .value_kind:     by_value
      - .offset:         8
        .size:           8
        .value_kind:     by_value
      - .offset:         16
        .size:           4
        .value_kind:     by_value
      - .address_space:  global
        .offset:         24
        .size:           8
        .value_kind:     global_buffer
      - .offset:         32
        .size:           8
        .value_kind:     by_value
      - .offset:         40
        .size:           8
        .value_kind:     by_value
      - .address_space:  global
        .offset:         48
        .size:           8
        .value_kind:     global_buffer
      - .offset:         56
        .size:           8
        .value_kind:     by_value
      - .offset:         64
        .size:           8
        .value_kind:     by_value
      - .offset:         72
        .size:           4
        .value_kind:     by_value
      - .address_space:  global
        .offset:         80
        .size:           8
        .value_kind:     global_buffer
      - .offset:         88
        .size:           8
        .value_kind:     by_value
      - .offset:         96
        .size:           8
        .value_kind:     by_value
      - .offset:         104
        .size:           4
        .value_kind:     by_value
    .group_segment_fixed_size: 2048
    .kernarg_segment_align: 8
    .kernarg_segment_size: 108
    .language:       OpenCL C
    .language_version:
      - 2
      - 0
    .max_flat_workgroup_size: 256
    .name:           _ZL29rocblas_internal_gemmt_kernelIlLi16ELi32ELi8ELc78ELc84ELc85ELb0ELb0EffPKfPfEviT_T9_T10_S3_lS5_S3_lS4_T11_S3_li
    .private_segment_fixed_size: 0
    .sgpr_count:     32
    .sgpr_spill_count: 0
    .symbol:         _ZL29rocblas_internal_gemmt_kernelIlLi16ELi32ELi8ELc78ELc84ELc85ELb0ELb0EffPKfPfEviT_T9_T10_S3_lS5_S3_lS4_T11_S3_li.kd
    .uniform_work_group_size: 1
    .uses_dynamic_stack: false
    .vgpr_count:     50
    .vgpr_spill_count: 0
    .wavefront_size: 64
  - .agpr_count:     0
    .args:
      - .offset:         0
        .size:           4
        .value_kind:     by_value
      - .offset:         8
        .size:           8
        .value_kind:     by_value
      - .offset:         16
        .size:           4
        .value_kind:     by_value
      - .address_space:  global
        .offset:         24
        .size:           8
        .value_kind:     global_buffer
      - .offset:         32
        .size:           8
        .value_kind:     by_value
      - .offset:         40
        .size:           8
        .value_kind:     by_value
      - .address_space:  global
        .offset:         48
        .size:           8
        .value_kind:     global_buffer
      - .offset:         56
        .size:           8
        .value_kind:     by_value
      - .offset:         64
        .size:           8
        .value_kind:     by_value
      - .offset:         72
        .size:           4
        .value_kind:     by_value
      - .address_space:  global
        .offset:         80
        .size:           8
        .value_kind:     global_buffer
      - .offset:         88
        .size:           8
        .value_kind:     by_value
      - .offset:         96
        .size:           8
        .value_kind:     by_value
      - .offset:         104
        .size:           4
        .value_kind:     by_value
    .group_segment_fixed_size: 2048
    .kernarg_segment_align: 8
    .kernarg_segment_size: 108
    .language:       OpenCL C
    .language_version:
      - 2
      - 0
    .max_flat_workgroup_size: 256
    .name:           _ZL29rocblas_internal_gemmt_kernelIlLi16ELi32ELi8ELc78ELc67ELc85ELb0ELb0EffPKfPfEviT_T9_T10_S3_lS5_S3_lS4_T11_S3_li
    .private_segment_fixed_size: 0
    .sgpr_count:     32
    .sgpr_spill_count: 0
    .symbol:         _ZL29rocblas_internal_gemmt_kernelIlLi16ELi32ELi8ELc78ELc67ELc85ELb0ELb0EffPKfPfEviT_T9_T10_S3_lS5_S3_lS4_T11_S3_li.kd
    .uniform_work_group_size: 1
    .uses_dynamic_stack: false
    .vgpr_count:     50
    .vgpr_spill_count: 0
    .wavefront_size: 64
  - .agpr_count:     0
    .args:
      - .offset:         0
        .size:           4
        .value_kind:     by_value
      - .offset:         8
        .size:           8
        .value_kind:     by_value
      - .offset:         16
        .size:           4
        .value_kind:     by_value
      - .address_space:  global
        .offset:         24
        .size:           8
        .value_kind:     global_buffer
      - .offset:         32
        .size:           8
        .value_kind:     by_value
      - .offset:         40
        .size:           8
        .value_kind:     by_value
      - .address_space:  global
        .offset:         48
        .size:           8
        .value_kind:     global_buffer
      - .offset:         56
        .size:           8
        .value_kind:     by_value
      - .offset:         64
        .size:           8
        .value_kind:     by_value
      - .offset:         72
        .size:           4
        .value_kind:     by_value
      - .address_space:  global
        .offset:         80
        .size:           8
        .value_kind:     global_buffer
      - .offset:         88
        .size:           8
        .value_kind:     by_value
      - .offset:         96
        .size:           8
        .value_kind:     by_value
      - .offset:         104
        .size:           4
        .value_kind:     by_value
    .group_segment_fixed_size: 2048
    .kernarg_segment_align: 8
    .kernarg_segment_size: 108
    .language:       OpenCL C
    .language_version:
      - 2
      - 0
    .max_flat_workgroup_size: 256
    .name:           _ZL29rocblas_internal_gemmt_kernelIlLi16ELi32ELi8ELc84ELc78ELc85ELb0ELb0EffPKfPfEviT_T9_T10_S3_lS5_S3_lS4_T11_S3_li
    .private_segment_fixed_size: 0
    .sgpr_count:     34
    .sgpr_spill_count: 0
    .symbol:         _ZL29rocblas_internal_gemmt_kernelIlLi16ELi32ELi8ELc84ELc78ELc85ELb0ELb0EffPKfPfEviT_T9_T10_S3_lS5_S3_lS4_T11_S3_li.kd
    .uniform_work_group_size: 1
    .uses_dynamic_stack: false
    .vgpr_count:     50
    .vgpr_spill_count: 0
    .wavefront_size: 64
  - .agpr_count:     0
    .args:
      - .offset:         0
        .size:           4
        .value_kind:     by_value
      - .offset:         8
        .size:           8
        .value_kind:     by_value
      - .offset:         16
        .size:           4
        .value_kind:     by_value
      - .address_space:  global
        .offset:         24
        .size:           8
        .value_kind:     global_buffer
      - .offset:         32
        .size:           8
        .value_kind:     by_value
      - .offset:         40
        .size:           8
        .value_kind:     by_value
      - .address_space:  global
        .offset:         48
        .size:           8
        .value_kind:     global_buffer
      - .offset:         56
        .size:           8
        .value_kind:     by_value
      - .offset:         64
        .size:           8
        .value_kind:     by_value
      - .offset:         72
        .size:           4
        .value_kind:     by_value
      - .address_space:  global
        .offset:         80
        .size:           8
        .value_kind:     global_buffer
      - .offset:         88
        .size:           8
        .value_kind:     by_value
      - .offset:         96
        .size:           8
        .value_kind:     by_value
      - .offset:         104
        .size:           4
        .value_kind:     by_value
    .group_segment_fixed_size: 2048
    .kernarg_segment_align: 8
    .kernarg_segment_size: 108
    .language:       OpenCL C
    .language_version:
      - 2
      - 0
    .max_flat_workgroup_size: 256
    .name:           _ZL29rocblas_internal_gemmt_kernelIlLi16ELi32ELi8ELc84ELc84ELc85ELb0ELb0EffPKfPfEviT_T9_T10_S3_lS5_S3_lS4_T11_S3_li
    .private_segment_fixed_size: 0
    .sgpr_count:     38
    .sgpr_spill_count: 0
    .symbol:         _ZL29rocblas_internal_gemmt_kernelIlLi16ELi32ELi8ELc84ELc84ELc85ELb0ELb0EffPKfPfEviT_T9_T10_S3_lS5_S3_lS4_T11_S3_li.kd
    .uniform_work_group_size: 1
    .uses_dynamic_stack: false
    .vgpr_count:     50
    .vgpr_spill_count: 0
    .wavefront_size: 64
  - .agpr_count:     0
    .args:
      - .offset:         0
        .size:           4
        .value_kind:     by_value
      - .offset:         8
        .size:           8
        .value_kind:     by_value
      - .offset:         16
        .size:           4
        .value_kind:     by_value
      - .address_space:  global
        .offset:         24
        .size:           8
        .value_kind:     global_buffer
      - .offset:         32
        .size:           8
        .value_kind:     by_value
      - .offset:         40
        .size:           8
        .value_kind:     by_value
      - .address_space:  global
        .offset:         48
        .size:           8
        .value_kind:     global_buffer
      - .offset:         56
        .size:           8
        .value_kind:     by_value
      - .offset:         64
        .size:           8
        .value_kind:     by_value
      - .offset:         72
        .size:           4
        .value_kind:     by_value
      - .address_space:  global
        .offset:         80
        .size:           8
        .value_kind:     global_buffer
      - .offset:         88
        .size:           8
        .value_kind:     by_value
      - .offset:         96
        .size:           8
        .value_kind:     by_value
      - .offset:         104
        .size:           4
        .value_kind:     by_value
    .group_segment_fixed_size: 2048
    .kernarg_segment_align: 8
    .kernarg_segment_size: 108
    .language:       OpenCL C
    .language_version:
      - 2
      - 0
    .max_flat_workgroup_size: 256
    .name:           _ZL29rocblas_internal_gemmt_kernelIlLi16ELi32ELi8ELc84ELc67ELc85ELb0ELb0EffPKfPfEviT_T9_T10_S3_lS5_S3_lS4_T11_S3_li
    .private_segment_fixed_size: 0
    .sgpr_count:     38
    .sgpr_spill_count: 0
    .symbol:         _ZL29rocblas_internal_gemmt_kernelIlLi16ELi32ELi8ELc84ELc67ELc85ELb0ELb0EffPKfPfEviT_T9_T10_S3_lS5_S3_lS4_T11_S3_li.kd
    .uniform_work_group_size: 1
    .uses_dynamic_stack: false
    .vgpr_count:     50
    .vgpr_spill_count: 0
    .wavefront_size: 64
  - .agpr_count:     0
    .args:
      - .offset:         0
        .size:           4
        .value_kind:     by_value
      - .offset:         8
        .size:           8
        .value_kind:     by_value
      - .offset:         16
        .size:           4
        .value_kind:     by_value
      - .address_space:  global
        .offset:         24
        .size:           8
        .value_kind:     global_buffer
      - .offset:         32
        .size:           8
        .value_kind:     by_value
      - .offset:         40
        .size:           8
        .value_kind:     by_value
      - .address_space:  global
        .offset:         48
        .size:           8
        .value_kind:     global_buffer
      - .offset:         56
        .size:           8
        .value_kind:     by_value
      - .offset:         64
        .size:           8
        .value_kind:     by_value
      - .offset:         72
        .size:           4
        .value_kind:     by_value
      - .address_space:  global
        .offset:         80
        .size:           8
        .value_kind:     global_buffer
      - .offset:         88
        .size:           8
        .value_kind:     by_value
      - .offset:         96
        .size:           8
        .value_kind:     by_value
      - .offset:         104
        .size:           4
        .value_kind:     by_value
    .group_segment_fixed_size: 2048
    .kernarg_segment_align: 8
    .kernarg_segment_size: 108
    .language:       OpenCL C
    .language_version:
      - 2
      - 0
    .max_flat_workgroup_size: 256
    .name:           _ZL29rocblas_internal_gemmt_kernelIlLi16ELi32ELi8ELc67ELc78ELc85ELb0ELb0EffPKfPfEviT_T9_T10_S3_lS5_S3_lS4_T11_S3_li
    .private_segment_fixed_size: 0
    .sgpr_count:     34
    .sgpr_spill_count: 0
    .symbol:         _ZL29rocblas_internal_gemmt_kernelIlLi16ELi32ELi8ELc67ELc78ELc85ELb0ELb0EffPKfPfEviT_T9_T10_S3_lS5_S3_lS4_T11_S3_li.kd
    .uniform_work_group_size: 1
    .uses_dynamic_stack: false
    .vgpr_count:     50
    .vgpr_spill_count: 0
    .wavefront_size: 64
  - .agpr_count:     0
    .args:
      - .offset:         0
        .size:           4
        .value_kind:     by_value
      - .offset:         8
        .size:           8
        .value_kind:     by_value
      - .offset:         16
        .size:           4
        .value_kind:     by_value
      - .address_space:  global
        .offset:         24
        .size:           8
        .value_kind:     global_buffer
      - .offset:         32
        .size:           8
        .value_kind:     by_value
      - .offset:         40
        .size:           8
        .value_kind:     by_value
      - .address_space:  global
        .offset:         48
        .size:           8
        .value_kind:     global_buffer
      - .offset:         56
        .size:           8
        .value_kind:     by_value
      - .offset:         64
        .size:           8
        .value_kind:     by_value
      - .offset:         72
        .size:           4
        .value_kind:     by_value
      - .address_space:  global
        .offset:         80
        .size:           8
        .value_kind:     global_buffer
      - .offset:         88
        .size:           8
        .value_kind:     by_value
      - .offset:         96
        .size:           8
        .value_kind:     by_value
      - .offset:         104
        .size:           4
        .value_kind:     by_value
    .group_segment_fixed_size: 2048
    .kernarg_segment_align: 8
    .kernarg_segment_size: 108
    .language:       OpenCL C
    .language_version:
      - 2
      - 0
    .max_flat_workgroup_size: 256
    .name:           _ZL29rocblas_internal_gemmt_kernelIlLi16ELi32ELi8ELc67ELc84ELc85ELb0ELb0EffPKfPfEviT_T9_T10_S3_lS5_S3_lS4_T11_S3_li
    .private_segment_fixed_size: 0
    .sgpr_count:     38
    .sgpr_spill_count: 0
    .symbol:         _ZL29rocblas_internal_gemmt_kernelIlLi16ELi32ELi8ELc67ELc84ELc85ELb0ELb0EffPKfPfEviT_T9_T10_S3_lS5_S3_lS4_T11_S3_li.kd
    .uniform_work_group_size: 1
    .uses_dynamic_stack: false
    .vgpr_count:     50
    .vgpr_spill_count: 0
    .wavefront_size: 64
  - .agpr_count:     0
    .args:
      - .offset:         0
        .size:           4
        .value_kind:     by_value
      - .offset:         8
        .size:           8
        .value_kind:     by_value
      - .offset:         16
        .size:           4
        .value_kind:     by_value
      - .address_space:  global
        .offset:         24
        .size:           8
        .value_kind:     global_buffer
      - .offset:         32
        .size:           8
        .value_kind:     by_value
      - .offset:         40
        .size:           8
        .value_kind:     by_value
      - .address_space:  global
        .offset:         48
        .size:           8
        .value_kind:     global_buffer
      - .offset:         56
        .size:           8
        .value_kind:     by_value
      - .offset:         64
        .size:           8
        .value_kind:     by_value
      - .offset:         72
        .size:           4
        .value_kind:     by_value
      - .address_space:  global
        .offset:         80
        .size:           8
        .value_kind:     global_buffer
      - .offset:         88
        .size:           8
        .value_kind:     by_value
      - .offset:         96
        .size:           8
        .value_kind:     by_value
      - .offset:         104
        .size:           4
        .value_kind:     by_value
    .group_segment_fixed_size: 2048
    .kernarg_segment_align: 8
    .kernarg_segment_size: 108
    .language:       OpenCL C
    .language_version:
      - 2
      - 0
    .max_flat_workgroup_size: 256
    .name:           _ZL29rocblas_internal_gemmt_kernelIlLi16ELi32ELi8ELc67ELc67ELc85ELb0ELb0EffPKfPfEviT_T9_T10_S3_lS5_S3_lS4_T11_S3_li
    .private_segment_fixed_size: 0
    .sgpr_count:     38
    .sgpr_spill_count: 0
    .symbol:         _ZL29rocblas_internal_gemmt_kernelIlLi16ELi32ELi8ELc67ELc67ELc85ELb0ELb0EffPKfPfEviT_T9_T10_S3_lS5_S3_lS4_T11_S3_li.kd
    .uniform_work_group_size: 1
    .uses_dynamic_stack: false
    .vgpr_count:     50
    .vgpr_spill_count: 0
    .wavefront_size: 64
  - .agpr_count:     0
    .args:
      - .offset:         0
        .size:           4
        .value_kind:     by_value
      - .offset:         8
        .size:           8
        .value_kind:     by_value
      - .offset:         16
        .size:           4
        .value_kind:     by_value
      - .address_space:  global
        .offset:         24
        .size:           8
        .value_kind:     global_buffer
      - .offset:         32
        .size:           8
        .value_kind:     by_value
      - .offset:         40
        .size:           8
        .value_kind:     by_value
      - .address_space:  global
        .offset:         48
        .size:           8
        .value_kind:     global_buffer
      - .offset:         56
        .size:           8
        .value_kind:     by_value
      - .offset:         64
        .size:           8
        .value_kind:     by_value
      - .offset:         72
        .size:           4
        .value_kind:     by_value
      - .address_space:  global
        .offset:         80
        .size:           8
        .value_kind:     global_buffer
      - .offset:         88
        .size:           8
        .value_kind:     by_value
      - .offset:         96
        .size:           8
        .value_kind:     by_value
      - .offset:         104
        .size:           4
        .value_kind:     by_value
    .group_segment_fixed_size: 2048
    .kernarg_segment_align: 8
    .kernarg_segment_size: 108
    .language:       OpenCL C
    .language_version:
      - 2
      - 0
    .max_flat_workgroup_size: 256
    .name:           _ZL29rocblas_internal_gemmt_kernelIlLi16ELi32ELi8ELc78ELc78ELc76ELb0ELb0EffPKfPfEviT_T9_T10_S3_lS5_S3_lS4_T11_S3_li
    .private_segment_fixed_size: 0
    .sgpr_count:     34
    .sgpr_spill_count: 0
    .symbol:         _ZL29rocblas_internal_gemmt_kernelIlLi16ELi32ELi8ELc78ELc78ELc76ELb0ELb0EffPKfPfEviT_T9_T10_S3_lS5_S3_lS4_T11_S3_li.kd
    .uniform_work_group_size: 1
    .uses_dynamic_stack: false
    .vgpr_count:     50
    .vgpr_spill_count: 0
    .wavefront_size: 64
  - .agpr_count:     0
    .args:
      - .offset:         0
        .size:           4
        .value_kind:     by_value
      - .offset:         8
        .size:           8
        .value_kind:     by_value
      - .offset:         16
        .size:           4
        .value_kind:     by_value
      - .address_space:  global
        .offset:         24
        .size:           8
        .value_kind:     global_buffer
      - .offset:         32
        .size:           8
        .value_kind:     by_value
      - .offset:         40
        .size:           8
        .value_kind:     by_value
      - .address_space:  global
        .offset:         48
        .size:           8
        .value_kind:     global_buffer
      - .offset:         56
        .size:           8
        .value_kind:     by_value
      - .offset:         64
        .size:           8
        .value_kind:     by_value
      - .offset:         72
        .size:           4
        .value_kind:     by_value
      - .address_space:  global
        .offset:         80
        .size:           8
        .value_kind:     global_buffer
      - .offset:         88
        .size:           8
        .value_kind:     by_value
      - .offset:         96
        .size:           8
        .value_kind:     by_value
      - .offset:         104
        .size:           4
        .value_kind:     by_value
    .group_segment_fixed_size: 2048
    .kernarg_segment_align: 8
    .kernarg_segment_size: 108
    .language:       OpenCL C
    .language_version:
      - 2
      - 0
    .max_flat_workgroup_size: 256
    .name:           _ZL29rocblas_internal_gemmt_kernelIlLi16ELi32ELi8ELc78ELc84ELc76ELb0ELb0EffPKfPfEviT_T9_T10_S3_lS5_S3_lS4_T11_S3_li
    .private_segment_fixed_size: 0
    .sgpr_count:     32
    .sgpr_spill_count: 0
    .symbol:         _ZL29rocblas_internal_gemmt_kernelIlLi16ELi32ELi8ELc78ELc84ELc76ELb0ELb0EffPKfPfEviT_T9_T10_S3_lS5_S3_lS4_T11_S3_li.kd
    .uniform_work_group_size: 1
    .uses_dynamic_stack: false
    .vgpr_count:     50
    .vgpr_spill_count: 0
    .wavefront_size: 64
  - .agpr_count:     0
    .args:
      - .offset:         0
        .size:           4
        .value_kind:     by_value
      - .offset:         8
        .size:           8
        .value_kind:     by_value
      - .offset:         16
        .size:           4
        .value_kind:     by_value
      - .address_space:  global
        .offset:         24
        .size:           8
        .value_kind:     global_buffer
      - .offset:         32
        .size:           8
        .value_kind:     by_value
      - .offset:         40
        .size:           8
        .value_kind:     by_value
      - .address_space:  global
        .offset:         48
        .size:           8
        .value_kind:     global_buffer
      - .offset:         56
        .size:           8
        .value_kind:     by_value
      - .offset:         64
        .size:           8
        .value_kind:     by_value
      - .offset:         72
        .size:           4
        .value_kind:     by_value
      - .address_space:  global
        .offset:         80
        .size:           8
        .value_kind:     global_buffer
      - .offset:         88
        .size:           8
        .value_kind:     by_value
      - .offset:         96
        .size:           8
        .value_kind:     by_value
      - .offset:         104
        .size:           4
        .value_kind:     by_value
    .group_segment_fixed_size: 2048
    .kernarg_segment_align: 8
    .kernarg_segment_size: 108
    .language:       OpenCL C
    .language_version:
      - 2
      - 0
    .max_flat_workgroup_size: 256
    .name:           _ZL29rocblas_internal_gemmt_kernelIlLi16ELi32ELi8ELc78ELc67ELc76ELb0ELb0EffPKfPfEviT_T9_T10_S3_lS5_S3_lS4_T11_S3_li
    .private_segment_fixed_size: 0
    .sgpr_count:     32
    .sgpr_spill_count: 0
    .symbol:         _ZL29rocblas_internal_gemmt_kernelIlLi16ELi32ELi8ELc78ELc67ELc76ELb0ELb0EffPKfPfEviT_T9_T10_S3_lS5_S3_lS4_T11_S3_li.kd
    .uniform_work_group_size: 1
    .uses_dynamic_stack: false
    .vgpr_count:     50
    .vgpr_spill_count: 0
    .wavefront_size: 64
  - .agpr_count:     0
    .args:
      - .offset:         0
        .size:           4
        .value_kind:     by_value
      - .offset:         8
        .size:           8
        .value_kind:     by_value
      - .offset:         16
        .size:           4
        .value_kind:     by_value
      - .address_space:  global
        .offset:         24
        .size:           8
        .value_kind:     global_buffer
      - .offset:         32
        .size:           8
        .value_kind:     by_value
      - .offset:         40
        .size:           8
        .value_kind:     by_value
      - .address_space:  global
        .offset:         48
        .size:           8
        .value_kind:     global_buffer
      - .offset:         56
        .size:           8
        .value_kind:     by_value
      - .offset:         64
        .size:           8
        .value_kind:     by_value
      - .offset:         72
        .size:           4
        .value_kind:     by_value
      - .address_space:  global
        .offset:         80
        .size:           8
        .value_kind:     global_buffer
      - .offset:         88
        .size:           8
        .value_kind:     by_value
      - .offset:         96
        .size:           8
        .value_kind:     by_value
      - .offset:         104
        .size:           4
        .value_kind:     by_value
    .group_segment_fixed_size: 2048
    .kernarg_segment_align: 8
    .kernarg_segment_size: 108
    .language:       OpenCL C
    .language_version:
      - 2
      - 0
    .max_flat_workgroup_size: 256
    .name:           _ZL29rocblas_internal_gemmt_kernelIlLi16ELi32ELi8ELc84ELc78ELc76ELb0ELb0EffPKfPfEviT_T9_T10_S3_lS5_S3_lS4_T11_S3_li
    .private_segment_fixed_size: 0
    .sgpr_count:     34
    .sgpr_spill_count: 0
    .symbol:         _ZL29rocblas_internal_gemmt_kernelIlLi16ELi32ELi8ELc84ELc78ELc76ELb0ELb0EffPKfPfEviT_T9_T10_S3_lS5_S3_lS4_T11_S3_li.kd
    .uniform_work_group_size: 1
    .uses_dynamic_stack: false
    .vgpr_count:     50
    .vgpr_spill_count: 0
    .wavefront_size: 64
  - .agpr_count:     0
    .args:
      - .offset:         0
        .size:           4
        .value_kind:     by_value
      - .offset:         8
        .size:           8
        .value_kind:     by_value
      - .offset:         16
        .size:           4
        .value_kind:     by_value
      - .address_space:  global
        .offset:         24
        .size:           8
        .value_kind:     global_buffer
      - .offset:         32
        .size:           8
        .value_kind:     by_value
      - .offset:         40
        .size:           8
        .value_kind:     by_value
      - .address_space:  global
        .offset:         48
        .size:           8
        .value_kind:     global_buffer
      - .offset:         56
        .size:           8
        .value_kind:     by_value
      - .offset:         64
        .size:           8
        .value_kind:     by_value
      - .offset:         72
        .size:           4
        .value_kind:     by_value
      - .address_space:  global
        .offset:         80
        .size:           8
        .value_kind:     global_buffer
      - .offset:         88
        .size:           8
        .value_kind:     by_value
      - .offset:         96
        .size:           8
        .value_kind:     by_value
      - .offset:         104
        .size:           4
        .value_kind:     by_value
    .group_segment_fixed_size: 2048
    .kernarg_segment_align: 8
    .kernarg_segment_size: 108
    .language:       OpenCL C
    .language_version:
      - 2
      - 0
    .max_flat_workgroup_size: 256
    .name:           _ZL29rocblas_internal_gemmt_kernelIlLi16ELi32ELi8ELc84ELc84ELc76ELb0ELb0EffPKfPfEviT_T9_T10_S3_lS5_S3_lS4_T11_S3_li
    .private_segment_fixed_size: 0
    .sgpr_count:     38
    .sgpr_spill_count: 0
    .symbol:         _ZL29rocblas_internal_gemmt_kernelIlLi16ELi32ELi8ELc84ELc84ELc76ELb0ELb0EffPKfPfEviT_T9_T10_S3_lS5_S3_lS4_T11_S3_li.kd
    .uniform_work_group_size: 1
    .uses_dynamic_stack: false
    .vgpr_count:     50
    .vgpr_spill_count: 0
    .wavefront_size: 64
  - .agpr_count:     0
    .args:
      - .offset:         0
        .size:           4
        .value_kind:     by_value
      - .offset:         8
        .size:           8
        .value_kind:     by_value
      - .offset:         16
        .size:           4
        .value_kind:     by_value
      - .address_space:  global
        .offset:         24
        .size:           8
        .value_kind:     global_buffer
      - .offset:         32
        .size:           8
        .value_kind:     by_value
      - .offset:         40
        .size:           8
        .value_kind:     by_value
      - .address_space:  global
        .offset:         48
        .size:           8
        .value_kind:     global_buffer
      - .offset:         56
        .size:           8
        .value_kind:     by_value
      - .offset:         64
        .size:           8
        .value_kind:     by_value
      - .offset:         72
        .size:           4
        .value_kind:     by_value
      - .address_space:  global
        .offset:         80
        .size:           8
        .value_kind:     global_buffer
      - .offset:         88
        .size:           8
        .value_kind:     by_value
      - .offset:         96
        .size:           8
        .value_kind:     by_value
      - .offset:         104
        .size:           4
        .value_kind:     by_value
    .group_segment_fixed_size: 2048
    .kernarg_segment_align: 8
    .kernarg_segment_size: 108
    .language:       OpenCL C
    .language_version:
      - 2
      - 0
    .max_flat_workgroup_size: 256
    .name:           _ZL29rocblas_internal_gemmt_kernelIlLi16ELi32ELi8ELc84ELc67ELc76ELb0ELb0EffPKfPfEviT_T9_T10_S3_lS5_S3_lS4_T11_S3_li
    .private_segment_fixed_size: 0
    .sgpr_count:     38
    .sgpr_spill_count: 0
    .symbol:         _ZL29rocblas_internal_gemmt_kernelIlLi16ELi32ELi8ELc84ELc67ELc76ELb0ELb0EffPKfPfEviT_T9_T10_S3_lS5_S3_lS4_T11_S3_li.kd
    .uniform_work_group_size: 1
    .uses_dynamic_stack: false
    .vgpr_count:     50
    .vgpr_spill_count: 0
    .wavefront_size: 64
  - .agpr_count:     0
    .args:
      - .offset:         0
        .size:           4
        .value_kind:     by_value
      - .offset:         8
        .size:           8
        .value_kind:     by_value
      - .offset:         16
        .size:           4
        .value_kind:     by_value
      - .address_space:  global
        .offset:         24
        .size:           8
        .value_kind:     global_buffer
      - .offset:         32
        .size:           8
        .value_kind:     by_value
      - .offset:         40
        .size:           8
        .value_kind:     by_value
      - .address_space:  global
        .offset:         48
        .size:           8
        .value_kind:     global_buffer
      - .offset:         56
        .size:           8
        .value_kind:     by_value
      - .offset:         64
        .size:           8
        .value_kind:     by_value
      - .offset:         72
        .size:           4
        .value_kind:     by_value
      - .address_space:  global
        .offset:         80
        .size:           8
        .value_kind:     global_buffer
      - .offset:         88
        .size:           8
        .value_kind:     by_value
      - .offset:         96
        .size:           8
        .value_kind:     by_value
      - .offset:         104
        .size:           4
        .value_kind:     by_value
    .group_segment_fixed_size: 2048
    .kernarg_segment_align: 8
    .kernarg_segment_size: 108
    .language:       OpenCL C
    .language_version:
      - 2
      - 0
    .max_flat_workgroup_size: 256
    .name:           _ZL29rocblas_internal_gemmt_kernelIlLi16ELi32ELi8ELc67ELc78ELc76ELb0ELb0EffPKfPfEviT_T9_T10_S3_lS5_S3_lS4_T11_S3_li
    .private_segment_fixed_size: 0
    .sgpr_count:     34
    .sgpr_spill_count: 0
    .symbol:         _ZL29rocblas_internal_gemmt_kernelIlLi16ELi32ELi8ELc67ELc78ELc76ELb0ELb0EffPKfPfEviT_T9_T10_S3_lS5_S3_lS4_T11_S3_li.kd
    .uniform_work_group_size: 1
    .uses_dynamic_stack: false
    .vgpr_count:     50
    .vgpr_spill_count: 0
    .wavefront_size: 64
  - .agpr_count:     0
    .args:
      - .offset:         0
        .size:           4
        .value_kind:     by_value
      - .offset:         8
        .size:           8
        .value_kind:     by_value
      - .offset:         16
        .size:           4
        .value_kind:     by_value
      - .address_space:  global
        .offset:         24
        .size:           8
        .value_kind:     global_buffer
      - .offset:         32
        .size:           8
        .value_kind:     by_value
      - .offset:         40
        .size:           8
        .value_kind:     by_value
      - .address_space:  global
        .offset:         48
        .size:           8
        .value_kind:     global_buffer
      - .offset:         56
        .size:           8
        .value_kind:     by_value
      - .offset:         64
        .size:           8
        .value_kind:     by_value
      - .offset:         72
        .size:           4
        .value_kind:     by_value
      - .address_space:  global
        .offset:         80
        .size:           8
        .value_kind:     global_buffer
      - .offset:         88
        .size:           8
        .value_kind:     by_value
      - .offset:         96
        .size:           8
        .value_kind:     by_value
      - .offset:         104
        .size:           4
        .value_kind:     by_value
    .group_segment_fixed_size: 2048
    .kernarg_segment_align: 8
    .kernarg_segment_size: 108
    .language:       OpenCL C
    .language_version:
      - 2
      - 0
    .max_flat_workgroup_size: 256
    .name:           _ZL29rocblas_internal_gemmt_kernelIlLi16ELi32ELi8ELc67ELc84ELc76ELb0ELb0EffPKfPfEviT_T9_T10_S3_lS5_S3_lS4_T11_S3_li
    .private_segment_fixed_size: 0
    .sgpr_count:     38
    .sgpr_spill_count: 0
    .symbol:         _ZL29rocblas_internal_gemmt_kernelIlLi16ELi32ELi8ELc67ELc84ELc76ELb0ELb0EffPKfPfEviT_T9_T10_S3_lS5_S3_lS4_T11_S3_li.kd
    .uniform_work_group_size: 1
    .uses_dynamic_stack: false
    .vgpr_count:     50
    .vgpr_spill_count: 0
    .wavefront_size: 64
  - .agpr_count:     0
    .args:
      - .offset:         0
        .size:           4
        .value_kind:     by_value
      - .offset:         8
        .size:           8
        .value_kind:     by_value
      - .offset:         16
        .size:           4
        .value_kind:     by_value
      - .address_space:  global
        .offset:         24
        .size:           8
        .value_kind:     global_buffer
      - .offset:         32
        .size:           8
        .value_kind:     by_value
      - .offset:         40
        .size:           8
        .value_kind:     by_value
      - .address_space:  global
        .offset:         48
        .size:           8
        .value_kind:     global_buffer
      - .offset:         56
        .size:           8
        .value_kind:     by_value
      - .offset:         64
        .size:           8
        .value_kind:     by_value
      - .offset:         72
        .size:           4
        .value_kind:     by_value
      - .address_space:  global
        .offset:         80
        .size:           8
        .value_kind:     global_buffer
      - .offset:         88
        .size:           8
        .value_kind:     by_value
      - .offset:         96
        .size:           8
        .value_kind:     by_value
      - .offset:         104
        .size:           4
        .value_kind:     by_value
    .group_segment_fixed_size: 2048
    .kernarg_segment_align: 8
    .kernarg_segment_size: 108
    .language:       OpenCL C
    .language_version:
      - 2
      - 0
    .max_flat_workgroup_size: 256
    .name:           _ZL29rocblas_internal_gemmt_kernelIlLi16ELi32ELi8ELc67ELc67ELc76ELb0ELb0EffPKfPfEviT_T9_T10_S3_lS5_S3_lS4_T11_S3_li
    .private_segment_fixed_size: 0
    .sgpr_count:     38
    .sgpr_spill_count: 0
    .symbol:         _ZL29rocblas_internal_gemmt_kernelIlLi16ELi32ELi8ELc67ELc67ELc76ELb0ELb0EffPKfPfEviT_T9_T10_S3_lS5_S3_lS4_T11_S3_li.kd
    .uniform_work_group_size: 1
    .uses_dynamic_stack: false
    .vgpr_count:     50
    .vgpr_spill_count: 0
    .wavefront_size: 64
  - .agpr_count:     0
    .args:
      - .offset:         0
        .size:           4
        .value_kind:     by_value
      - .offset:         8
        .size:           8
        .value_kind:     by_value
      - .address_space:  global
        .offset:         16
        .size:           8
        .value_kind:     global_buffer
      - .address_space:  global
        .offset:         24
        .size:           8
        .value_kind:     global_buffer
      - .offset:         32
        .size:           8
        .value_kind:     by_value
      - .offset:         40
        .size:           8
        .value_kind:     by_value
      - .address_space:  global
        .offset:         48
        .size:           8
        .value_kind:     global_buffer
      - .offset:         56
        .size:           8
        .value_kind:     by_value
      - .offset:         64
        .size:           8
        .value_kind:     by_value
      - .address_space:  global
        .offset:         72
        .size:           8
        .value_kind:     global_buffer
      - .address_space:  global
        .offset:         80
        .size:           8
        .value_kind:     global_buffer
      - .offset:         88
        .size:           8
        .value_kind:     by_value
      - .offset:         96
        .size:           8
        .value_kind:     by_value
      - .offset:         104
        .size:           4
        .value_kind:     by_value
    .group_segment_fixed_size: 4096
    .kernarg_segment_align: 8
    .kernarg_segment_size: 108
    .language:       OpenCL C
    .language_version:
      - 2
      - 0
    .max_flat_workgroup_size: 256
    .name:           _ZL29rocblas_internal_gemmt_kernelIlLi16ELi32ELi8ELc78ELc78ELc85ELb0ELb0EdPKdS1_PdEviT_T9_T10_S3_lS5_S3_lS4_T11_S3_li
    .private_segment_fixed_size: 0
    .sgpr_count:     42
    .sgpr_spill_count: 0
    .symbol:         _ZL29rocblas_internal_gemmt_kernelIlLi16ELi32ELi8ELc78ELc78ELc85ELb0ELb0EdPKdS1_PdEviT_T9_T10_S3_lS5_S3_lS4_T11_S3_li.kd
    .uniform_work_group_size: 1
    .uses_dynamic_stack: false
    .vgpr_count:     54
    .vgpr_spill_count: 0
    .wavefront_size: 64
  - .agpr_count:     0
    .args:
      - .offset:         0
        .size:           4
        .value_kind:     by_value
      - .offset:         8
        .size:           8
        .value_kind:     by_value
      - .address_space:  global
        .offset:         16
        .size:           8
        .value_kind:     global_buffer
      - .address_space:  global
        .offset:         24
        .size:           8
        .value_kind:     global_buffer
      - .offset:         32
        .size:           8
        .value_kind:     by_value
      - .offset:         40
        .size:           8
        .value_kind:     by_value
      - .address_space:  global
        .offset:         48
        .size:           8
        .value_kind:     global_buffer
      - .offset:         56
        .size:           8
        .value_kind:     by_value
      - .offset:         64
        .size:           8
        .value_kind:     by_value
      - .address_space:  global
        .offset:         72
        .size:           8
        .value_kind:     global_buffer
      - .address_space:  global
        .offset:         80
        .size:           8
        .value_kind:     global_buffer
      - .offset:         88
        .size:           8
        .value_kind:     by_value
      - .offset:         96
        .size:           8
        .value_kind:     by_value
      - .offset:         104
        .size:           4
        .value_kind:     by_value
    .group_segment_fixed_size: 4096
    .kernarg_segment_align: 8
    .kernarg_segment_size: 108
    .language:       OpenCL C
    .language_version:
      - 2
      - 0
    .max_flat_workgroup_size: 256
    .name:           _ZL29rocblas_internal_gemmt_kernelIlLi16ELi32ELi8ELc78ELc84ELc85ELb0ELb0EdPKdS1_PdEviT_T9_T10_S3_lS5_S3_lS4_T11_S3_li
    .private_segment_fixed_size: 0
    .sgpr_count:     42
    .sgpr_spill_count: 0
    .symbol:         _ZL29rocblas_internal_gemmt_kernelIlLi16ELi32ELi8ELc78ELc84ELc85ELb0ELb0EdPKdS1_PdEviT_T9_T10_S3_lS5_S3_lS4_T11_S3_li.kd
    .uniform_work_group_size: 1
    .uses_dynamic_stack: false
    .vgpr_count:     54
    .vgpr_spill_count: 0
    .wavefront_size: 64
  - .agpr_count:     0
    .args:
      - .offset:         0
        .size:           4
        .value_kind:     by_value
      - .offset:         8
        .size:           8
        .value_kind:     by_value
      - .address_space:  global
        .offset:         16
        .size:           8
        .value_kind:     global_buffer
      - .address_space:  global
        .offset:         24
        .size:           8
        .value_kind:     global_buffer
      - .offset:         32
        .size:           8
        .value_kind:     by_value
      - .offset:         40
        .size:           8
        .value_kind:     by_value
      - .address_space:  global
        .offset:         48
        .size:           8
        .value_kind:     global_buffer
      - .offset:         56
        .size:           8
        .value_kind:     by_value
      - .offset:         64
        .size:           8
        .value_kind:     by_value
      - .address_space:  global
        .offset:         72
        .size:           8
        .value_kind:     global_buffer
      - .address_space:  global
        .offset:         80
        .size:           8
        .value_kind:     global_buffer
      - .offset:         88
        .size:           8
        .value_kind:     by_value
      - .offset:         96
        .size:           8
        .value_kind:     by_value
      - .offset:         104
        .size:           4
        .value_kind:     by_value
    .group_segment_fixed_size: 4096
    .kernarg_segment_align: 8
    .kernarg_segment_size: 108
    .language:       OpenCL C
    .language_version:
      - 2
      - 0
    .max_flat_workgroup_size: 256
    .name:           _ZL29rocblas_internal_gemmt_kernelIlLi16ELi32ELi8ELc78ELc67ELc85ELb0ELb0EdPKdS1_PdEviT_T9_T10_S3_lS5_S3_lS4_T11_S3_li
    .private_segment_fixed_size: 0
    .sgpr_count:     42
    .sgpr_spill_count: 0
    .symbol:         _ZL29rocblas_internal_gemmt_kernelIlLi16ELi32ELi8ELc78ELc67ELc85ELb0ELb0EdPKdS1_PdEviT_T9_T10_S3_lS5_S3_lS4_T11_S3_li.kd
    .uniform_work_group_size: 1
    .uses_dynamic_stack: false
    .vgpr_count:     54
    .vgpr_spill_count: 0
    .wavefront_size: 64
  - .agpr_count:     0
    .args:
      - .offset:         0
        .size:           4
        .value_kind:     by_value
      - .offset:         8
        .size:           8
        .value_kind:     by_value
      - .address_space:  global
        .offset:         16
        .size:           8
        .value_kind:     global_buffer
      - .address_space:  global
        .offset:         24
        .size:           8
        .value_kind:     global_buffer
      - .offset:         32
        .size:           8
        .value_kind:     by_value
      - .offset:         40
        .size:           8
        .value_kind:     by_value
      - .address_space:  global
        .offset:         48
        .size:           8
        .value_kind:     global_buffer
      - .offset:         56
        .size:           8
        .value_kind:     by_value
      - .offset:         64
        .size:           8
        .value_kind:     by_value
      - .address_space:  global
        .offset:         72
        .size:           8
        .value_kind:     global_buffer
      - .address_space:  global
        .offset:         80
        .size:           8
        .value_kind:     global_buffer
      - .offset:         88
        .size:           8
        .value_kind:     by_value
      - .offset:         96
        .size:           8
        .value_kind:     by_value
      - .offset:         104
        .size:           4
        .value_kind:     by_value
    .group_segment_fixed_size: 4096
    .kernarg_segment_align: 8
    .kernarg_segment_size: 108
    .language:       OpenCL C
    .language_version:
      - 2
      - 0
    .max_flat_workgroup_size: 256
    .name:           _ZL29rocblas_internal_gemmt_kernelIlLi16ELi32ELi8ELc84ELc78ELc85ELb0ELb0EdPKdS1_PdEviT_T9_T10_S3_lS5_S3_lS4_T11_S3_li
    .private_segment_fixed_size: 0
    .sgpr_count:     42
    .sgpr_spill_count: 0
    .symbol:         _ZL29rocblas_internal_gemmt_kernelIlLi16ELi32ELi8ELc84ELc78ELc85ELb0ELb0EdPKdS1_PdEviT_T9_T10_S3_lS5_S3_lS4_T11_S3_li.kd
    .uniform_work_group_size: 1
    .uses_dynamic_stack: false
    .vgpr_count:     54
    .vgpr_spill_count: 0
    .wavefront_size: 64
  - .agpr_count:     0
    .args:
      - .offset:         0
        .size:           4
        .value_kind:     by_value
      - .offset:         8
        .size:           8
        .value_kind:     by_value
      - .address_space:  global
        .offset:         16
        .size:           8
        .value_kind:     global_buffer
      - .address_space:  global
        .offset:         24
        .size:           8
        .value_kind:     global_buffer
      - .offset:         32
        .size:           8
        .value_kind:     by_value
      - .offset:         40
        .size:           8
        .value_kind:     by_value
      - .address_space:  global
        .offset:         48
        .size:           8
        .value_kind:     global_buffer
      - .offset:         56
        .size:           8
        .value_kind:     by_value
      - .offset:         64
        .size:           8
        .value_kind:     by_value
      - .address_space:  global
        .offset:         72
        .size:           8
        .value_kind:     global_buffer
      - .address_space:  global
        .offset:         80
        .size:           8
        .value_kind:     global_buffer
      - .offset:         88
        .size:           8
        .value_kind:     by_value
      - .offset:         96
        .size:           8
        .value_kind:     by_value
      - .offset:         104
        .size:           4
        .value_kind:     by_value
    .group_segment_fixed_size: 4096
    .kernarg_segment_align: 8
    .kernarg_segment_size: 108
    .language:       OpenCL C
    .language_version:
      - 2
      - 0
    .max_flat_workgroup_size: 256
    .name:           _ZL29rocblas_internal_gemmt_kernelIlLi16ELi32ELi8ELc84ELc84ELc85ELb0ELb0EdPKdS1_PdEviT_T9_T10_S3_lS5_S3_lS4_T11_S3_li
    .private_segment_fixed_size: 0
    .sgpr_count:     42
    .sgpr_spill_count: 0
    .symbol:         _ZL29rocblas_internal_gemmt_kernelIlLi16ELi32ELi8ELc84ELc84ELc85ELb0ELb0EdPKdS1_PdEviT_T9_T10_S3_lS5_S3_lS4_T11_S3_li.kd
    .uniform_work_group_size: 1
    .uses_dynamic_stack: false
    .vgpr_count:     54
    .vgpr_spill_count: 0
    .wavefront_size: 64
  - .agpr_count:     0
    .args:
      - .offset:         0
        .size:           4
        .value_kind:     by_value
      - .offset:         8
        .size:           8
        .value_kind:     by_value
      - .address_space:  global
        .offset:         16
        .size:           8
        .value_kind:     global_buffer
      - .address_space:  global
        .offset:         24
        .size:           8
        .value_kind:     global_buffer
      - .offset:         32
        .size:           8
        .value_kind:     by_value
      - .offset:         40
        .size:           8
        .value_kind:     by_value
      - .address_space:  global
        .offset:         48
        .size:           8
        .value_kind:     global_buffer
      - .offset:         56
        .size:           8
        .value_kind:     by_value
      - .offset:         64
        .size:           8
        .value_kind:     by_value
      - .address_space:  global
        .offset:         72
        .size:           8
        .value_kind:     global_buffer
      - .address_space:  global
        .offset:         80
        .size:           8
        .value_kind:     global_buffer
      - .offset:         88
        .size:           8
        .value_kind:     by_value
      - .offset:         96
        .size:           8
        .value_kind:     by_value
      - .offset:         104
        .size:           4
        .value_kind:     by_value
    .group_segment_fixed_size: 4096
    .kernarg_segment_align: 8
    .kernarg_segment_size: 108
    .language:       OpenCL C
    .language_version:
      - 2
      - 0
    .max_flat_workgroup_size: 256
    .name:           _ZL29rocblas_internal_gemmt_kernelIlLi16ELi32ELi8ELc84ELc67ELc85ELb0ELb0EdPKdS1_PdEviT_T9_T10_S3_lS5_S3_lS4_T11_S3_li
    .private_segment_fixed_size: 0
    .sgpr_count:     42
    .sgpr_spill_count: 0
    .symbol:         _ZL29rocblas_internal_gemmt_kernelIlLi16ELi32ELi8ELc84ELc67ELc85ELb0ELb0EdPKdS1_PdEviT_T9_T10_S3_lS5_S3_lS4_T11_S3_li.kd
    .uniform_work_group_size: 1
    .uses_dynamic_stack: false
    .vgpr_count:     54
    .vgpr_spill_count: 0
    .wavefront_size: 64
  - .agpr_count:     0
    .args:
      - .offset:         0
        .size:           4
        .value_kind:     by_value
      - .offset:         8
        .size:           8
        .value_kind:     by_value
      - .address_space:  global
        .offset:         16
        .size:           8
        .value_kind:     global_buffer
      - .address_space:  global
        .offset:         24
        .size:           8
        .value_kind:     global_buffer
      - .offset:         32
        .size:           8
        .value_kind:     by_value
      - .offset:         40
        .size:           8
        .value_kind:     by_value
      - .address_space:  global
        .offset:         48
        .size:           8
        .value_kind:     global_buffer
      - .offset:         56
        .size:           8
        .value_kind:     by_value
      - .offset:         64
        .size:           8
        .value_kind:     by_value
      - .address_space:  global
        .offset:         72
        .size:           8
        .value_kind:     global_buffer
      - .address_space:  global
        .offset:         80
        .size:           8
        .value_kind:     global_buffer
      - .offset:         88
        .size:           8
        .value_kind:     by_value
      - .offset:         96
        .size:           8
        .value_kind:     by_value
      - .offset:         104
        .size:           4
        .value_kind:     by_value
    .group_segment_fixed_size: 4096
    .kernarg_segment_align: 8
    .kernarg_segment_size: 108
    .language:       OpenCL C
    .language_version:
      - 2
      - 0
    .max_flat_workgroup_size: 256
    .name:           _ZL29rocblas_internal_gemmt_kernelIlLi16ELi32ELi8ELc67ELc78ELc85ELb0ELb0EdPKdS1_PdEviT_T9_T10_S3_lS5_S3_lS4_T11_S3_li
    .private_segment_fixed_size: 0
    .sgpr_count:     42
    .sgpr_spill_count: 0
    .symbol:         _ZL29rocblas_internal_gemmt_kernelIlLi16ELi32ELi8ELc67ELc78ELc85ELb0ELb0EdPKdS1_PdEviT_T9_T10_S3_lS5_S3_lS4_T11_S3_li.kd
    .uniform_work_group_size: 1
    .uses_dynamic_stack: false
    .vgpr_count:     54
    .vgpr_spill_count: 0
    .wavefront_size: 64
  - .agpr_count:     0
    .args:
      - .offset:         0
        .size:           4
        .value_kind:     by_value
      - .offset:         8
        .size:           8
        .value_kind:     by_value
      - .address_space:  global
        .offset:         16
        .size:           8
        .value_kind:     global_buffer
      - .address_space:  global
        .offset:         24
        .size:           8
        .value_kind:     global_buffer
      - .offset:         32
        .size:           8
        .value_kind:     by_value
      - .offset:         40
        .size:           8
        .value_kind:     by_value
      - .address_space:  global
        .offset:         48
        .size:           8
        .value_kind:     global_buffer
      - .offset:         56
        .size:           8
        .value_kind:     by_value
      - .offset:         64
        .size:           8
        .value_kind:     by_value
      - .address_space:  global
        .offset:         72
        .size:           8
        .value_kind:     global_buffer
      - .address_space:  global
        .offset:         80
        .size:           8
        .value_kind:     global_buffer
      - .offset:         88
        .size:           8
        .value_kind:     by_value
      - .offset:         96
        .size:           8
        .value_kind:     by_value
      - .offset:         104
        .size:           4
        .value_kind:     by_value
    .group_segment_fixed_size: 4096
    .kernarg_segment_align: 8
    .kernarg_segment_size: 108
    .language:       OpenCL C
    .language_version:
      - 2
      - 0
    .max_flat_workgroup_size: 256
    .name:           _ZL29rocblas_internal_gemmt_kernelIlLi16ELi32ELi8ELc67ELc84ELc85ELb0ELb0EdPKdS1_PdEviT_T9_T10_S3_lS5_S3_lS4_T11_S3_li
    .private_segment_fixed_size: 0
    .sgpr_count:     42
    .sgpr_spill_count: 0
    .symbol:         _ZL29rocblas_internal_gemmt_kernelIlLi16ELi32ELi8ELc67ELc84ELc85ELb0ELb0EdPKdS1_PdEviT_T9_T10_S3_lS5_S3_lS4_T11_S3_li.kd
    .uniform_work_group_size: 1
    .uses_dynamic_stack: false
    .vgpr_count:     54
    .vgpr_spill_count: 0
    .wavefront_size: 64
  - .agpr_count:     0
    .args:
      - .offset:         0
        .size:           4
        .value_kind:     by_value
      - .offset:         8
        .size:           8
        .value_kind:     by_value
      - .address_space:  global
        .offset:         16
        .size:           8
        .value_kind:     global_buffer
      - .address_space:  global
        .offset:         24
        .size:           8
        .value_kind:     global_buffer
      - .offset:         32
        .size:           8
        .value_kind:     by_value
      - .offset:         40
        .size:           8
        .value_kind:     by_value
      - .address_space:  global
        .offset:         48
        .size:           8
        .value_kind:     global_buffer
      - .offset:         56
        .size:           8
        .value_kind:     by_value
      - .offset:         64
        .size:           8
        .value_kind:     by_value
      - .address_space:  global
        .offset:         72
        .size:           8
        .value_kind:     global_buffer
      - .address_space:  global
        .offset:         80
        .size:           8
        .value_kind:     global_buffer
      - .offset:         88
        .size:           8
        .value_kind:     by_value
      - .offset:         96
        .size:           8
        .value_kind:     by_value
      - .offset:         104
        .size:           4
        .value_kind:     by_value
    .group_segment_fixed_size: 4096
    .kernarg_segment_align: 8
    .kernarg_segment_size: 108
    .language:       OpenCL C
    .language_version:
      - 2
      - 0
    .max_flat_workgroup_size: 256
    .name:           _ZL29rocblas_internal_gemmt_kernelIlLi16ELi32ELi8ELc67ELc67ELc85ELb0ELb0EdPKdS1_PdEviT_T9_T10_S3_lS5_S3_lS4_T11_S3_li
    .private_segment_fixed_size: 0
    .sgpr_count:     42
    .sgpr_spill_count: 0
    .symbol:         _ZL29rocblas_internal_gemmt_kernelIlLi16ELi32ELi8ELc67ELc67ELc85ELb0ELb0EdPKdS1_PdEviT_T9_T10_S3_lS5_S3_lS4_T11_S3_li.kd
    .uniform_work_group_size: 1
    .uses_dynamic_stack: false
    .vgpr_count:     54
    .vgpr_spill_count: 0
    .wavefront_size: 64
  - .agpr_count:     0
    .args:
      - .offset:         0
        .size:           4
        .value_kind:     by_value
      - .offset:         8
        .size:           8
        .value_kind:     by_value
      - .address_space:  global
        .offset:         16
        .size:           8
        .value_kind:     global_buffer
      - .address_space:  global
        .offset:         24
        .size:           8
        .value_kind:     global_buffer
      - .offset:         32
        .size:           8
        .value_kind:     by_value
      - .offset:         40
        .size:           8
        .value_kind:     by_value
      - .address_space:  global
        .offset:         48
        .size:           8
        .value_kind:     global_buffer
      - .offset:         56
        .size:           8
        .value_kind:     by_value
      - .offset:         64
        .size:           8
        .value_kind:     by_value
      - .address_space:  global
        .offset:         72
        .size:           8
        .value_kind:     global_buffer
      - .address_space:  global
        .offset:         80
        .size:           8
        .value_kind:     global_buffer
      - .offset:         88
        .size:           8
        .value_kind:     by_value
      - .offset:         96
        .size:           8
        .value_kind:     by_value
      - .offset:         104
        .size:           4
        .value_kind:     by_value
    .group_segment_fixed_size: 4096
    .kernarg_segment_align: 8
    .kernarg_segment_size: 108
    .language:       OpenCL C
    .language_version:
      - 2
      - 0
    .max_flat_workgroup_size: 256
    .name:           _ZL29rocblas_internal_gemmt_kernelIlLi16ELi32ELi8ELc78ELc78ELc76ELb0ELb0EdPKdS1_PdEviT_T9_T10_S3_lS5_S3_lS4_T11_S3_li
    .private_segment_fixed_size: 0
    .sgpr_count:     42
    .sgpr_spill_count: 0
    .symbol:         _ZL29rocblas_internal_gemmt_kernelIlLi16ELi32ELi8ELc78ELc78ELc76ELb0ELb0EdPKdS1_PdEviT_T9_T10_S3_lS5_S3_lS4_T11_S3_li.kd
    .uniform_work_group_size: 1
    .uses_dynamic_stack: false
    .vgpr_count:     54
    .vgpr_spill_count: 0
    .wavefront_size: 64
  - .agpr_count:     0
    .args:
      - .offset:         0
        .size:           4
        .value_kind:     by_value
      - .offset:         8
        .size:           8
        .value_kind:     by_value
      - .address_space:  global
        .offset:         16
        .size:           8
        .value_kind:     global_buffer
      - .address_space:  global
        .offset:         24
        .size:           8
        .value_kind:     global_buffer
      - .offset:         32
        .size:           8
        .value_kind:     by_value
      - .offset:         40
        .size:           8
        .value_kind:     by_value
      - .address_space:  global
        .offset:         48
        .size:           8
        .value_kind:     global_buffer
      - .offset:         56
        .size:           8
        .value_kind:     by_value
      - .offset:         64
        .size:           8
        .value_kind:     by_value
      - .address_space:  global
        .offset:         72
        .size:           8
        .value_kind:     global_buffer
      - .address_space:  global
        .offset:         80
        .size:           8
        .value_kind:     global_buffer
      - .offset:         88
        .size:           8
        .value_kind:     by_value
      - .offset:         96
        .size:           8
        .value_kind:     by_value
      - .offset:         104
        .size:           4
        .value_kind:     by_value
    .group_segment_fixed_size: 4096
    .kernarg_segment_align: 8
    .kernarg_segment_size: 108
    .language:       OpenCL C
    .language_version:
      - 2
      - 0
    .max_flat_workgroup_size: 256
    .name:           _ZL29rocblas_internal_gemmt_kernelIlLi16ELi32ELi8ELc78ELc84ELc76ELb0ELb0EdPKdS1_PdEviT_T9_T10_S3_lS5_S3_lS4_T11_S3_li
    .private_segment_fixed_size: 0
    .sgpr_count:     42
    .sgpr_spill_count: 0
    .symbol:         _ZL29rocblas_internal_gemmt_kernelIlLi16ELi32ELi8ELc78ELc84ELc76ELb0ELb0EdPKdS1_PdEviT_T9_T10_S3_lS5_S3_lS4_T11_S3_li.kd
    .uniform_work_group_size: 1
    .uses_dynamic_stack: false
    .vgpr_count:     54
    .vgpr_spill_count: 0
    .wavefront_size: 64
  - .agpr_count:     0
    .args:
      - .offset:         0
        .size:           4
        .value_kind:     by_value
      - .offset:         8
        .size:           8
        .value_kind:     by_value
      - .address_space:  global
        .offset:         16
        .size:           8
        .value_kind:     global_buffer
      - .address_space:  global
        .offset:         24
        .size:           8
        .value_kind:     global_buffer
      - .offset:         32
        .size:           8
        .value_kind:     by_value
      - .offset:         40
        .size:           8
        .value_kind:     by_value
      - .address_space:  global
        .offset:         48
        .size:           8
        .value_kind:     global_buffer
      - .offset:         56
        .size:           8
        .value_kind:     by_value
      - .offset:         64
        .size:           8
        .value_kind:     by_value
      - .address_space:  global
        .offset:         72
        .size:           8
        .value_kind:     global_buffer
      - .address_space:  global
        .offset:         80
        .size:           8
        .value_kind:     global_buffer
      - .offset:         88
        .size:           8
        .value_kind:     by_value
      - .offset:         96
        .size:           8
        .value_kind:     by_value
      - .offset:         104
        .size:           4
        .value_kind:     by_value
    .group_segment_fixed_size: 4096
    .kernarg_segment_align: 8
    .kernarg_segment_size: 108
    .language:       OpenCL C
    .language_version:
      - 2
      - 0
    .max_flat_workgroup_size: 256
    .name:           _ZL29rocblas_internal_gemmt_kernelIlLi16ELi32ELi8ELc78ELc67ELc76ELb0ELb0EdPKdS1_PdEviT_T9_T10_S3_lS5_S3_lS4_T11_S3_li
    .private_segment_fixed_size: 0
    .sgpr_count:     42
    .sgpr_spill_count: 0
    .symbol:         _ZL29rocblas_internal_gemmt_kernelIlLi16ELi32ELi8ELc78ELc67ELc76ELb0ELb0EdPKdS1_PdEviT_T9_T10_S3_lS5_S3_lS4_T11_S3_li.kd
    .uniform_work_group_size: 1
    .uses_dynamic_stack: false
    .vgpr_count:     54
    .vgpr_spill_count: 0
    .wavefront_size: 64
  - .agpr_count:     0
    .args:
      - .offset:         0
        .size:           4
        .value_kind:     by_value
      - .offset:         8
        .size:           8
        .value_kind:     by_value
      - .address_space:  global
        .offset:         16
        .size:           8
        .value_kind:     global_buffer
      - .address_space:  global
        .offset:         24
        .size:           8
        .value_kind:     global_buffer
      - .offset:         32
        .size:           8
        .value_kind:     by_value
      - .offset:         40
        .size:           8
        .value_kind:     by_value
      - .address_space:  global
        .offset:         48
        .size:           8
        .value_kind:     global_buffer
      - .offset:         56
        .size:           8
        .value_kind:     by_value
      - .offset:         64
        .size:           8
        .value_kind:     by_value
      - .address_space:  global
        .offset:         72
        .size:           8
        .value_kind:     global_buffer
      - .address_space:  global
        .offset:         80
        .size:           8
        .value_kind:     global_buffer
      - .offset:         88
        .size:           8
        .value_kind:     by_value
      - .offset:         96
        .size:           8
        .value_kind:     by_value
      - .offset:         104
        .size:           4
        .value_kind:     by_value
    .group_segment_fixed_size: 4096
    .kernarg_segment_align: 8
    .kernarg_segment_size: 108
    .language:       OpenCL C
    .language_version:
      - 2
      - 0
    .max_flat_workgroup_size: 256
    .name:           _ZL29rocblas_internal_gemmt_kernelIlLi16ELi32ELi8ELc84ELc78ELc76ELb0ELb0EdPKdS1_PdEviT_T9_T10_S3_lS5_S3_lS4_T11_S3_li
    .private_segment_fixed_size: 0
    .sgpr_count:     42
    .sgpr_spill_count: 0
    .symbol:         _ZL29rocblas_internal_gemmt_kernelIlLi16ELi32ELi8ELc84ELc78ELc76ELb0ELb0EdPKdS1_PdEviT_T9_T10_S3_lS5_S3_lS4_T11_S3_li.kd
    .uniform_work_group_size: 1
    .uses_dynamic_stack: false
    .vgpr_count:     54
    .vgpr_spill_count: 0
    .wavefront_size: 64
  - .agpr_count:     0
    .args:
      - .offset:         0
        .size:           4
        .value_kind:     by_value
      - .offset:         8
        .size:           8
        .value_kind:     by_value
      - .address_space:  global
        .offset:         16
        .size:           8
        .value_kind:     global_buffer
      - .address_space:  global
        .offset:         24
        .size:           8
        .value_kind:     global_buffer
      - .offset:         32
        .size:           8
        .value_kind:     by_value
      - .offset:         40
        .size:           8
        .value_kind:     by_value
      - .address_space:  global
        .offset:         48
        .size:           8
        .value_kind:     global_buffer
      - .offset:         56
        .size:           8
        .value_kind:     by_value
      - .offset:         64
        .size:           8
        .value_kind:     by_value
      - .address_space:  global
        .offset:         72
        .size:           8
        .value_kind:     global_buffer
      - .address_space:  global
        .offset:         80
        .size:           8
        .value_kind:     global_buffer
      - .offset:         88
        .size:           8
        .value_kind:     by_value
      - .offset:         96
        .size:           8
        .value_kind:     by_value
      - .offset:         104
        .size:           4
        .value_kind:     by_value
    .group_segment_fixed_size: 4096
    .kernarg_segment_align: 8
    .kernarg_segment_size: 108
    .language:       OpenCL C
    .language_version:
      - 2
      - 0
    .max_flat_workgroup_size: 256
    .name:           _ZL29rocblas_internal_gemmt_kernelIlLi16ELi32ELi8ELc84ELc84ELc76ELb0ELb0EdPKdS1_PdEviT_T9_T10_S3_lS5_S3_lS4_T11_S3_li
    .private_segment_fixed_size: 0
    .sgpr_count:     42
    .sgpr_spill_count: 0
    .symbol:         _ZL29rocblas_internal_gemmt_kernelIlLi16ELi32ELi8ELc84ELc84ELc76ELb0ELb0EdPKdS1_PdEviT_T9_T10_S3_lS5_S3_lS4_T11_S3_li.kd
    .uniform_work_group_size: 1
    .uses_dynamic_stack: false
    .vgpr_count:     54
    .vgpr_spill_count: 0
    .wavefront_size: 64
  - .agpr_count:     0
    .args:
      - .offset:         0
        .size:           4
        .value_kind:     by_value
      - .offset:         8
        .size:           8
        .value_kind:     by_value
      - .address_space:  global
        .offset:         16
        .size:           8
        .value_kind:     global_buffer
      - .address_space:  global
        .offset:         24
        .size:           8
        .value_kind:     global_buffer
      - .offset:         32
        .size:           8
        .value_kind:     by_value
      - .offset:         40
        .size:           8
        .value_kind:     by_value
      - .address_space:  global
        .offset:         48
        .size:           8
        .value_kind:     global_buffer
      - .offset:         56
        .size:           8
        .value_kind:     by_value
      - .offset:         64
        .size:           8
        .value_kind:     by_value
      - .address_space:  global
        .offset:         72
        .size:           8
        .value_kind:     global_buffer
      - .address_space:  global
        .offset:         80
        .size:           8
        .value_kind:     global_buffer
      - .offset:         88
        .size:           8
        .value_kind:     by_value
      - .offset:         96
        .size:           8
        .value_kind:     by_value
      - .offset:         104
        .size:           4
        .value_kind:     by_value
    .group_segment_fixed_size: 4096
    .kernarg_segment_align: 8
    .kernarg_segment_size: 108
    .language:       OpenCL C
    .language_version:
      - 2
      - 0
    .max_flat_workgroup_size: 256
    .name:           _ZL29rocblas_internal_gemmt_kernelIlLi16ELi32ELi8ELc84ELc67ELc76ELb0ELb0EdPKdS1_PdEviT_T9_T10_S3_lS5_S3_lS4_T11_S3_li
    .private_segment_fixed_size: 0
    .sgpr_count:     42
    .sgpr_spill_count: 0
    .symbol:         _ZL29rocblas_internal_gemmt_kernelIlLi16ELi32ELi8ELc84ELc67ELc76ELb0ELb0EdPKdS1_PdEviT_T9_T10_S3_lS5_S3_lS4_T11_S3_li.kd
    .uniform_work_group_size: 1
    .uses_dynamic_stack: false
    .vgpr_count:     54
    .vgpr_spill_count: 0
    .wavefront_size: 64
  - .agpr_count:     0
    .args:
      - .offset:         0
        .size:           4
        .value_kind:     by_value
      - .offset:         8
        .size:           8
        .value_kind:     by_value
      - .address_space:  global
        .offset:         16
        .size:           8
        .value_kind:     global_buffer
      - .address_space:  global
        .offset:         24
        .size:           8
        .value_kind:     global_buffer
      - .offset:         32
        .size:           8
        .value_kind:     by_value
      - .offset:         40
        .size:           8
        .value_kind:     by_value
      - .address_space:  global
        .offset:         48
        .size:           8
        .value_kind:     global_buffer
      - .offset:         56
        .size:           8
        .value_kind:     by_value
      - .offset:         64
        .size:           8
        .value_kind:     by_value
      - .address_space:  global
        .offset:         72
        .size:           8
        .value_kind:     global_buffer
      - .address_space:  global
        .offset:         80
        .size:           8
        .value_kind:     global_buffer
      - .offset:         88
        .size:           8
        .value_kind:     by_value
      - .offset:         96
        .size:           8
        .value_kind:     by_value
      - .offset:         104
        .size:           4
        .value_kind:     by_value
    .group_segment_fixed_size: 4096
    .kernarg_segment_align: 8
    .kernarg_segment_size: 108
    .language:       OpenCL C
    .language_version:
      - 2
      - 0
    .max_flat_workgroup_size: 256
    .name:           _ZL29rocblas_internal_gemmt_kernelIlLi16ELi32ELi8ELc67ELc78ELc76ELb0ELb0EdPKdS1_PdEviT_T9_T10_S3_lS5_S3_lS4_T11_S3_li
    .private_segment_fixed_size: 0
    .sgpr_count:     42
    .sgpr_spill_count: 0
    .symbol:         _ZL29rocblas_internal_gemmt_kernelIlLi16ELi32ELi8ELc67ELc78ELc76ELb0ELb0EdPKdS1_PdEviT_T9_T10_S3_lS5_S3_lS4_T11_S3_li.kd
    .uniform_work_group_size: 1
    .uses_dynamic_stack: false
    .vgpr_count:     54
    .vgpr_spill_count: 0
    .wavefront_size: 64
  - .agpr_count:     0
    .args:
      - .offset:         0
        .size:           4
        .value_kind:     by_value
      - .offset:         8
        .size:           8
        .value_kind:     by_value
      - .address_space:  global
        .offset:         16
        .size:           8
        .value_kind:     global_buffer
      - .address_space:  global
        .offset:         24
        .size:           8
        .value_kind:     global_buffer
      - .offset:         32
        .size:           8
        .value_kind:     by_value
      - .offset:         40
        .size:           8
        .value_kind:     by_value
      - .address_space:  global
        .offset:         48
        .size:           8
        .value_kind:     global_buffer
      - .offset:         56
        .size:           8
        .value_kind:     by_value
      - .offset:         64
        .size:           8
        .value_kind:     by_value
      - .address_space:  global
        .offset:         72
        .size:           8
        .value_kind:     global_buffer
      - .address_space:  global
        .offset:         80
        .size:           8
        .value_kind:     global_buffer
      - .offset:         88
        .size:           8
        .value_kind:     by_value
      - .offset:         96
        .size:           8
        .value_kind:     by_value
      - .offset:         104
        .size:           4
        .value_kind:     by_value
    .group_segment_fixed_size: 4096
    .kernarg_segment_align: 8
    .kernarg_segment_size: 108
    .language:       OpenCL C
    .language_version:
      - 2
      - 0
    .max_flat_workgroup_size: 256
    .name:           _ZL29rocblas_internal_gemmt_kernelIlLi16ELi32ELi8ELc67ELc84ELc76ELb0ELb0EdPKdS1_PdEviT_T9_T10_S3_lS5_S3_lS4_T11_S3_li
    .private_segment_fixed_size: 0
    .sgpr_count:     42
    .sgpr_spill_count: 0
    .symbol:         _ZL29rocblas_internal_gemmt_kernelIlLi16ELi32ELi8ELc67ELc84ELc76ELb0ELb0EdPKdS1_PdEviT_T9_T10_S3_lS5_S3_lS4_T11_S3_li.kd
    .uniform_work_group_size: 1
    .uses_dynamic_stack: false
    .vgpr_count:     54
    .vgpr_spill_count: 0
    .wavefront_size: 64
  - .agpr_count:     0
    .args:
      - .offset:         0
        .size:           4
        .value_kind:     by_value
      - .offset:         8
        .size:           8
        .value_kind:     by_value
      - .address_space:  global
        .offset:         16
        .size:           8
        .value_kind:     global_buffer
      - .address_space:  global
        .offset:         24
        .size:           8
        .value_kind:     global_buffer
      - .offset:         32
        .size:           8
        .value_kind:     by_value
      - .offset:         40
        .size:           8
        .value_kind:     by_value
      - .address_space:  global
        .offset:         48
        .size:           8
        .value_kind:     global_buffer
      - .offset:         56
        .size:           8
        .value_kind:     by_value
      - .offset:         64
        .size:           8
        .value_kind:     by_value
      - .address_space:  global
        .offset:         72
        .size:           8
        .value_kind:     global_buffer
      - .address_space:  global
        .offset:         80
        .size:           8
        .value_kind:     global_buffer
      - .offset:         88
        .size:           8
        .value_kind:     by_value
      - .offset:         96
        .size:           8
        .value_kind:     by_value
      - .offset:         104
        .size:           4
        .value_kind:     by_value
    .group_segment_fixed_size: 4096
    .kernarg_segment_align: 8
    .kernarg_segment_size: 108
    .language:       OpenCL C
    .language_version:
      - 2
      - 0
    .max_flat_workgroup_size: 256
    .name:           _ZL29rocblas_internal_gemmt_kernelIlLi16ELi32ELi8ELc67ELc67ELc76ELb0ELb0EdPKdS1_PdEviT_T9_T10_S3_lS5_S3_lS4_T11_S3_li
    .private_segment_fixed_size: 0
    .sgpr_count:     42
    .sgpr_spill_count: 0
    .symbol:         _ZL29rocblas_internal_gemmt_kernelIlLi16ELi32ELi8ELc67ELc67ELc76ELb0ELb0EdPKdS1_PdEviT_T9_T10_S3_lS5_S3_lS4_T11_S3_li.kd
    .uniform_work_group_size: 1
    .uses_dynamic_stack: false
    .vgpr_count:     54
    .vgpr_spill_count: 0
    .wavefront_size: 64
  - .agpr_count:     0
    .args:
      - .offset:         0
        .size:           4
        .value_kind:     by_value
      - .offset:         8
        .size:           8
        .value_kind:     by_value
      - .offset:         16
        .size:           8
        .value_kind:     by_value
      - .address_space:  global
        .offset:         24
        .size:           8
        .value_kind:     global_buffer
      - .offset:         32
        .size:           8
        .value_kind:     by_value
      - .offset:         40
        .size:           8
        .value_kind:     by_value
      - .address_space:  global
        .offset:         48
        .size:           8
        .value_kind:     global_buffer
      - .offset:         56
        .size:           8
        .value_kind:     by_value
      - .offset:         64
        .size:           8
        .value_kind:     by_value
      - .offset:         72
        .size:           8
        .value_kind:     by_value
      - .address_space:  global
        .offset:         80
        .size:           8
        .value_kind:     global_buffer
      - .offset:         88
        .size:           8
        .value_kind:     by_value
      - .offset:         96
        .size:           8
        .value_kind:     by_value
      - .offset:         104
        .size:           4
        .value_kind:     by_value
    .group_segment_fixed_size: 4096
    .kernarg_segment_align: 8
    .kernarg_segment_size: 108
    .language:       OpenCL C
    .language_version:
      - 2
      - 0
    .max_flat_workgroup_size: 256
    .name:           _ZL29rocblas_internal_gemmt_kernelIlLi16ELi32ELi8ELc78ELc78ELc85ELb0ELb0EddPKdPdEviT_T9_T10_S3_lS5_S3_lS4_T11_S3_li
    .private_segment_fixed_size: 0
    .sgpr_count:     42
    .sgpr_spill_count: 0
    .symbol:         _ZL29rocblas_internal_gemmt_kernelIlLi16ELi32ELi8ELc78ELc78ELc85ELb0ELb0EddPKdPdEviT_T9_T10_S3_lS5_S3_lS4_T11_S3_li.kd
    .uniform_work_group_size: 1
    .uses_dynamic_stack: false
    .vgpr_count:     54
    .vgpr_spill_count: 0
    .wavefront_size: 64
  - .agpr_count:     0
    .args:
      - .offset:         0
        .size:           4
        .value_kind:     by_value
      - .offset:         8
        .size:           8
        .value_kind:     by_value
      - .offset:         16
        .size:           8
        .value_kind:     by_value
      - .address_space:  global
        .offset:         24
        .size:           8
        .value_kind:     global_buffer
      - .offset:         32
        .size:           8
        .value_kind:     by_value
      - .offset:         40
        .size:           8
        .value_kind:     by_value
      - .address_space:  global
        .offset:         48
        .size:           8
        .value_kind:     global_buffer
      - .offset:         56
        .size:           8
        .value_kind:     by_value
      - .offset:         64
        .size:           8
        .value_kind:     by_value
      - .offset:         72
        .size:           8
        .value_kind:     by_value
      - .address_space:  global
        .offset:         80
        .size:           8
        .value_kind:     global_buffer
      - .offset:         88
        .size:           8
        .value_kind:     by_value
      - .offset:         96
        .size:           8
        .value_kind:     by_value
      - .offset:         104
        .size:           4
        .value_kind:     by_value
    .group_segment_fixed_size: 4096
    .kernarg_segment_align: 8
    .kernarg_segment_size: 108
    .language:       OpenCL C
    .language_version:
      - 2
      - 0
    .max_flat_workgroup_size: 256
    .name:           _ZL29rocblas_internal_gemmt_kernelIlLi16ELi32ELi8ELc78ELc84ELc85ELb0ELb0EddPKdPdEviT_T9_T10_S3_lS5_S3_lS4_T11_S3_li
    .private_segment_fixed_size: 0
    .sgpr_count:     42
    .sgpr_spill_count: 0
    .symbol:         _ZL29rocblas_internal_gemmt_kernelIlLi16ELi32ELi8ELc78ELc84ELc85ELb0ELb0EddPKdPdEviT_T9_T10_S3_lS5_S3_lS4_T11_S3_li.kd
    .uniform_work_group_size: 1
    .uses_dynamic_stack: false
    .vgpr_count:     54
    .vgpr_spill_count: 0
    .wavefront_size: 64
  - .agpr_count:     0
    .args:
      - .offset:         0
        .size:           4
        .value_kind:     by_value
      - .offset:         8
        .size:           8
        .value_kind:     by_value
      - .offset:         16
        .size:           8
        .value_kind:     by_value
      - .address_space:  global
        .offset:         24
        .size:           8
        .value_kind:     global_buffer
      - .offset:         32
        .size:           8
        .value_kind:     by_value
      - .offset:         40
        .size:           8
        .value_kind:     by_value
      - .address_space:  global
        .offset:         48
        .size:           8
        .value_kind:     global_buffer
      - .offset:         56
        .size:           8
        .value_kind:     by_value
      - .offset:         64
        .size:           8
        .value_kind:     by_value
      - .offset:         72
        .size:           8
        .value_kind:     by_value
      - .address_space:  global
        .offset:         80
        .size:           8
        .value_kind:     global_buffer
      - .offset:         88
        .size:           8
        .value_kind:     by_value
      - .offset:         96
        .size:           8
        .value_kind:     by_value
      - .offset:         104
        .size:           4
        .value_kind:     by_value
    .group_segment_fixed_size: 4096
    .kernarg_segment_align: 8
    .kernarg_segment_size: 108
    .language:       OpenCL C
    .language_version:
      - 2
      - 0
    .max_flat_workgroup_size: 256
    .name:           _ZL29rocblas_internal_gemmt_kernelIlLi16ELi32ELi8ELc78ELc67ELc85ELb0ELb0EddPKdPdEviT_T9_T10_S3_lS5_S3_lS4_T11_S3_li
    .private_segment_fixed_size: 0
    .sgpr_count:     42
    .sgpr_spill_count: 0
    .symbol:         _ZL29rocblas_internal_gemmt_kernelIlLi16ELi32ELi8ELc78ELc67ELc85ELb0ELb0EddPKdPdEviT_T9_T10_S3_lS5_S3_lS4_T11_S3_li.kd
    .uniform_work_group_size: 1
    .uses_dynamic_stack: false
    .vgpr_count:     54
    .vgpr_spill_count: 0
    .wavefront_size: 64
  - .agpr_count:     0
    .args:
      - .offset:         0
        .size:           4
        .value_kind:     by_value
      - .offset:         8
        .size:           8
        .value_kind:     by_value
      - .offset:         16
        .size:           8
        .value_kind:     by_value
      - .address_space:  global
        .offset:         24
        .size:           8
        .value_kind:     global_buffer
      - .offset:         32
        .size:           8
        .value_kind:     by_value
      - .offset:         40
        .size:           8
        .value_kind:     by_value
      - .address_space:  global
        .offset:         48
        .size:           8
        .value_kind:     global_buffer
      - .offset:         56
        .size:           8
        .value_kind:     by_value
      - .offset:         64
        .size:           8
        .value_kind:     by_value
      - .offset:         72
        .size:           8
        .value_kind:     by_value
      - .address_space:  global
        .offset:         80
        .size:           8
        .value_kind:     global_buffer
      - .offset:         88
        .size:           8
        .value_kind:     by_value
      - .offset:         96
        .size:           8
        .value_kind:     by_value
      - .offset:         104
        .size:           4
        .value_kind:     by_value
    .group_segment_fixed_size: 4096
    .kernarg_segment_align: 8
    .kernarg_segment_size: 108
    .language:       OpenCL C
    .language_version:
      - 2
      - 0
    .max_flat_workgroup_size: 256
    .name:           _ZL29rocblas_internal_gemmt_kernelIlLi16ELi32ELi8ELc84ELc78ELc85ELb0ELb0EddPKdPdEviT_T9_T10_S3_lS5_S3_lS4_T11_S3_li
    .private_segment_fixed_size: 0
    .sgpr_count:     42
    .sgpr_spill_count: 0
    .symbol:         _ZL29rocblas_internal_gemmt_kernelIlLi16ELi32ELi8ELc84ELc78ELc85ELb0ELb0EddPKdPdEviT_T9_T10_S3_lS5_S3_lS4_T11_S3_li.kd
    .uniform_work_group_size: 1
    .uses_dynamic_stack: false
    .vgpr_count:     54
    .vgpr_spill_count: 0
    .wavefront_size: 64
  - .agpr_count:     0
    .args:
      - .offset:         0
        .size:           4
        .value_kind:     by_value
      - .offset:         8
        .size:           8
        .value_kind:     by_value
      - .offset:         16
        .size:           8
        .value_kind:     by_value
      - .address_space:  global
        .offset:         24
        .size:           8
        .value_kind:     global_buffer
      - .offset:         32
        .size:           8
        .value_kind:     by_value
      - .offset:         40
        .size:           8
        .value_kind:     by_value
      - .address_space:  global
        .offset:         48
        .size:           8
        .value_kind:     global_buffer
      - .offset:         56
        .size:           8
        .value_kind:     by_value
      - .offset:         64
        .size:           8
        .value_kind:     by_value
      - .offset:         72
        .size:           8
        .value_kind:     by_value
      - .address_space:  global
        .offset:         80
        .size:           8
        .value_kind:     global_buffer
      - .offset:         88
        .size:           8
        .value_kind:     by_value
      - .offset:         96
        .size:           8
        .value_kind:     by_value
      - .offset:         104
        .size:           4
        .value_kind:     by_value
    .group_segment_fixed_size: 4096
    .kernarg_segment_align: 8
    .kernarg_segment_size: 108
    .language:       OpenCL C
    .language_version:
      - 2
      - 0
    .max_flat_workgroup_size: 256
    .name:           _ZL29rocblas_internal_gemmt_kernelIlLi16ELi32ELi8ELc84ELc84ELc85ELb0ELb0EddPKdPdEviT_T9_T10_S3_lS5_S3_lS4_T11_S3_li
    .private_segment_fixed_size: 0
    .sgpr_count:     42
    .sgpr_spill_count: 0
    .symbol:         _ZL29rocblas_internal_gemmt_kernelIlLi16ELi32ELi8ELc84ELc84ELc85ELb0ELb0EddPKdPdEviT_T9_T10_S3_lS5_S3_lS4_T11_S3_li.kd
    .uniform_work_group_size: 1
    .uses_dynamic_stack: false
    .vgpr_count:     54
    .vgpr_spill_count: 0
    .wavefront_size: 64
  - .agpr_count:     0
    .args:
      - .offset:         0
        .size:           4
        .value_kind:     by_value
      - .offset:         8
        .size:           8
        .value_kind:     by_value
      - .offset:         16
        .size:           8
        .value_kind:     by_value
      - .address_space:  global
        .offset:         24
        .size:           8
        .value_kind:     global_buffer
      - .offset:         32
        .size:           8
        .value_kind:     by_value
      - .offset:         40
        .size:           8
        .value_kind:     by_value
      - .address_space:  global
        .offset:         48
        .size:           8
        .value_kind:     global_buffer
      - .offset:         56
        .size:           8
        .value_kind:     by_value
      - .offset:         64
        .size:           8
        .value_kind:     by_value
      - .offset:         72
        .size:           8
        .value_kind:     by_value
      - .address_space:  global
        .offset:         80
        .size:           8
        .value_kind:     global_buffer
      - .offset:         88
        .size:           8
        .value_kind:     by_value
      - .offset:         96
        .size:           8
        .value_kind:     by_value
      - .offset:         104
        .size:           4
        .value_kind:     by_value
    .group_segment_fixed_size: 4096
    .kernarg_segment_align: 8
    .kernarg_segment_size: 108
    .language:       OpenCL C
    .language_version:
      - 2
      - 0
    .max_flat_workgroup_size: 256
    .name:           _ZL29rocblas_internal_gemmt_kernelIlLi16ELi32ELi8ELc84ELc67ELc85ELb0ELb0EddPKdPdEviT_T9_T10_S3_lS5_S3_lS4_T11_S3_li
    .private_segment_fixed_size: 0
    .sgpr_count:     42
    .sgpr_spill_count: 0
    .symbol:         _ZL29rocblas_internal_gemmt_kernelIlLi16ELi32ELi8ELc84ELc67ELc85ELb0ELb0EddPKdPdEviT_T9_T10_S3_lS5_S3_lS4_T11_S3_li.kd
    .uniform_work_group_size: 1
    .uses_dynamic_stack: false
    .vgpr_count:     54
    .vgpr_spill_count: 0
    .wavefront_size: 64
  - .agpr_count:     0
    .args:
      - .offset:         0
        .size:           4
        .value_kind:     by_value
      - .offset:         8
        .size:           8
        .value_kind:     by_value
      - .offset:         16
        .size:           8
        .value_kind:     by_value
      - .address_space:  global
        .offset:         24
        .size:           8
        .value_kind:     global_buffer
      - .offset:         32
        .size:           8
        .value_kind:     by_value
      - .offset:         40
        .size:           8
        .value_kind:     by_value
      - .address_space:  global
        .offset:         48
        .size:           8
        .value_kind:     global_buffer
      - .offset:         56
        .size:           8
        .value_kind:     by_value
      - .offset:         64
        .size:           8
        .value_kind:     by_value
      - .offset:         72
        .size:           8
        .value_kind:     by_value
      - .address_space:  global
        .offset:         80
        .size:           8
        .value_kind:     global_buffer
      - .offset:         88
        .size:           8
        .value_kind:     by_value
      - .offset:         96
        .size:           8
        .value_kind:     by_value
      - .offset:         104
        .size:           4
        .value_kind:     by_value
    .group_segment_fixed_size: 4096
    .kernarg_segment_align: 8
    .kernarg_segment_size: 108
    .language:       OpenCL C
    .language_version:
      - 2
      - 0
    .max_flat_workgroup_size: 256
    .name:           _ZL29rocblas_internal_gemmt_kernelIlLi16ELi32ELi8ELc67ELc78ELc85ELb0ELb0EddPKdPdEviT_T9_T10_S3_lS5_S3_lS4_T11_S3_li
    .private_segment_fixed_size: 0
    .sgpr_count:     42
    .sgpr_spill_count: 0
    .symbol:         _ZL29rocblas_internal_gemmt_kernelIlLi16ELi32ELi8ELc67ELc78ELc85ELb0ELb0EddPKdPdEviT_T9_T10_S3_lS5_S3_lS4_T11_S3_li.kd
    .uniform_work_group_size: 1
    .uses_dynamic_stack: false
    .vgpr_count:     54
    .vgpr_spill_count: 0
    .wavefront_size: 64
  - .agpr_count:     0
    .args:
      - .offset:         0
        .size:           4
        .value_kind:     by_value
      - .offset:         8
        .size:           8
        .value_kind:     by_value
      - .offset:         16
        .size:           8
        .value_kind:     by_value
      - .address_space:  global
        .offset:         24
        .size:           8
        .value_kind:     global_buffer
      - .offset:         32
        .size:           8
        .value_kind:     by_value
      - .offset:         40
        .size:           8
        .value_kind:     by_value
      - .address_space:  global
        .offset:         48
        .size:           8
        .value_kind:     global_buffer
      - .offset:         56
        .size:           8
        .value_kind:     by_value
      - .offset:         64
        .size:           8
        .value_kind:     by_value
      - .offset:         72
        .size:           8
        .value_kind:     by_value
      - .address_space:  global
        .offset:         80
        .size:           8
        .value_kind:     global_buffer
      - .offset:         88
        .size:           8
        .value_kind:     by_value
      - .offset:         96
        .size:           8
        .value_kind:     by_value
      - .offset:         104
        .size:           4
        .value_kind:     by_value
    .group_segment_fixed_size: 4096
    .kernarg_segment_align: 8
    .kernarg_segment_size: 108
    .language:       OpenCL C
    .language_version:
      - 2
      - 0
    .max_flat_workgroup_size: 256
    .name:           _ZL29rocblas_internal_gemmt_kernelIlLi16ELi32ELi8ELc67ELc84ELc85ELb0ELb0EddPKdPdEviT_T9_T10_S3_lS5_S3_lS4_T11_S3_li
    .private_segment_fixed_size: 0
    .sgpr_count:     42
    .sgpr_spill_count: 0
    .symbol:         _ZL29rocblas_internal_gemmt_kernelIlLi16ELi32ELi8ELc67ELc84ELc85ELb0ELb0EddPKdPdEviT_T9_T10_S3_lS5_S3_lS4_T11_S3_li.kd
    .uniform_work_group_size: 1
    .uses_dynamic_stack: false
    .vgpr_count:     54
    .vgpr_spill_count: 0
    .wavefront_size: 64
  - .agpr_count:     0
    .args:
      - .offset:         0
        .size:           4
        .value_kind:     by_value
      - .offset:         8
        .size:           8
        .value_kind:     by_value
      - .offset:         16
        .size:           8
        .value_kind:     by_value
      - .address_space:  global
        .offset:         24
        .size:           8
        .value_kind:     global_buffer
      - .offset:         32
        .size:           8
        .value_kind:     by_value
      - .offset:         40
        .size:           8
        .value_kind:     by_value
      - .address_space:  global
        .offset:         48
        .size:           8
        .value_kind:     global_buffer
      - .offset:         56
        .size:           8
        .value_kind:     by_value
      - .offset:         64
        .size:           8
        .value_kind:     by_value
      - .offset:         72
        .size:           8
        .value_kind:     by_value
      - .address_space:  global
        .offset:         80
        .size:           8
        .value_kind:     global_buffer
      - .offset:         88
        .size:           8
        .value_kind:     by_value
      - .offset:         96
        .size:           8
        .value_kind:     by_value
      - .offset:         104
        .size:           4
        .value_kind:     by_value
    .group_segment_fixed_size: 4096
    .kernarg_segment_align: 8
    .kernarg_segment_size: 108
    .language:       OpenCL C
    .language_version:
      - 2
      - 0
    .max_flat_workgroup_size: 256
    .name:           _ZL29rocblas_internal_gemmt_kernelIlLi16ELi32ELi8ELc67ELc67ELc85ELb0ELb0EddPKdPdEviT_T9_T10_S3_lS5_S3_lS4_T11_S3_li
    .private_segment_fixed_size: 0
    .sgpr_count:     42
    .sgpr_spill_count: 0
    .symbol:         _ZL29rocblas_internal_gemmt_kernelIlLi16ELi32ELi8ELc67ELc67ELc85ELb0ELb0EddPKdPdEviT_T9_T10_S3_lS5_S3_lS4_T11_S3_li.kd
    .uniform_work_group_size: 1
    .uses_dynamic_stack: false
    .vgpr_count:     54
    .vgpr_spill_count: 0
    .wavefront_size: 64
  - .agpr_count:     0
    .args:
      - .offset:         0
        .size:           4
        .value_kind:     by_value
      - .offset:         8
        .size:           8
        .value_kind:     by_value
      - .offset:         16
        .size:           8
        .value_kind:     by_value
      - .address_space:  global
        .offset:         24
        .size:           8
        .value_kind:     global_buffer
      - .offset:         32
        .size:           8
        .value_kind:     by_value
      - .offset:         40
        .size:           8
        .value_kind:     by_value
      - .address_space:  global
        .offset:         48
        .size:           8
        .value_kind:     global_buffer
      - .offset:         56
        .size:           8
        .value_kind:     by_value
      - .offset:         64
        .size:           8
        .value_kind:     by_value
      - .offset:         72
        .size:           8
        .value_kind:     by_value
      - .address_space:  global
        .offset:         80
        .size:           8
        .value_kind:     global_buffer
      - .offset:         88
        .size:           8
        .value_kind:     by_value
      - .offset:         96
        .size:           8
        .value_kind:     by_value
      - .offset:         104
        .size:           4
        .value_kind:     by_value
    .group_segment_fixed_size: 4096
    .kernarg_segment_align: 8
    .kernarg_segment_size: 108
    .language:       OpenCL C
    .language_version:
      - 2
      - 0
    .max_flat_workgroup_size: 256
    .name:           _ZL29rocblas_internal_gemmt_kernelIlLi16ELi32ELi8ELc78ELc78ELc76ELb0ELb0EddPKdPdEviT_T9_T10_S3_lS5_S3_lS4_T11_S3_li
    .private_segment_fixed_size: 0
    .sgpr_count:     42
    .sgpr_spill_count: 0
    .symbol:         _ZL29rocblas_internal_gemmt_kernelIlLi16ELi32ELi8ELc78ELc78ELc76ELb0ELb0EddPKdPdEviT_T9_T10_S3_lS5_S3_lS4_T11_S3_li.kd
    .uniform_work_group_size: 1
    .uses_dynamic_stack: false
    .vgpr_count:     54
    .vgpr_spill_count: 0
    .wavefront_size: 64
  - .agpr_count:     0
    .args:
      - .offset:         0
        .size:           4
        .value_kind:     by_value
      - .offset:         8
        .size:           8
        .value_kind:     by_value
      - .offset:         16
        .size:           8
        .value_kind:     by_value
      - .address_space:  global
        .offset:         24
        .size:           8
        .value_kind:     global_buffer
      - .offset:         32
        .size:           8
        .value_kind:     by_value
      - .offset:         40
        .size:           8
        .value_kind:     by_value
      - .address_space:  global
        .offset:         48
        .size:           8
        .value_kind:     global_buffer
      - .offset:         56
        .size:           8
        .value_kind:     by_value
      - .offset:         64
        .size:           8
        .value_kind:     by_value
      - .offset:         72
        .size:           8
        .value_kind:     by_value
      - .address_space:  global
        .offset:         80
        .size:           8
        .value_kind:     global_buffer
      - .offset:         88
        .size:           8
        .value_kind:     by_value
      - .offset:         96
        .size:           8
        .value_kind:     by_value
      - .offset:         104
        .size:           4
        .value_kind:     by_value
    .group_segment_fixed_size: 4096
    .kernarg_segment_align: 8
    .kernarg_segment_size: 108
    .language:       OpenCL C
    .language_version:
      - 2
      - 0
    .max_flat_workgroup_size: 256
    .name:           _ZL29rocblas_internal_gemmt_kernelIlLi16ELi32ELi8ELc78ELc84ELc76ELb0ELb0EddPKdPdEviT_T9_T10_S3_lS5_S3_lS4_T11_S3_li
    .private_segment_fixed_size: 0
    .sgpr_count:     42
    .sgpr_spill_count: 0
    .symbol:         _ZL29rocblas_internal_gemmt_kernelIlLi16ELi32ELi8ELc78ELc84ELc76ELb0ELb0EddPKdPdEviT_T9_T10_S3_lS5_S3_lS4_T11_S3_li.kd
    .uniform_work_group_size: 1
    .uses_dynamic_stack: false
    .vgpr_count:     54
    .vgpr_spill_count: 0
    .wavefront_size: 64
  - .agpr_count:     0
    .args:
      - .offset:         0
        .size:           4
        .value_kind:     by_value
      - .offset:         8
        .size:           8
        .value_kind:     by_value
      - .offset:         16
        .size:           8
        .value_kind:     by_value
      - .address_space:  global
        .offset:         24
        .size:           8
        .value_kind:     global_buffer
      - .offset:         32
        .size:           8
        .value_kind:     by_value
      - .offset:         40
        .size:           8
        .value_kind:     by_value
      - .address_space:  global
        .offset:         48
        .size:           8
        .value_kind:     global_buffer
      - .offset:         56
        .size:           8
        .value_kind:     by_value
      - .offset:         64
        .size:           8
        .value_kind:     by_value
      - .offset:         72
        .size:           8
        .value_kind:     by_value
      - .address_space:  global
        .offset:         80
        .size:           8
        .value_kind:     global_buffer
      - .offset:         88
        .size:           8
        .value_kind:     by_value
      - .offset:         96
        .size:           8
        .value_kind:     by_value
      - .offset:         104
        .size:           4
        .value_kind:     by_value
    .group_segment_fixed_size: 4096
    .kernarg_segment_align: 8
    .kernarg_segment_size: 108
    .language:       OpenCL C
    .language_version:
      - 2
      - 0
    .max_flat_workgroup_size: 256
    .name:           _ZL29rocblas_internal_gemmt_kernelIlLi16ELi32ELi8ELc78ELc67ELc76ELb0ELb0EddPKdPdEviT_T9_T10_S3_lS5_S3_lS4_T11_S3_li
    .private_segment_fixed_size: 0
    .sgpr_count:     42
    .sgpr_spill_count: 0
    .symbol:         _ZL29rocblas_internal_gemmt_kernelIlLi16ELi32ELi8ELc78ELc67ELc76ELb0ELb0EddPKdPdEviT_T9_T10_S3_lS5_S3_lS4_T11_S3_li.kd
    .uniform_work_group_size: 1
    .uses_dynamic_stack: false
    .vgpr_count:     54
    .vgpr_spill_count: 0
    .wavefront_size: 64
  - .agpr_count:     0
    .args:
      - .offset:         0
        .size:           4
        .value_kind:     by_value
      - .offset:         8
        .size:           8
        .value_kind:     by_value
      - .offset:         16
        .size:           8
        .value_kind:     by_value
      - .address_space:  global
        .offset:         24
        .size:           8
        .value_kind:     global_buffer
      - .offset:         32
        .size:           8
        .value_kind:     by_value
      - .offset:         40
        .size:           8
        .value_kind:     by_value
      - .address_space:  global
        .offset:         48
        .size:           8
        .value_kind:     global_buffer
      - .offset:         56
        .size:           8
        .value_kind:     by_value
      - .offset:         64
        .size:           8
        .value_kind:     by_value
      - .offset:         72
        .size:           8
        .value_kind:     by_value
      - .address_space:  global
        .offset:         80
        .size:           8
        .value_kind:     global_buffer
      - .offset:         88
        .size:           8
        .value_kind:     by_value
      - .offset:         96
        .size:           8
        .value_kind:     by_value
      - .offset:         104
        .size:           4
        .value_kind:     by_value
    .group_segment_fixed_size: 4096
    .kernarg_segment_align: 8
    .kernarg_segment_size: 108
    .language:       OpenCL C
    .language_version:
      - 2
      - 0
    .max_flat_workgroup_size: 256
    .name:           _ZL29rocblas_internal_gemmt_kernelIlLi16ELi32ELi8ELc84ELc78ELc76ELb0ELb0EddPKdPdEviT_T9_T10_S3_lS5_S3_lS4_T11_S3_li
    .private_segment_fixed_size: 0
    .sgpr_count:     42
    .sgpr_spill_count: 0
    .symbol:         _ZL29rocblas_internal_gemmt_kernelIlLi16ELi32ELi8ELc84ELc78ELc76ELb0ELb0EddPKdPdEviT_T9_T10_S3_lS5_S3_lS4_T11_S3_li.kd
    .uniform_work_group_size: 1
    .uses_dynamic_stack: false
    .vgpr_count:     54
    .vgpr_spill_count: 0
    .wavefront_size: 64
  - .agpr_count:     0
    .args:
      - .offset:         0
        .size:           4
        .value_kind:     by_value
      - .offset:         8
        .size:           8
        .value_kind:     by_value
      - .offset:         16
        .size:           8
        .value_kind:     by_value
      - .address_space:  global
        .offset:         24
        .size:           8
        .value_kind:     global_buffer
      - .offset:         32
        .size:           8
        .value_kind:     by_value
      - .offset:         40
        .size:           8
        .value_kind:     by_value
      - .address_space:  global
        .offset:         48
        .size:           8
        .value_kind:     global_buffer
      - .offset:         56
        .size:           8
        .value_kind:     by_value
      - .offset:         64
        .size:           8
        .value_kind:     by_value
      - .offset:         72
        .size:           8
        .value_kind:     by_value
      - .address_space:  global
        .offset:         80
        .size:           8
        .value_kind:     global_buffer
      - .offset:         88
        .size:           8
        .value_kind:     by_value
      - .offset:         96
        .size:           8
        .value_kind:     by_value
      - .offset:         104
        .size:           4
        .value_kind:     by_value
    .group_segment_fixed_size: 4096
    .kernarg_segment_align: 8
    .kernarg_segment_size: 108
    .language:       OpenCL C
    .language_version:
      - 2
      - 0
    .max_flat_workgroup_size: 256
    .name:           _ZL29rocblas_internal_gemmt_kernelIlLi16ELi32ELi8ELc84ELc84ELc76ELb0ELb0EddPKdPdEviT_T9_T10_S3_lS5_S3_lS4_T11_S3_li
    .private_segment_fixed_size: 0
    .sgpr_count:     42
    .sgpr_spill_count: 0
    .symbol:         _ZL29rocblas_internal_gemmt_kernelIlLi16ELi32ELi8ELc84ELc84ELc76ELb0ELb0EddPKdPdEviT_T9_T10_S3_lS5_S3_lS4_T11_S3_li.kd
    .uniform_work_group_size: 1
    .uses_dynamic_stack: false
    .vgpr_count:     54
    .vgpr_spill_count: 0
    .wavefront_size: 64
  - .agpr_count:     0
    .args:
      - .offset:         0
        .size:           4
        .value_kind:     by_value
      - .offset:         8
        .size:           8
        .value_kind:     by_value
      - .offset:         16
        .size:           8
        .value_kind:     by_value
      - .address_space:  global
        .offset:         24
        .size:           8
        .value_kind:     global_buffer
      - .offset:         32
        .size:           8
        .value_kind:     by_value
      - .offset:         40
        .size:           8
        .value_kind:     by_value
      - .address_space:  global
        .offset:         48
        .size:           8
        .value_kind:     global_buffer
      - .offset:         56
        .size:           8
        .value_kind:     by_value
      - .offset:         64
        .size:           8
        .value_kind:     by_value
      - .offset:         72
        .size:           8
        .value_kind:     by_value
      - .address_space:  global
        .offset:         80
        .size:           8
        .value_kind:     global_buffer
      - .offset:         88
        .size:           8
        .value_kind:     by_value
      - .offset:         96
        .size:           8
        .value_kind:     by_value
      - .offset:         104
        .size:           4
        .value_kind:     by_value
    .group_segment_fixed_size: 4096
    .kernarg_segment_align: 8
    .kernarg_segment_size: 108
    .language:       OpenCL C
    .language_version:
      - 2
      - 0
    .max_flat_workgroup_size: 256
    .name:           _ZL29rocblas_internal_gemmt_kernelIlLi16ELi32ELi8ELc84ELc67ELc76ELb0ELb0EddPKdPdEviT_T9_T10_S3_lS5_S3_lS4_T11_S3_li
    .private_segment_fixed_size: 0
    .sgpr_count:     42
    .sgpr_spill_count: 0
    .symbol:         _ZL29rocblas_internal_gemmt_kernelIlLi16ELi32ELi8ELc84ELc67ELc76ELb0ELb0EddPKdPdEviT_T9_T10_S3_lS5_S3_lS4_T11_S3_li.kd
    .uniform_work_group_size: 1
    .uses_dynamic_stack: false
    .vgpr_count:     54
    .vgpr_spill_count: 0
    .wavefront_size: 64
  - .agpr_count:     0
    .args:
      - .offset:         0
        .size:           4
        .value_kind:     by_value
      - .offset:         8
        .size:           8
        .value_kind:     by_value
      - .offset:         16
        .size:           8
        .value_kind:     by_value
      - .address_space:  global
        .offset:         24
        .size:           8
        .value_kind:     global_buffer
      - .offset:         32
        .size:           8
        .value_kind:     by_value
      - .offset:         40
        .size:           8
        .value_kind:     by_value
      - .address_space:  global
        .offset:         48
        .size:           8
        .value_kind:     global_buffer
      - .offset:         56
        .size:           8
        .value_kind:     by_value
      - .offset:         64
        .size:           8
        .value_kind:     by_value
      - .offset:         72
        .size:           8
        .value_kind:     by_value
      - .address_space:  global
        .offset:         80
        .size:           8
        .value_kind:     global_buffer
      - .offset:         88
        .size:           8
        .value_kind:     by_value
      - .offset:         96
        .size:           8
        .value_kind:     by_value
      - .offset:         104
        .size:           4
        .value_kind:     by_value
    .group_segment_fixed_size: 4096
    .kernarg_segment_align: 8
    .kernarg_segment_size: 108
    .language:       OpenCL C
    .language_version:
      - 2
      - 0
    .max_flat_workgroup_size: 256
    .name:           _ZL29rocblas_internal_gemmt_kernelIlLi16ELi32ELi8ELc67ELc78ELc76ELb0ELb0EddPKdPdEviT_T9_T10_S3_lS5_S3_lS4_T11_S3_li
    .private_segment_fixed_size: 0
    .sgpr_count:     42
    .sgpr_spill_count: 0
    .symbol:         _ZL29rocblas_internal_gemmt_kernelIlLi16ELi32ELi8ELc67ELc78ELc76ELb0ELb0EddPKdPdEviT_T9_T10_S3_lS5_S3_lS4_T11_S3_li.kd
    .uniform_work_group_size: 1
    .uses_dynamic_stack: false
    .vgpr_count:     54
    .vgpr_spill_count: 0
    .wavefront_size: 64
  - .agpr_count:     0
    .args:
      - .offset:         0
        .size:           4
        .value_kind:     by_value
      - .offset:         8
        .size:           8
        .value_kind:     by_value
      - .offset:         16
        .size:           8
        .value_kind:     by_value
      - .address_space:  global
        .offset:         24
        .size:           8
        .value_kind:     global_buffer
      - .offset:         32
        .size:           8
        .value_kind:     by_value
      - .offset:         40
        .size:           8
        .value_kind:     by_value
      - .address_space:  global
        .offset:         48
        .size:           8
        .value_kind:     global_buffer
      - .offset:         56
        .size:           8
        .value_kind:     by_value
      - .offset:         64
        .size:           8
        .value_kind:     by_value
      - .offset:         72
        .size:           8
        .value_kind:     by_value
      - .address_space:  global
        .offset:         80
        .size:           8
        .value_kind:     global_buffer
      - .offset:         88
        .size:           8
        .value_kind:     by_value
      - .offset:         96
        .size:           8
        .value_kind:     by_value
      - .offset:         104
        .size:           4
        .value_kind:     by_value
    .group_segment_fixed_size: 4096
    .kernarg_segment_align: 8
    .kernarg_segment_size: 108
    .language:       OpenCL C
    .language_version:
      - 2
      - 0
    .max_flat_workgroup_size: 256
    .name:           _ZL29rocblas_internal_gemmt_kernelIlLi16ELi32ELi8ELc67ELc84ELc76ELb0ELb0EddPKdPdEviT_T9_T10_S3_lS5_S3_lS4_T11_S3_li
    .private_segment_fixed_size: 0
    .sgpr_count:     42
    .sgpr_spill_count: 0
    .symbol:         _ZL29rocblas_internal_gemmt_kernelIlLi16ELi32ELi8ELc67ELc84ELc76ELb0ELb0EddPKdPdEviT_T9_T10_S3_lS5_S3_lS4_T11_S3_li.kd
    .uniform_work_group_size: 1
    .uses_dynamic_stack: false
    .vgpr_count:     54
    .vgpr_spill_count: 0
    .wavefront_size: 64
  - .agpr_count:     0
    .args:
      - .offset:         0
        .size:           4
        .value_kind:     by_value
      - .offset:         8
        .size:           8
        .value_kind:     by_value
      - .offset:         16
        .size:           8
        .value_kind:     by_value
      - .address_space:  global
        .offset:         24
        .size:           8
        .value_kind:     global_buffer
      - .offset:         32
        .size:           8
        .value_kind:     by_value
      - .offset:         40
        .size:           8
        .value_kind:     by_value
      - .address_space:  global
        .offset:         48
        .size:           8
        .value_kind:     global_buffer
      - .offset:         56
        .size:           8
        .value_kind:     by_value
      - .offset:         64
        .size:           8
        .value_kind:     by_value
      - .offset:         72
        .size:           8
        .value_kind:     by_value
      - .address_space:  global
        .offset:         80
        .size:           8
        .value_kind:     global_buffer
      - .offset:         88
        .size:           8
        .value_kind:     by_value
      - .offset:         96
        .size:           8
        .value_kind:     by_value
      - .offset:         104
        .size:           4
        .value_kind:     by_value
    .group_segment_fixed_size: 4096
    .kernarg_segment_align: 8
    .kernarg_segment_size: 108
    .language:       OpenCL C
    .language_version:
      - 2
      - 0
    .max_flat_workgroup_size: 256
    .name:           _ZL29rocblas_internal_gemmt_kernelIlLi16ELi32ELi8ELc67ELc67ELc76ELb0ELb0EddPKdPdEviT_T9_T10_S3_lS5_S3_lS4_T11_S3_li
    .private_segment_fixed_size: 0
    .sgpr_count:     42
    .sgpr_spill_count: 0
    .symbol:         _ZL29rocblas_internal_gemmt_kernelIlLi16ELi32ELi8ELc67ELc67ELc76ELb0ELb0EddPKdPdEviT_T9_T10_S3_lS5_S3_lS4_T11_S3_li.kd
    .uniform_work_group_size: 1
    .uses_dynamic_stack: false
    .vgpr_count:     54
    .vgpr_spill_count: 0
    .wavefront_size: 64
  - .agpr_count:     0
    .args:
      - .offset:         0
        .size:           4
        .value_kind:     by_value
      - .offset:         8
        .size:           8
        .value_kind:     by_value
      - .address_space:  global
        .offset:         16
        .size:           8
        .value_kind:     global_buffer
      - .address_space:  global
        .offset:         24
        .size:           8
        .value_kind:     global_buffer
      - .offset:         32
        .size:           8
        .value_kind:     by_value
      - .offset:         40
        .size:           8
        .value_kind:     by_value
      - .address_space:  global
        .offset:         48
        .size:           8
        .value_kind:     global_buffer
      - .offset:         56
        .size:           8
        .value_kind:     by_value
      - .offset:         64
        .size:           8
        .value_kind:     by_value
      - .address_space:  global
        .offset:         72
        .size:           8
        .value_kind:     global_buffer
      - .address_space:  global
        .offset:         80
        .size:           8
        .value_kind:     global_buffer
      - .offset:         88
        .size:           8
        .value_kind:     by_value
      - .offset:         96
        .size:           8
        .value_kind:     by_value
      - .offset:         104
        .size:           4
        .value_kind:     by_value
    .group_segment_fixed_size: 4096
    .kernarg_segment_align: 8
    .kernarg_segment_size: 108
    .language:       OpenCL C
    .language_version:
      - 2
      - 0
    .max_flat_workgroup_size: 256
    .name:           _ZL29rocblas_internal_gemmt_kernelIlLi16ELi32ELi8ELc78ELc78ELc85ELb0ELb0E19rocblas_complex_numIfEPKS1_S3_PS1_EviT_T9_T10_S5_lS7_S5_lS6_T11_S5_li
    .private_segment_fixed_size: 0
    .sgpr_count:     46
    .sgpr_spill_count: 0
    .symbol:         _ZL29rocblas_internal_gemmt_kernelIlLi16ELi32ELi8ELc78ELc78ELc85ELb0ELb0E19rocblas_complex_numIfEPKS1_S3_PS1_EviT_T9_T10_S5_lS7_S5_lS6_T11_S5_li.kd
    .uniform_work_group_size: 1
    .uses_dynamic_stack: false
    .vgpr_count:     51
    .vgpr_spill_count: 0
    .wavefront_size: 64
  - .agpr_count:     0
    .args:
      - .offset:         0
        .size:           4
        .value_kind:     by_value
      - .offset:         8
        .size:           8
        .value_kind:     by_value
      - .address_space:  global
        .offset:         16
        .size:           8
        .value_kind:     global_buffer
      - .address_space:  global
        .offset:         24
        .size:           8
        .value_kind:     global_buffer
      - .offset:         32
        .size:           8
        .value_kind:     by_value
      - .offset:         40
        .size:           8
        .value_kind:     by_value
      - .address_space:  global
        .offset:         48
        .size:           8
        .value_kind:     global_buffer
      - .offset:         56
        .size:           8
        .value_kind:     by_value
      - .offset:         64
        .size:           8
        .value_kind:     by_value
      - .address_space:  global
        .offset:         72
        .size:           8
        .value_kind:     global_buffer
      - .address_space:  global
        .offset:         80
        .size:           8
        .value_kind:     global_buffer
      - .offset:         88
        .size:           8
        .value_kind:     by_value
      - .offset:         96
        .size:           8
        .value_kind:     by_value
      - .offset:         104
        .size:           4
        .value_kind:     by_value
    .group_segment_fixed_size: 4096
    .kernarg_segment_align: 8
    .kernarg_segment_size: 108
    .language:       OpenCL C
    .language_version:
      - 2
      - 0
    .max_flat_workgroup_size: 256
    .name:           _ZL29rocblas_internal_gemmt_kernelIlLi16ELi32ELi8ELc78ELc84ELc85ELb0ELb0E19rocblas_complex_numIfEPKS1_S3_PS1_EviT_T9_T10_S5_lS7_S5_lS6_T11_S5_li
    .private_segment_fixed_size: 0
    .sgpr_count:     46
    .sgpr_spill_count: 0
    .symbol:         _ZL29rocblas_internal_gemmt_kernelIlLi16ELi32ELi8ELc78ELc84ELc85ELb0ELb0E19rocblas_complex_numIfEPKS1_S3_PS1_EviT_T9_T10_S5_lS7_S5_lS6_T11_S5_li.kd
    .uniform_work_group_size: 1
    .uses_dynamic_stack: false
    .vgpr_count:     51
    .vgpr_spill_count: 0
    .wavefront_size: 64
  - .agpr_count:     0
    .args:
      - .offset:         0
        .size:           4
        .value_kind:     by_value
      - .offset:         8
        .size:           8
        .value_kind:     by_value
      - .address_space:  global
        .offset:         16
        .size:           8
        .value_kind:     global_buffer
      - .address_space:  global
        .offset:         24
        .size:           8
        .value_kind:     global_buffer
      - .offset:         32
        .size:           8
        .value_kind:     by_value
      - .offset:         40
        .size:           8
        .value_kind:     by_value
      - .address_space:  global
        .offset:         48
        .size:           8
        .value_kind:     global_buffer
      - .offset:         56
        .size:           8
        .value_kind:     by_value
      - .offset:         64
        .size:           8
        .value_kind:     by_value
      - .address_space:  global
        .offset:         72
        .size:           8
        .value_kind:     global_buffer
      - .address_space:  global
        .offset:         80
        .size:           8
        .value_kind:     global_buffer
      - .offset:         88
        .size:           8
        .value_kind:     by_value
      - .offset:         96
        .size:           8
        .value_kind:     by_value
      - .offset:         104
        .size:           4
        .value_kind:     by_value
    .group_segment_fixed_size: 4096
    .kernarg_segment_align: 8
    .kernarg_segment_size: 108
    .language:       OpenCL C
    .language_version:
      - 2
      - 0
    .max_flat_workgroup_size: 256
    .name:           _ZL29rocblas_internal_gemmt_kernelIlLi16ELi32ELi8ELc78ELc67ELc85ELb0ELb1E19rocblas_complex_numIfEPKS1_S3_PS1_EviT_T9_T10_S5_lS7_S5_lS6_T11_S5_li
    .private_segment_fixed_size: 0
    .sgpr_count:     46
    .sgpr_spill_count: 0
    .symbol:         _ZL29rocblas_internal_gemmt_kernelIlLi16ELi32ELi8ELc78ELc67ELc85ELb0ELb1E19rocblas_complex_numIfEPKS1_S3_PS1_EviT_T9_T10_S5_lS7_S5_lS6_T11_S5_li.kd
    .uniform_work_group_size: 1
    .uses_dynamic_stack: false
    .vgpr_count:     51
    .vgpr_spill_count: 0
    .wavefront_size: 64
  - .agpr_count:     0
    .args:
      - .offset:         0
        .size:           4
        .value_kind:     by_value
      - .offset:         8
        .size:           8
        .value_kind:     by_value
      - .address_space:  global
        .offset:         16
        .size:           8
        .value_kind:     global_buffer
      - .address_space:  global
        .offset:         24
        .size:           8
        .value_kind:     global_buffer
      - .offset:         32
        .size:           8
        .value_kind:     by_value
      - .offset:         40
        .size:           8
        .value_kind:     by_value
      - .address_space:  global
        .offset:         48
        .size:           8
        .value_kind:     global_buffer
      - .offset:         56
        .size:           8
        .value_kind:     by_value
      - .offset:         64
        .size:           8
        .value_kind:     by_value
      - .address_space:  global
        .offset:         72
        .size:           8
        .value_kind:     global_buffer
      - .address_space:  global
        .offset:         80
        .size:           8
        .value_kind:     global_buffer
      - .offset:         88
        .size:           8
        .value_kind:     by_value
      - .offset:         96
        .size:           8
        .value_kind:     by_value
      - .offset:         104
        .size:           4
        .value_kind:     by_value
    .group_segment_fixed_size: 4096
    .kernarg_segment_align: 8
    .kernarg_segment_size: 108
    .language:       OpenCL C
    .language_version:
      - 2
      - 0
    .max_flat_workgroup_size: 256
    .name:           _ZL29rocblas_internal_gemmt_kernelIlLi16ELi32ELi8ELc84ELc78ELc85ELb0ELb0E19rocblas_complex_numIfEPKS1_S3_PS1_EviT_T9_T10_S5_lS7_S5_lS6_T11_S5_li
    .private_segment_fixed_size: 0
    .sgpr_count:     46
    .sgpr_spill_count: 0
    .symbol:         _ZL29rocblas_internal_gemmt_kernelIlLi16ELi32ELi8ELc84ELc78ELc85ELb0ELb0E19rocblas_complex_numIfEPKS1_S3_PS1_EviT_T9_T10_S5_lS7_S5_lS6_T11_S5_li.kd
    .uniform_work_group_size: 1
    .uses_dynamic_stack: false
    .vgpr_count:     51
    .vgpr_spill_count: 0
    .wavefront_size: 64
  - .agpr_count:     0
    .args:
      - .offset:         0
        .size:           4
        .value_kind:     by_value
      - .offset:         8
        .size:           8
        .value_kind:     by_value
      - .address_space:  global
        .offset:         16
        .size:           8
        .value_kind:     global_buffer
      - .address_space:  global
        .offset:         24
        .size:           8
        .value_kind:     global_buffer
      - .offset:         32
        .size:           8
        .value_kind:     by_value
      - .offset:         40
        .size:           8
        .value_kind:     by_value
      - .address_space:  global
        .offset:         48
        .size:           8
        .value_kind:     global_buffer
      - .offset:         56
        .size:           8
        .value_kind:     by_value
      - .offset:         64
        .size:           8
        .value_kind:     by_value
      - .address_space:  global
        .offset:         72
        .size:           8
        .value_kind:     global_buffer
      - .address_space:  global
        .offset:         80
        .size:           8
        .value_kind:     global_buffer
      - .offset:         88
        .size:           8
        .value_kind:     by_value
      - .offset:         96
        .size:           8
        .value_kind:     by_value
      - .offset:         104
        .size:           4
        .value_kind:     by_value
    .group_segment_fixed_size: 4096
    .kernarg_segment_align: 8
    .kernarg_segment_size: 108
    .language:       OpenCL C
    .language_version:
      - 2
      - 0
    .max_flat_workgroup_size: 256
    .name:           _ZL29rocblas_internal_gemmt_kernelIlLi16ELi32ELi8ELc84ELc84ELc85ELb0ELb0E19rocblas_complex_numIfEPKS1_S3_PS1_EviT_T9_T10_S5_lS7_S5_lS6_T11_S5_li
    .private_segment_fixed_size: 0
    .sgpr_count:     46
    .sgpr_spill_count: 0
    .symbol:         _ZL29rocblas_internal_gemmt_kernelIlLi16ELi32ELi8ELc84ELc84ELc85ELb0ELb0E19rocblas_complex_numIfEPKS1_S3_PS1_EviT_T9_T10_S5_lS7_S5_lS6_T11_S5_li.kd
    .uniform_work_group_size: 1
    .uses_dynamic_stack: false
    .vgpr_count:     51
    .vgpr_spill_count: 0
    .wavefront_size: 64
  - .agpr_count:     0
    .args:
      - .offset:         0
        .size:           4
        .value_kind:     by_value
      - .offset:         8
        .size:           8
        .value_kind:     by_value
      - .address_space:  global
        .offset:         16
        .size:           8
        .value_kind:     global_buffer
      - .address_space:  global
        .offset:         24
        .size:           8
        .value_kind:     global_buffer
      - .offset:         32
        .size:           8
        .value_kind:     by_value
      - .offset:         40
        .size:           8
        .value_kind:     by_value
      - .address_space:  global
        .offset:         48
        .size:           8
        .value_kind:     global_buffer
      - .offset:         56
        .size:           8
        .value_kind:     by_value
      - .offset:         64
        .size:           8
        .value_kind:     by_value
      - .address_space:  global
        .offset:         72
        .size:           8
        .value_kind:     global_buffer
      - .address_space:  global
        .offset:         80
        .size:           8
        .value_kind:     global_buffer
      - .offset:         88
        .size:           8
        .value_kind:     by_value
      - .offset:         96
        .size:           8
        .value_kind:     by_value
      - .offset:         104
        .size:           4
        .value_kind:     by_value
    .group_segment_fixed_size: 4096
    .kernarg_segment_align: 8
    .kernarg_segment_size: 108
    .language:       OpenCL C
    .language_version:
      - 2
      - 0
    .max_flat_workgroup_size: 256
    .name:           _ZL29rocblas_internal_gemmt_kernelIlLi16ELi32ELi8ELc84ELc67ELc85ELb0ELb1E19rocblas_complex_numIfEPKS1_S3_PS1_EviT_T9_T10_S5_lS7_S5_lS6_T11_S5_li
    .private_segment_fixed_size: 0
    .sgpr_count:     46
    .sgpr_spill_count: 0
    .symbol:         _ZL29rocblas_internal_gemmt_kernelIlLi16ELi32ELi8ELc84ELc67ELc85ELb0ELb1E19rocblas_complex_numIfEPKS1_S3_PS1_EviT_T9_T10_S5_lS7_S5_lS6_T11_S5_li.kd
    .uniform_work_group_size: 1
    .uses_dynamic_stack: false
    .vgpr_count:     51
    .vgpr_spill_count: 0
    .wavefront_size: 64
  - .agpr_count:     0
    .args:
      - .offset:         0
        .size:           4
        .value_kind:     by_value
      - .offset:         8
        .size:           8
        .value_kind:     by_value
      - .address_space:  global
        .offset:         16
        .size:           8
        .value_kind:     global_buffer
      - .address_space:  global
        .offset:         24
        .size:           8
        .value_kind:     global_buffer
      - .offset:         32
        .size:           8
        .value_kind:     by_value
      - .offset:         40
        .size:           8
        .value_kind:     by_value
      - .address_space:  global
        .offset:         48
        .size:           8
        .value_kind:     global_buffer
      - .offset:         56
        .size:           8
        .value_kind:     by_value
      - .offset:         64
        .size:           8
        .value_kind:     by_value
      - .address_space:  global
        .offset:         72
        .size:           8
        .value_kind:     global_buffer
      - .address_space:  global
        .offset:         80
        .size:           8
        .value_kind:     global_buffer
      - .offset:         88
        .size:           8
        .value_kind:     by_value
      - .offset:         96
        .size:           8
        .value_kind:     by_value
      - .offset:         104
        .size:           4
        .value_kind:     by_value
    .group_segment_fixed_size: 4096
    .kernarg_segment_align: 8
    .kernarg_segment_size: 108
    .language:       OpenCL C
    .language_version:
      - 2
      - 0
    .max_flat_workgroup_size: 256
    .name:           _ZL29rocblas_internal_gemmt_kernelIlLi16ELi32ELi8ELc67ELc78ELc85ELb1ELb0E19rocblas_complex_numIfEPKS1_S3_PS1_EviT_T9_T10_S5_lS7_S5_lS6_T11_S5_li
    .private_segment_fixed_size: 0
    .sgpr_count:     46
    .sgpr_spill_count: 0
    .symbol:         _ZL29rocblas_internal_gemmt_kernelIlLi16ELi32ELi8ELc67ELc78ELc85ELb1ELb0E19rocblas_complex_numIfEPKS1_S3_PS1_EviT_T9_T10_S5_lS7_S5_lS6_T11_S5_li.kd
    .uniform_work_group_size: 1
    .uses_dynamic_stack: false
    .vgpr_count:     53
    .vgpr_spill_count: 0
    .wavefront_size: 64
  - .agpr_count:     0
    .args:
      - .offset:         0
        .size:           4
        .value_kind:     by_value
      - .offset:         8
        .size:           8
        .value_kind:     by_value
      - .address_space:  global
        .offset:         16
        .size:           8
        .value_kind:     global_buffer
      - .address_space:  global
        .offset:         24
        .size:           8
        .value_kind:     global_buffer
      - .offset:         32
        .size:           8
        .value_kind:     by_value
      - .offset:         40
        .size:           8
        .value_kind:     by_value
      - .address_space:  global
        .offset:         48
        .size:           8
        .value_kind:     global_buffer
      - .offset:         56
        .size:           8
        .value_kind:     by_value
      - .offset:         64
        .size:           8
        .value_kind:     by_value
      - .address_space:  global
        .offset:         72
        .size:           8
        .value_kind:     global_buffer
      - .address_space:  global
        .offset:         80
        .size:           8
        .value_kind:     global_buffer
      - .offset:         88
        .size:           8
        .value_kind:     by_value
      - .offset:         96
        .size:           8
        .value_kind:     by_value
      - .offset:         104
        .size:           4
        .value_kind:     by_value
    .group_segment_fixed_size: 4096
    .kernarg_segment_align: 8
    .kernarg_segment_size: 108
    .language:       OpenCL C
    .language_version:
      - 2
      - 0
    .max_flat_workgroup_size: 256
    .name:           _ZL29rocblas_internal_gemmt_kernelIlLi16ELi32ELi8ELc67ELc84ELc85ELb1ELb0E19rocblas_complex_numIfEPKS1_S3_PS1_EviT_T9_T10_S5_lS7_S5_lS6_T11_S5_li
    .private_segment_fixed_size: 0
    .sgpr_count:     46
    .sgpr_spill_count: 0
    .symbol:         _ZL29rocblas_internal_gemmt_kernelIlLi16ELi32ELi8ELc67ELc84ELc85ELb1ELb0E19rocblas_complex_numIfEPKS1_S3_PS1_EviT_T9_T10_S5_lS7_S5_lS6_T11_S5_li.kd
    .uniform_work_group_size: 1
    .uses_dynamic_stack: false
    .vgpr_count:     53
    .vgpr_spill_count: 0
    .wavefront_size: 64
  - .agpr_count:     0
    .args:
      - .offset:         0
        .size:           4
        .value_kind:     by_value
      - .offset:         8
        .size:           8
        .value_kind:     by_value
      - .address_space:  global
        .offset:         16
        .size:           8
        .value_kind:     global_buffer
      - .address_space:  global
        .offset:         24
        .size:           8
        .value_kind:     global_buffer
      - .offset:         32
        .size:           8
        .value_kind:     by_value
      - .offset:         40
        .size:           8
        .value_kind:     by_value
      - .address_space:  global
        .offset:         48
        .size:           8
        .value_kind:     global_buffer
      - .offset:         56
        .size:           8
        .value_kind:     by_value
      - .offset:         64
        .size:           8
        .value_kind:     by_value
      - .address_space:  global
        .offset:         72
        .size:           8
        .value_kind:     global_buffer
      - .address_space:  global
        .offset:         80
        .size:           8
        .value_kind:     global_buffer
      - .offset:         88
        .size:           8
        .value_kind:     by_value
      - .offset:         96
        .size:           8
        .value_kind:     by_value
      - .offset:         104
        .size:           4
        .value_kind:     by_value
    .group_segment_fixed_size: 4096
    .kernarg_segment_align: 8
    .kernarg_segment_size: 108
    .language:       OpenCL C
    .language_version:
      - 2
      - 0
    .max_flat_workgroup_size: 256
    .name:           _ZL29rocblas_internal_gemmt_kernelIlLi16ELi32ELi8ELc67ELc67ELc85ELb1ELb1E19rocblas_complex_numIfEPKS1_S3_PS1_EviT_T9_T10_S5_lS7_S5_lS6_T11_S5_li
    .private_segment_fixed_size: 0
    .sgpr_count:     46
    .sgpr_spill_count: 0
    .symbol:         _ZL29rocblas_internal_gemmt_kernelIlLi16ELi32ELi8ELc67ELc67ELc85ELb1ELb1E19rocblas_complex_numIfEPKS1_S3_PS1_EviT_T9_T10_S5_lS7_S5_lS6_T11_S5_li.kd
    .uniform_work_group_size: 1
    .uses_dynamic_stack: false
    .vgpr_count:     53
    .vgpr_spill_count: 0
    .wavefront_size: 64
  - .agpr_count:     0
    .args:
      - .offset:         0
        .size:           4
        .value_kind:     by_value
      - .offset:         8
        .size:           8
        .value_kind:     by_value
      - .address_space:  global
        .offset:         16
        .size:           8
        .value_kind:     global_buffer
      - .address_space:  global
        .offset:         24
        .size:           8
        .value_kind:     global_buffer
      - .offset:         32
        .size:           8
        .value_kind:     by_value
      - .offset:         40
        .size:           8
        .value_kind:     by_value
      - .address_space:  global
        .offset:         48
        .size:           8
        .value_kind:     global_buffer
      - .offset:         56
        .size:           8
        .value_kind:     by_value
      - .offset:         64
        .size:           8
        .value_kind:     by_value
      - .address_space:  global
        .offset:         72
        .size:           8
        .value_kind:     global_buffer
      - .address_space:  global
        .offset:         80
        .size:           8
        .value_kind:     global_buffer
      - .offset:         88
        .size:           8
        .value_kind:     by_value
      - .offset:         96
        .size:           8
        .value_kind:     by_value
      - .offset:         104
        .size:           4
        .value_kind:     by_value
    .group_segment_fixed_size: 4096
    .kernarg_segment_align: 8
    .kernarg_segment_size: 108
    .language:       OpenCL C
    .language_version:
      - 2
      - 0
    .max_flat_workgroup_size: 256
    .name:           _ZL29rocblas_internal_gemmt_kernelIlLi16ELi32ELi8ELc78ELc78ELc76ELb0ELb0E19rocblas_complex_numIfEPKS1_S3_PS1_EviT_T9_T10_S5_lS7_S5_lS6_T11_S5_li
    .private_segment_fixed_size: 0
    .sgpr_count:     46
    .sgpr_spill_count: 0
    .symbol:         _ZL29rocblas_internal_gemmt_kernelIlLi16ELi32ELi8ELc78ELc78ELc76ELb0ELb0E19rocblas_complex_numIfEPKS1_S3_PS1_EviT_T9_T10_S5_lS7_S5_lS6_T11_S5_li.kd
    .uniform_work_group_size: 1
    .uses_dynamic_stack: false
    .vgpr_count:     51
    .vgpr_spill_count: 0
    .wavefront_size: 64
  - .agpr_count:     0
    .args:
      - .offset:         0
        .size:           4
        .value_kind:     by_value
      - .offset:         8
        .size:           8
        .value_kind:     by_value
      - .address_space:  global
        .offset:         16
        .size:           8
        .value_kind:     global_buffer
      - .address_space:  global
        .offset:         24
        .size:           8
        .value_kind:     global_buffer
      - .offset:         32
        .size:           8
        .value_kind:     by_value
      - .offset:         40
        .size:           8
        .value_kind:     by_value
      - .address_space:  global
        .offset:         48
        .size:           8
        .value_kind:     global_buffer
      - .offset:         56
        .size:           8
        .value_kind:     by_value
      - .offset:         64
        .size:           8
        .value_kind:     by_value
      - .address_space:  global
        .offset:         72
        .size:           8
        .value_kind:     global_buffer
      - .address_space:  global
        .offset:         80
        .size:           8
        .value_kind:     global_buffer
      - .offset:         88
        .size:           8
        .value_kind:     by_value
      - .offset:         96
        .size:           8
        .value_kind:     by_value
      - .offset:         104
        .size:           4
        .value_kind:     by_value
    .group_segment_fixed_size: 4096
    .kernarg_segment_align: 8
    .kernarg_segment_size: 108
    .language:       OpenCL C
    .language_version:
      - 2
      - 0
    .max_flat_workgroup_size: 256
    .name:           _ZL29rocblas_internal_gemmt_kernelIlLi16ELi32ELi8ELc78ELc84ELc76ELb0ELb0E19rocblas_complex_numIfEPKS1_S3_PS1_EviT_T9_T10_S5_lS7_S5_lS6_T11_S5_li
    .private_segment_fixed_size: 0
    .sgpr_count:     46
    .sgpr_spill_count: 0
    .symbol:         _ZL29rocblas_internal_gemmt_kernelIlLi16ELi32ELi8ELc78ELc84ELc76ELb0ELb0E19rocblas_complex_numIfEPKS1_S3_PS1_EviT_T9_T10_S5_lS7_S5_lS6_T11_S5_li.kd
    .uniform_work_group_size: 1
    .uses_dynamic_stack: false
    .vgpr_count:     51
    .vgpr_spill_count: 0
    .wavefront_size: 64
  - .agpr_count:     0
    .args:
      - .offset:         0
        .size:           4
        .value_kind:     by_value
      - .offset:         8
        .size:           8
        .value_kind:     by_value
      - .address_space:  global
        .offset:         16
        .size:           8
        .value_kind:     global_buffer
      - .address_space:  global
        .offset:         24
        .size:           8
        .value_kind:     global_buffer
      - .offset:         32
        .size:           8
        .value_kind:     by_value
      - .offset:         40
        .size:           8
        .value_kind:     by_value
      - .address_space:  global
        .offset:         48
        .size:           8
        .value_kind:     global_buffer
      - .offset:         56
        .size:           8
        .value_kind:     by_value
      - .offset:         64
        .size:           8
        .value_kind:     by_value
      - .address_space:  global
        .offset:         72
        .size:           8
        .value_kind:     global_buffer
      - .address_space:  global
        .offset:         80
        .size:           8
        .value_kind:     global_buffer
      - .offset:         88
        .size:           8
        .value_kind:     by_value
      - .offset:         96
        .size:           8
        .value_kind:     by_value
      - .offset:         104
        .size:           4
        .value_kind:     by_value
    .group_segment_fixed_size: 4096
    .kernarg_segment_align: 8
    .kernarg_segment_size: 108
    .language:       OpenCL C
    .language_version:
      - 2
      - 0
    .max_flat_workgroup_size: 256
    .name:           _ZL29rocblas_internal_gemmt_kernelIlLi16ELi32ELi8ELc78ELc67ELc76ELb0ELb1E19rocblas_complex_numIfEPKS1_S3_PS1_EviT_T9_T10_S5_lS7_S5_lS6_T11_S5_li
    .private_segment_fixed_size: 0
    .sgpr_count:     46
    .sgpr_spill_count: 0
    .symbol:         _ZL29rocblas_internal_gemmt_kernelIlLi16ELi32ELi8ELc78ELc67ELc76ELb0ELb1E19rocblas_complex_numIfEPKS1_S3_PS1_EviT_T9_T10_S5_lS7_S5_lS6_T11_S5_li.kd
    .uniform_work_group_size: 1
    .uses_dynamic_stack: false
    .vgpr_count:     51
    .vgpr_spill_count: 0
    .wavefront_size: 64
  - .agpr_count:     0
    .args:
      - .offset:         0
        .size:           4
        .value_kind:     by_value
      - .offset:         8
        .size:           8
        .value_kind:     by_value
      - .address_space:  global
        .offset:         16
        .size:           8
        .value_kind:     global_buffer
      - .address_space:  global
        .offset:         24
        .size:           8
        .value_kind:     global_buffer
      - .offset:         32
        .size:           8
        .value_kind:     by_value
      - .offset:         40
        .size:           8
        .value_kind:     by_value
      - .address_space:  global
        .offset:         48
        .size:           8
        .value_kind:     global_buffer
      - .offset:         56
        .size:           8
        .value_kind:     by_value
      - .offset:         64
        .size:           8
        .value_kind:     by_value
      - .address_space:  global
        .offset:         72
        .size:           8
        .value_kind:     global_buffer
      - .address_space:  global
        .offset:         80
        .size:           8
        .value_kind:     global_buffer
      - .offset:         88
        .size:           8
        .value_kind:     by_value
      - .offset:         96
        .size:           8
        .value_kind:     by_value
      - .offset:         104
        .size:           4
        .value_kind:     by_value
    .group_segment_fixed_size: 4096
    .kernarg_segment_align: 8
    .kernarg_segment_size: 108
    .language:       OpenCL C
    .language_version:
      - 2
      - 0
    .max_flat_workgroup_size: 256
    .name:           _ZL29rocblas_internal_gemmt_kernelIlLi16ELi32ELi8ELc84ELc78ELc76ELb0ELb0E19rocblas_complex_numIfEPKS1_S3_PS1_EviT_T9_T10_S5_lS7_S5_lS6_T11_S5_li
    .private_segment_fixed_size: 0
    .sgpr_count:     46
    .sgpr_spill_count: 0
    .symbol:         _ZL29rocblas_internal_gemmt_kernelIlLi16ELi32ELi8ELc84ELc78ELc76ELb0ELb0E19rocblas_complex_numIfEPKS1_S3_PS1_EviT_T9_T10_S5_lS7_S5_lS6_T11_S5_li.kd
    .uniform_work_group_size: 1
    .uses_dynamic_stack: false
    .vgpr_count:     51
    .vgpr_spill_count: 0
    .wavefront_size: 64
  - .agpr_count:     0
    .args:
      - .offset:         0
        .size:           4
        .value_kind:     by_value
      - .offset:         8
        .size:           8
        .value_kind:     by_value
      - .address_space:  global
        .offset:         16
        .size:           8
        .value_kind:     global_buffer
      - .address_space:  global
        .offset:         24
        .size:           8
        .value_kind:     global_buffer
      - .offset:         32
        .size:           8
        .value_kind:     by_value
      - .offset:         40
        .size:           8
        .value_kind:     by_value
      - .address_space:  global
        .offset:         48
        .size:           8
        .value_kind:     global_buffer
      - .offset:         56
        .size:           8
        .value_kind:     by_value
      - .offset:         64
        .size:           8
        .value_kind:     by_value
      - .address_space:  global
        .offset:         72
        .size:           8
        .value_kind:     global_buffer
      - .address_space:  global
        .offset:         80
        .size:           8
        .value_kind:     global_buffer
      - .offset:         88
        .size:           8
        .value_kind:     by_value
      - .offset:         96
        .size:           8
        .value_kind:     by_value
      - .offset:         104
        .size:           4
        .value_kind:     by_value
    .group_segment_fixed_size: 4096
    .kernarg_segment_align: 8
    .kernarg_segment_size: 108
    .language:       OpenCL C
    .language_version:
      - 2
      - 0
    .max_flat_workgroup_size: 256
    .name:           _ZL29rocblas_internal_gemmt_kernelIlLi16ELi32ELi8ELc84ELc84ELc76ELb0ELb0E19rocblas_complex_numIfEPKS1_S3_PS1_EviT_T9_T10_S5_lS7_S5_lS6_T11_S5_li
    .private_segment_fixed_size: 0
    .sgpr_count:     46
    .sgpr_spill_count: 0
    .symbol:         _ZL29rocblas_internal_gemmt_kernelIlLi16ELi32ELi8ELc84ELc84ELc76ELb0ELb0E19rocblas_complex_numIfEPKS1_S3_PS1_EviT_T9_T10_S5_lS7_S5_lS6_T11_S5_li.kd
    .uniform_work_group_size: 1
    .uses_dynamic_stack: false
    .vgpr_count:     51
    .vgpr_spill_count: 0
    .wavefront_size: 64
  - .agpr_count:     0
    .args:
      - .offset:         0
        .size:           4
        .value_kind:     by_value
      - .offset:         8
        .size:           8
        .value_kind:     by_value
      - .address_space:  global
        .offset:         16
        .size:           8
        .value_kind:     global_buffer
      - .address_space:  global
        .offset:         24
        .size:           8
        .value_kind:     global_buffer
      - .offset:         32
        .size:           8
        .value_kind:     by_value
      - .offset:         40
        .size:           8
        .value_kind:     by_value
      - .address_space:  global
        .offset:         48
        .size:           8
        .value_kind:     global_buffer
      - .offset:         56
        .size:           8
        .value_kind:     by_value
      - .offset:         64
        .size:           8
        .value_kind:     by_value
      - .address_space:  global
        .offset:         72
        .size:           8
        .value_kind:     global_buffer
      - .address_space:  global
        .offset:         80
        .size:           8
        .value_kind:     global_buffer
      - .offset:         88
        .size:           8
        .value_kind:     by_value
      - .offset:         96
        .size:           8
        .value_kind:     by_value
      - .offset:         104
        .size:           4
        .value_kind:     by_value
    .group_segment_fixed_size: 4096
    .kernarg_segment_align: 8
    .kernarg_segment_size: 108
    .language:       OpenCL C
    .language_version:
      - 2
      - 0
    .max_flat_workgroup_size: 256
    .name:           _ZL29rocblas_internal_gemmt_kernelIlLi16ELi32ELi8ELc84ELc67ELc76ELb0ELb1E19rocblas_complex_numIfEPKS1_S3_PS1_EviT_T9_T10_S5_lS7_S5_lS6_T11_S5_li
    .private_segment_fixed_size: 0
    .sgpr_count:     46
    .sgpr_spill_count: 0
    .symbol:         _ZL29rocblas_internal_gemmt_kernelIlLi16ELi32ELi8ELc84ELc67ELc76ELb0ELb1E19rocblas_complex_numIfEPKS1_S3_PS1_EviT_T9_T10_S5_lS7_S5_lS6_T11_S5_li.kd
    .uniform_work_group_size: 1
    .uses_dynamic_stack: false
    .vgpr_count:     51
    .vgpr_spill_count: 0
    .wavefront_size: 64
  - .agpr_count:     0
    .args:
      - .offset:         0
        .size:           4
        .value_kind:     by_value
      - .offset:         8
        .size:           8
        .value_kind:     by_value
      - .address_space:  global
        .offset:         16
        .size:           8
        .value_kind:     global_buffer
      - .address_space:  global
        .offset:         24
        .size:           8
        .value_kind:     global_buffer
      - .offset:         32
        .size:           8
        .value_kind:     by_value
      - .offset:         40
        .size:           8
        .value_kind:     by_value
      - .address_space:  global
        .offset:         48
        .size:           8
        .value_kind:     global_buffer
      - .offset:         56
        .size:           8
        .value_kind:     by_value
      - .offset:         64
        .size:           8
        .value_kind:     by_value
      - .address_space:  global
        .offset:         72
        .size:           8
        .value_kind:     global_buffer
      - .address_space:  global
        .offset:         80
        .size:           8
        .value_kind:     global_buffer
      - .offset:         88
        .size:           8
        .value_kind:     by_value
      - .offset:         96
        .size:           8
        .value_kind:     by_value
      - .offset:         104
        .size:           4
        .value_kind:     by_value
    .group_segment_fixed_size: 4096
    .kernarg_segment_align: 8
    .kernarg_segment_size: 108
    .language:       OpenCL C
    .language_version:
      - 2
      - 0
    .max_flat_workgroup_size: 256
    .name:           _ZL29rocblas_internal_gemmt_kernelIlLi16ELi32ELi8ELc67ELc78ELc76ELb1ELb0E19rocblas_complex_numIfEPKS1_S3_PS1_EviT_T9_T10_S5_lS7_S5_lS6_T11_S5_li
    .private_segment_fixed_size: 0
    .sgpr_count:     46
    .sgpr_spill_count: 0
    .symbol:         _ZL29rocblas_internal_gemmt_kernelIlLi16ELi32ELi8ELc67ELc78ELc76ELb1ELb0E19rocblas_complex_numIfEPKS1_S3_PS1_EviT_T9_T10_S5_lS7_S5_lS6_T11_S5_li.kd
    .uniform_work_group_size: 1
    .uses_dynamic_stack: false
    .vgpr_count:     53
    .vgpr_spill_count: 0
    .wavefront_size: 64
  - .agpr_count:     0
    .args:
      - .offset:         0
        .size:           4
        .value_kind:     by_value
      - .offset:         8
        .size:           8
        .value_kind:     by_value
      - .address_space:  global
        .offset:         16
        .size:           8
        .value_kind:     global_buffer
      - .address_space:  global
        .offset:         24
        .size:           8
        .value_kind:     global_buffer
      - .offset:         32
        .size:           8
        .value_kind:     by_value
      - .offset:         40
        .size:           8
        .value_kind:     by_value
      - .address_space:  global
        .offset:         48
        .size:           8
        .value_kind:     global_buffer
      - .offset:         56
        .size:           8
        .value_kind:     by_value
      - .offset:         64
        .size:           8
        .value_kind:     by_value
      - .address_space:  global
        .offset:         72
        .size:           8
        .value_kind:     global_buffer
      - .address_space:  global
        .offset:         80
        .size:           8
        .value_kind:     global_buffer
      - .offset:         88
        .size:           8
        .value_kind:     by_value
      - .offset:         96
        .size:           8
        .value_kind:     by_value
      - .offset:         104
        .size:           4
        .value_kind:     by_value
    .group_segment_fixed_size: 4096
    .kernarg_segment_align: 8
    .kernarg_segment_size: 108
    .language:       OpenCL C
    .language_version:
      - 2
      - 0
    .max_flat_workgroup_size: 256
    .name:           _ZL29rocblas_internal_gemmt_kernelIlLi16ELi32ELi8ELc67ELc84ELc76ELb1ELb0E19rocblas_complex_numIfEPKS1_S3_PS1_EviT_T9_T10_S5_lS7_S5_lS6_T11_S5_li
    .private_segment_fixed_size: 0
    .sgpr_count:     46
    .sgpr_spill_count: 0
    .symbol:         _ZL29rocblas_internal_gemmt_kernelIlLi16ELi32ELi8ELc67ELc84ELc76ELb1ELb0E19rocblas_complex_numIfEPKS1_S3_PS1_EviT_T9_T10_S5_lS7_S5_lS6_T11_S5_li.kd
    .uniform_work_group_size: 1
    .uses_dynamic_stack: false
    .vgpr_count:     53
    .vgpr_spill_count: 0
    .wavefront_size: 64
  - .agpr_count:     0
    .args:
      - .offset:         0
        .size:           4
        .value_kind:     by_value
      - .offset:         8
        .size:           8
        .value_kind:     by_value
      - .address_space:  global
        .offset:         16
        .size:           8
        .value_kind:     global_buffer
      - .address_space:  global
        .offset:         24
        .size:           8
        .value_kind:     global_buffer
      - .offset:         32
        .size:           8
        .value_kind:     by_value
      - .offset:         40
        .size:           8
        .value_kind:     by_value
      - .address_space:  global
        .offset:         48
        .size:           8
        .value_kind:     global_buffer
      - .offset:         56
        .size:           8
        .value_kind:     by_value
      - .offset:         64
        .size:           8
        .value_kind:     by_value
      - .address_space:  global
        .offset:         72
        .size:           8
        .value_kind:     global_buffer
      - .address_space:  global
        .offset:         80
        .size:           8
        .value_kind:     global_buffer
      - .offset:         88
        .size:           8
        .value_kind:     by_value
      - .offset:         96
        .size:           8
        .value_kind:     by_value
      - .offset:         104
        .size:           4
        .value_kind:     by_value
    .group_segment_fixed_size: 4096
    .kernarg_segment_align: 8
    .kernarg_segment_size: 108
    .language:       OpenCL C
    .language_version:
      - 2
      - 0
    .max_flat_workgroup_size: 256
    .name:           _ZL29rocblas_internal_gemmt_kernelIlLi16ELi32ELi8ELc67ELc67ELc76ELb1ELb1E19rocblas_complex_numIfEPKS1_S3_PS1_EviT_T9_T10_S5_lS7_S5_lS6_T11_S5_li
    .private_segment_fixed_size: 0
    .sgpr_count:     46
    .sgpr_spill_count: 0
    .symbol:         _ZL29rocblas_internal_gemmt_kernelIlLi16ELi32ELi8ELc67ELc67ELc76ELb1ELb1E19rocblas_complex_numIfEPKS1_S3_PS1_EviT_T9_T10_S5_lS7_S5_lS6_T11_S5_li.kd
    .uniform_work_group_size: 1
    .uses_dynamic_stack: false
    .vgpr_count:     53
    .vgpr_spill_count: 0
    .wavefront_size: 64
  - .agpr_count:     0
    .args:
      - .offset:         0
        .size:           4
        .value_kind:     by_value
      - .offset:         8
        .size:           8
        .value_kind:     by_value
      - .offset:         16
        .size:           8
        .value_kind:     by_value
      - .address_space:  global
        .offset:         24
        .size:           8
        .value_kind:     global_buffer
      - .offset:         32
        .size:           8
        .value_kind:     by_value
      - .offset:         40
        .size:           8
        .value_kind:     by_value
      - .address_space:  global
        .offset:         48
        .size:           8
        .value_kind:     global_buffer
      - .offset:         56
        .size:           8
        .value_kind:     by_value
      - .offset:         64
        .size:           8
        .value_kind:     by_value
      - .offset:         72
        .size:           8
        .value_kind:     by_value
      - .address_space:  global
        .offset:         80
        .size:           8
        .value_kind:     global_buffer
      - .offset:         88
        .size:           8
        .value_kind:     by_value
      - .offset:         96
        .size:           8
        .value_kind:     by_value
      - .offset:         104
        .size:           4
        .value_kind:     by_value
    .group_segment_fixed_size: 4096
    .kernarg_segment_align: 8
    .kernarg_segment_size: 108
    .language:       OpenCL C
    .language_version:
      - 2
      - 0
    .max_flat_workgroup_size: 256
    .name:           _ZL29rocblas_internal_gemmt_kernelIlLi16ELi32ELi8ELc78ELc78ELc85ELb0ELb0E19rocblas_complex_numIfES1_PKS1_PS1_EviT_T9_T10_S5_lS7_S5_lS6_T11_S5_li
    .private_segment_fixed_size: 0
    .sgpr_count:     38
    .sgpr_spill_count: 0
    .symbol:         _ZL29rocblas_internal_gemmt_kernelIlLi16ELi32ELi8ELc78ELc78ELc85ELb0ELb0E19rocblas_complex_numIfES1_PKS1_PS1_EviT_T9_T10_S5_lS7_S5_lS6_T11_S5_li.kd
    .uniform_work_group_size: 1
    .uses_dynamic_stack: false
    .vgpr_count:     51
    .vgpr_spill_count: 0
    .wavefront_size: 64
  - .agpr_count:     0
    .args:
      - .offset:         0
        .size:           4
        .value_kind:     by_value
      - .offset:         8
        .size:           8
        .value_kind:     by_value
      - .offset:         16
        .size:           8
        .value_kind:     by_value
      - .address_space:  global
        .offset:         24
        .size:           8
        .value_kind:     global_buffer
      - .offset:         32
        .size:           8
        .value_kind:     by_value
      - .offset:         40
        .size:           8
        .value_kind:     by_value
      - .address_space:  global
        .offset:         48
        .size:           8
        .value_kind:     global_buffer
      - .offset:         56
        .size:           8
        .value_kind:     by_value
      - .offset:         64
        .size:           8
        .value_kind:     by_value
      - .offset:         72
        .size:           8
        .value_kind:     by_value
      - .address_space:  global
        .offset:         80
        .size:           8
        .value_kind:     global_buffer
      - .offset:         88
        .size:           8
        .value_kind:     by_value
      - .offset:         96
        .size:           8
        .value_kind:     by_value
      - .offset:         104
        .size:           4
        .value_kind:     by_value
    .group_segment_fixed_size: 4096
    .kernarg_segment_align: 8
    .kernarg_segment_size: 108
    .language:       OpenCL C
    .language_version:
      - 2
      - 0
    .max_flat_workgroup_size: 256
    .name:           _ZL29rocblas_internal_gemmt_kernelIlLi16ELi32ELi8ELc78ELc84ELc85ELb0ELb0E19rocblas_complex_numIfES1_PKS1_PS1_EviT_T9_T10_S5_lS7_S5_lS6_T11_S5_li
    .private_segment_fixed_size: 0
    .sgpr_count:     36
    .sgpr_spill_count: 0
    .symbol:         _ZL29rocblas_internal_gemmt_kernelIlLi16ELi32ELi8ELc78ELc84ELc85ELb0ELb0E19rocblas_complex_numIfES1_PKS1_PS1_EviT_T9_T10_S5_lS7_S5_lS6_T11_S5_li.kd
    .uniform_work_group_size: 1
    .uses_dynamic_stack: false
    .vgpr_count:     51
    .vgpr_spill_count: 0
    .wavefront_size: 64
  - .agpr_count:     0
    .args:
      - .offset:         0
        .size:           4
        .value_kind:     by_value
      - .offset:         8
        .size:           8
        .value_kind:     by_value
      - .offset:         16
        .size:           8
        .value_kind:     by_value
      - .address_space:  global
        .offset:         24
        .size:           8
        .value_kind:     global_buffer
      - .offset:         32
        .size:           8
        .value_kind:     by_value
      - .offset:         40
        .size:           8
        .value_kind:     by_value
      - .address_space:  global
        .offset:         48
        .size:           8
        .value_kind:     global_buffer
      - .offset:         56
        .size:           8
        .value_kind:     by_value
      - .offset:         64
        .size:           8
        .value_kind:     by_value
      - .offset:         72
        .size:           8
        .value_kind:     by_value
      - .address_space:  global
        .offset:         80
        .size:           8
        .value_kind:     global_buffer
      - .offset:         88
        .size:           8
        .value_kind:     by_value
      - .offset:         96
        .size:           8
        .value_kind:     by_value
      - .offset:         104
        .size:           4
        .value_kind:     by_value
    .group_segment_fixed_size: 4096
    .kernarg_segment_align: 8
    .kernarg_segment_size: 108
    .language:       OpenCL C
    .language_version:
      - 2
      - 0
    .max_flat_workgroup_size: 256
    .name:           _ZL29rocblas_internal_gemmt_kernelIlLi16ELi32ELi8ELc78ELc67ELc85ELb0ELb1E19rocblas_complex_numIfES1_PKS1_PS1_EviT_T9_T10_S5_lS7_S5_lS6_T11_S5_li
    .private_segment_fixed_size: 0
    .sgpr_count:     36
    .sgpr_spill_count: 0
    .symbol:         _ZL29rocblas_internal_gemmt_kernelIlLi16ELi32ELi8ELc78ELc67ELc85ELb0ELb1E19rocblas_complex_numIfES1_PKS1_PS1_EviT_T9_T10_S5_lS7_S5_lS6_T11_S5_li.kd
    .uniform_work_group_size: 1
    .uses_dynamic_stack: false
    .vgpr_count:     51
    .vgpr_spill_count: 0
    .wavefront_size: 64
  - .agpr_count:     0
    .args:
      - .offset:         0
        .size:           4
        .value_kind:     by_value
      - .offset:         8
        .size:           8
        .value_kind:     by_value
      - .offset:         16
        .size:           8
        .value_kind:     by_value
      - .address_space:  global
        .offset:         24
        .size:           8
        .value_kind:     global_buffer
      - .offset:         32
        .size:           8
        .value_kind:     by_value
      - .offset:         40
        .size:           8
        .value_kind:     by_value
      - .address_space:  global
        .offset:         48
        .size:           8
        .value_kind:     global_buffer
      - .offset:         56
        .size:           8
        .value_kind:     by_value
      - .offset:         64
        .size:           8
        .value_kind:     by_value
      - .offset:         72
        .size:           8
        .value_kind:     by_value
      - .address_space:  global
        .offset:         80
        .size:           8
        .value_kind:     global_buffer
      - .offset:         88
        .size:           8
        .value_kind:     by_value
      - .offset:         96
        .size:           8
        .value_kind:     by_value
      - .offset:         104
        .size:           4
        .value_kind:     by_value
    .group_segment_fixed_size: 4096
    .kernarg_segment_align: 8
    .kernarg_segment_size: 108
    .language:       OpenCL C
    .language_version:
      - 2
      - 0
    .max_flat_workgroup_size: 256
    .name:           _ZL29rocblas_internal_gemmt_kernelIlLi16ELi32ELi8ELc84ELc78ELc85ELb0ELb0E19rocblas_complex_numIfES1_PKS1_PS1_EviT_T9_T10_S5_lS7_S5_lS6_T11_S5_li
    .private_segment_fixed_size: 0
    .sgpr_count:     46
    .sgpr_spill_count: 0
    .symbol:         _ZL29rocblas_internal_gemmt_kernelIlLi16ELi32ELi8ELc84ELc78ELc85ELb0ELb0E19rocblas_complex_numIfES1_PKS1_PS1_EviT_T9_T10_S5_lS7_S5_lS6_T11_S5_li.kd
    .uniform_work_group_size: 1
    .uses_dynamic_stack: false
    .vgpr_count:     51
    .vgpr_spill_count: 0
    .wavefront_size: 64
  - .agpr_count:     0
    .args:
      - .offset:         0
        .size:           4
        .value_kind:     by_value
      - .offset:         8
        .size:           8
        .value_kind:     by_value
      - .offset:         16
        .size:           8
        .value_kind:     by_value
      - .address_space:  global
        .offset:         24
        .size:           8
        .value_kind:     global_buffer
      - .offset:         32
        .size:           8
        .value_kind:     by_value
      - .offset:         40
        .size:           8
        .value_kind:     by_value
      - .address_space:  global
        .offset:         48
        .size:           8
        .value_kind:     global_buffer
      - .offset:         56
        .size:           8
        .value_kind:     by_value
      - .offset:         64
        .size:           8
        .value_kind:     by_value
      - .offset:         72
        .size:           8
        .value_kind:     by_value
      - .address_space:  global
        .offset:         80
        .size:           8
        .value_kind:     global_buffer
      - .offset:         88
        .size:           8
        .value_kind:     by_value
      - .offset:         96
        .size:           8
        .value_kind:     by_value
      - .offset:         104
        .size:           4
        .value_kind:     by_value
    .group_segment_fixed_size: 4096
    .kernarg_segment_align: 8
    .kernarg_segment_size: 108
    .language:       OpenCL C
    .language_version:
      - 2
      - 0
    .max_flat_workgroup_size: 256
    .name:           _ZL29rocblas_internal_gemmt_kernelIlLi16ELi32ELi8ELc84ELc84ELc85ELb0ELb0E19rocblas_complex_numIfES1_PKS1_PS1_EviT_T9_T10_S5_lS7_S5_lS6_T11_S5_li
    .private_segment_fixed_size: 0
    .sgpr_count:     50
    .sgpr_spill_count: 0
    .symbol:         _ZL29rocblas_internal_gemmt_kernelIlLi16ELi32ELi8ELc84ELc84ELc85ELb0ELb0E19rocblas_complex_numIfES1_PKS1_PS1_EviT_T9_T10_S5_lS7_S5_lS6_T11_S5_li.kd
    .uniform_work_group_size: 1
    .uses_dynamic_stack: false
    .vgpr_count:     51
    .vgpr_spill_count: 0
    .wavefront_size: 64
  - .agpr_count:     0
    .args:
      - .offset:         0
        .size:           4
        .value_kind:     by_value
      - .offset:         8
        .size:           8
        .value_kind:     by_value
      - .offset:         16
        .size:           8
        .value_kind:     by_value
      - .address_space:  global
        .offset:         24
        .size:           8
        .value_kind:     global_buffer
      - .offset:         32
        .size:           8
        .value_kind:     by_value
      - .offset:         40
        .size:           8
        .value_kind:     by_value
      - .address_space:  global
        .offset:         48
        .size:           8
        .value_kind:     global_buffer
      - .offset:         56
        .size:           8
        .value_kind:     by_value
      - .offset:         64
        .size:           8
        .value_kind:     by_value
      - .offset:         72
        .size:           8
        .value_kind:     by_value
      - .address_space:  global
        .offset:         80
        .size:           8
        .value_kind:     global_buffer
      - .offset:         88
        .size:           8
        .value_kind:     by_value
      - .offset:         96
        .size:           8
        .value_kind:     by_value
      - .offset:         104
        .size:           4
        .value_kind:     by_value
    .group_segment_fixed_size: 4096
    .kernarg_segment_align: 8
    .kernarg_segment_size: 108
    .language:       OpenCL C
    .language_version:
      - 2
      - 0
    .max_flat_workgroup_size: 256
    .name:           _ZL29rocblas_internal_gemmt_kernelIlLi16ELi32ELi8ELc84ELc67ELc85ELb0ELb1E19rocblas_complex_numIfES1_PKS1_PS1_EviT_T9_T10_S5_lS7_S5_lS6_T11_S5_li
    .private_segment_fixed_size: 0
    .sgpr_count:     50
    .sgpr_spill_count: 0
    .symbol:         _ZL29rocblas_internal_gemmt_kernelIlLi16ELi32ELi8ELc84ELc67ELc85ELb0ELb1E19rocblas_complex_numIfES1_PKS1_PS1_EviT_T9_T10_S5_lS7_S5_lS6_T11_S5_li.kd
    .uniform_work_group_size: 1
    .uses_dynamic_stack: false
    .vgpr_count:     51
    .vgpr_spill_count: 0
    .wavefront_size: 64
  - .agpr_count:     0
    .args:
      - .offset:         0
        .size:           4
        .value_kind:     by_value
      - .offset:         8
        .size:           8
        .value_kind:     by_value
      - .offset:         16
        .size:           8
        .value_kind:     by_value
      - .address_space:  global
        .offset:         24
        .size:           8
        .value_kind:     global_buffer
      - .offset:         32
        .size:           8
        .value_kind:     by_value
      - .offset:         40
        .size:           8
        .value_kind:     by_value
      - .address_space:  global
        .offset:         48
        .size:           8
        .value_kind:     global_buffer
      - .offset:         56
        .size:           8
        .value_kind:     by_value
      - .offset:         64
        .size:           8
        .value_kind:     by_value
      - .offset:         72
        .size:           8
        .value_kind:     by_value
      - .address_space:  global
        .offset:         80
        .size:           8
        .value_kind:     global_buffer
      - .offset:         88
        .size:           8
        .value_kind:     by_value
      - .offset:         96
        .size:           8
        .value_kind:     by_value
      - .offset:         104
        .size:           4
        .value_kind:     by_value
    .group_segment_fixed_size: 4096
    .kernarg_segment_align: 8
    .kernarg_segment_size: 108
    .language:       OpenCL C
    .language_version:
      - 2
      - 0
    .max_flat_workgroup_size: 256
    .name:           _ZL29rocblas_internal_gemmt_kernelIlLi16ELi32ELi8ELc67ELc78ELc85ELb1ELb0E19rocblas_complex_numIfES1_PKS1_PS1_EviT_T9_T10_S5_lS7_S5_lS6_T11_S5_li
    .private_segment_fixed_size: 0
    .sgpr_count:     50
    .sgpr_spill_count: 0
    .symbol:         _ZL29rocblas_internal_gemmt_kernelIlLi16ELi32ELi8ELc67ELc78ELc85ELb1ELb0E19rocblas_complex_numIfES1_PKS1_PS1_EviT_T9_T10_S5_lS7_S5_lS6_T11_S5_li.kd
    .uniform_work_group_size: 1
    .uses_dynamic_stack: false
    .vgpr_count:     53
    .vgpr_spill_count: 0
    .wavefront_size: 64
  - .agpr_count:     0
    .args:
      - .offset:         0
        .size:           4
        .value_kind:     by_value
      - .offset:         8
        .size:           8
        .value_kind:     by_value
      - .offset:         16
        .size:           8
        .value_kind:     by_value
      - .address_space:  global
        .offset:         24
        .size:           8
        .value_kind:     global_buffer
      - .offset:         32
        .size:           8
        .value_kind:     by_value
      - .offset:         40
        .size:           8
        .value_kind:     by_value
      - .address_space:  global
        .offset:         48
        .size:           8
        .value_kind:     global_buffer
      - .offset:         56
        .size:           8
        .value_kind:     by_value
      - .offset:         64
        .size:           8
        .value_kind:     by_value
      - .offset:         72
        .size:           8
        .value_kind:     by_value
      - .address_space:  global
        .offset:         80
        .size:           8
        .value_kind:     global_buffer
      - .offset:         88
        .size:           8
        .value_kind:     by_value
      - .offset:         96
        .size:           8
        .value_kind:     by_value
      - .offset:         104
        .size:           4
        .value_kind:     by_value
    .group_segment_fixed_size: 4096
    .kernarg_segment_align: 8
    .kernarg_segment_size: 108
    .language:       OpenCL C
    .language_version:
      - 2
      - 0
    .max_flat_workgroup_size: 256
    .name:           _ZL29rocblas_internal_gemmt_kernelIlLi16ELi32ELi8ELc67ELc84ELc85ELb1ELb0E19rocblas_complex_numIfES1_PKS1_PS1_EviT_T9_T10_S5_lS7_S5_lS6_T11_S5_li
    .private_segment_fixed_size: 0
    .sgpr_count:     38
    .sgpr_spill_count: 0
    .symbol:         _ZL29rocblas_internal_gemmt_kernelIlLi16ELi32ELi8ELc67ELc84ELc85ELb1ELb0E19rocblas_complex_numIfES1_PKS1_PS1_EviT_T9_T10_S5_lS7_S5_lS6_T11_S5_li.kd
    .uniform_work_group_size: 1
    .uses_dynamic_stack: false
    .vgpr_count:     53
    .vgpr_spill_count: 0
    .wavefront_size: 64
  - .agpr_count:     0
    .args:
      - .offset:         0
        .size:           4
        .value_kind:     by_value
      - .offset:         8
        .size:           8
        .value_kind:     by_value
      - .offset:         16
        .size:           8
        .value_kind:     by_value
      - .address_space:  global
        .offset:         24
        .size:           8
        .value_kind:     global_buffer
      - .offset:         32
        .size:           8
        .value_kind:     by_value
      - .offset:         40
        .size:           8
        .value_kind:     by_value
      - .address_space:  global
        .offset:         48
        .size:           8
        .value_kind:     global_buffer
      - .offset:         56
        .size:           8
        .value_kind:     by_value
      - .offset:         64
        .size:           8
        .value_kind:     by_value
      - .offset:         72
        .size:           8
        .value_kind:     by_value
      - .address_space:  global
        .offset:         80
        .size:           8
        .value_kind:     global_buffer
      - .offset:         88
        .size:           8
        .value_kind:     by_value
      - .offset:         96
        .size:           8
        .value_kind:     by_value
      - .offset:         104
        .size:           4
        .value_kind:     by_value
    .group_segment_fixed_size: 4096
    .kernarg_segment_align: 8
    .kernarg_segment_size: 108
    .language:       OpenCL C
    .language_version:
      - 2
      - 0
    .max_flat_workgroup_size: 256
    .name:           _ZL29rocblas_internal_gemmt_kernelIlLi16ELi32ELi8ELc67ELc67ELc85ELb1ELb1E19rocblas_complex_numIfES1_PKS1_PS1_EviT_T9_T10_S5_lS7_S5_lS6_T11_S5_li
    .private_segment_fixed_size: 0
    .sgpr_count:     38
    .sgpr_spill_count: 0
    .symbol:         _ZL29rocblas_internal_gemmt_kernelIlLi16ELi32ELi8ELc67ELc67ELc85ELb1ELb1E19rocblas_complex_numIfES1_PKS1_PS1_EviT_T9_T10_S5_lS7_S5_lS6_T11_S5_li.kd
    .uniform_work_group_size: 1
    .uses_dynamic_stack: false
    .vgpr_count:     53
    .vgpr_spill_count: 0
    .wavefront_size: 64
  - .agpr_count:     0
    .args:
      - .offset:         0
        .size:           4
        .value_kind:     by_value
      - .offset:         8
        .size:           8
        .value_kind:     by_value
      - .offset:         16
        .size:           8
        .value_kind:     by_value
      - .address_space:  global
        .offset:         24
        .size:           8
        .value_kind:     global_buffer
      - .offset:         32
        .size:           8
        .value_kind:     by_value
      - .offset:         40
        .size:           8
        .value_kind:     by_value
      - .address_space:  global
        .offset:         48
        .size:           8
        .value_kind:     global_buffer
      - .offset:         56
        .size:           8
        .value_kind:     by_value
      - .offset:         64
        .size:           8
        .value_kind:     by_value
      - .offset:         72
        .size:           8
        .value_kind:     by_value
      - .address_space:  global
        .offset:         80
        .size:           8
        .value_kind:     global_buffer
      - .offset:         88
        .size:           8
        .value_kind:     by_value
      - .offset:         96
        .size:           8
        .value_kind:     by_value
      - .offset:         104
        .size:           4
        .value_kind:     by_value
    .group_segment_fixed_size: 4096
    .kernarg_segment_align: 8
    .kernarg_segment_size: 108
    .language:       OpenCL C
    .language_version:
      - 2
      - 0
    .max_flat_workgroup_size: 256
    .name:           _ZL29rocblas_internal_gemmt_kernelIlLi16ELi32ELi8ELc78ELc78ELc76ELb0ELb0E19rocblas_complex_numIfES1_PKS1_PS1_EviT_T9_T10_S5_lS7_S5_lS6_T11_S5_li
    .private_segment_fixed_size: 0
    .sgpr_count:     38
    .sgpr_spill_count: 0
    .symbol:         _ZL29rocblas_internal_gemmt_kernelIlLi16ELi32ELi8ELc78ELc78ELc76ELb0ELb0E19rocblas_complex_numIfES1_PKS1_PS1_EviT_T9_T10_S5_lS7_S5_lS6_T11_S5_li.kd
    .uniform_work_group_size: 1
    .uses_dynamic_stack: false
    .vgpr_count:     51
    .vgpr_spill_count: 0
    .wavefront_size: 64
  - .agpr_count:     0
    .args:
      - .offset:         0
        .size:           4
        .value_kind:     by_value
      - .offset:         8
        .size:           8
        .value_kind:     by_value
      - .offset:         16
        .size:           8
        .value_kind:     by_value
      - .address_space:  global
        .offset:         24
        .size:           8
        .value_kind:     global_buffer
      - .offset:         32
        .size:           8
        .value_kind:     by_value
      - .offset:         40
        .size:           8
        .value_kind:     by_value
      - .address_space:  global
        .offset:         48
        .size:           8
        .value_kind:     global_buffer
      - .offset:         56
        .size:           8
        .value_kind:     by_value
      - .offset:         64
        .size:           8
        .value_kind:     by_value
      - .offset:         72
        .size:           8
        .value_kind:     by_value
      - .address_space:  global
        .offset:         80
        .size:           8
        .value_kind:     global_buffer
      - .offset:         88
        .size:           8
        .value_kind:     by_value
      - .offset:         96
        .size:           8
        .value_kind:     by_value
      - .offset:         104
        .size:           4
        .value_kind:     by_value
    .group_segment_fixed_size: 4096
    .kernarg_segment_align: 8
    .kernarg_segment_size: 108
    .language:       OpenCL C
    .language_version:
      - 2
      - 0
    .max_flat_workgroup_size: 256
    .name:           _ZL29rocblas_internal_gemmt_kernelIlLi16ELi32ELi8ELc78ELc84ELc76ELb0ELb0E19rocblas_complex_numIfES1_PKS1_PS1_EviT_T9_T10_S5_lS7_S5_lS6_T11_S5_li
    .private_segment_fixed_size: 0
    .sgpr_count:     36
    .sgpr_spill_count: 0
    .symbol:         _ZL29rocblas_internal_gemmt_kernelIlLi16ELi32ELi8ELc78ELc84ELc76ELb0ELb0E19rocblas_complex_numIfES1_PKS1_PS1_EviT_T9_T10_S5_lS7_S5_lS6_T11_S5_li.kd
    .uniform_work_group_size: 1
    .uses_dynamic_stack: false
    .vgpr_count:     51
    .vgpr_spill_count: 0
    .wavefront_size: 64
  - .agpr_count:     0
    .args:
      - .offset:         0
        .size:           4
        .value_kind:     by_value
      - .offset:         8
        .size:           8
        .value_kind:     by_value
      - .offset:         16
        .size:           8
        .value_kind:     by_value
      - .address_space:  global
        .offset:         24
        .size:           8
        .value_kind:     global_buffer
      - .offset:         32
        .size:           8
        .value_kind:     by_value
      - .offset:         40
        .size:           8
        .value_kind:     by_value
      - .address_space:  global
        .offset:         48
        .size:           8
        .value_kind:     global_buffer
      - .offset:         56
        .size:           8
        .value_kind:     by_value
      - .offset:         64
        .size:           8
        .value_kind:     by_value
      - .offset:         72
        .size:           8
        .value_kind:     by_value
      - .address_space:  global
        .offset:         80
        .size:           8
        .value_kind:     global_buffer
      - .offset:         88
        .size:           8
        .value_kind:     by_value
      - .offset:         96
        .size:           8
        .value_kind:     by_value
      - .offset:         104
        .size:           4
        .value_kind:     by_value
    .group_segment_fixed_size: 4096
    .kernarg_segment_align: 8
    .kernarg_segment_size: 108
    .language:       OpenCL C
    .language_version:
      - 2
      - 0
    .max_flat_workgroup_size: 256
    .name:           _ZL29rocblas_internal_gemmt_kernelIlLi16ELi32ELi8ELc78ELc67ELc76ELb0ELb1E19rocblas_complex_numIfES1_PKS1_PS1_EviT_T9_T10_S5_lS7_S5_lS6_T11_S5_li
    .private_segment_fixed_size: 0
    .sgpr_count:     36
    .sgpr_spill_count: 0
    .symbol:         _ZL29rocblas_internal_gemmt_kernelIlLi16ELi32ELi8ELc78ELc67ELc76ELb0ELb1E19rocblas_complex_numIfES1_PKS1_PS1_EviT_T9_T10_S5_lS7_S5_lS6_T11_S5_li.kd
    .uniform_work_group_size: 1
    .uses_dynamic_stack: false
    .vgpr_count:     51
    .vgpr_spill_count: 0
    .wavefront_size: 64
  - .agpr_count:     0
    .args:
      - .offset:         0
        .size:           4
        .value_kind:     by_value
      - .offset:         8
        .size:           8
        .value_kind:     by_value
      - .offset:         16
        .size:           8
        .value_kind:     by_value
      - .address_space:  global
        .offset:         24
        .size:           8
        .value_kind:     global_buffer
      - .offset:         32
        .size:           8
        .value_kind:     by_value
      - .offset:         40
        .size:           8
        .value_kind:     by_value
      - .address_space:  global
        .offset:         48
        .size:           8
        .value_kind:     global_buffer
      - .offset:         56
        .size:           8
        .value_kind:     by_value
      - .offset:         64
        .size:           8
        .value_kind:     by_value
      - .offset:         72
        .size:           8
        .value_kind:     by_value
      - .address_space:  global
        .offset:         80
        .size:           8
        .value_kind:     global_buffer
      - .offset:         88
        .size:           8
        .value_kind:     by_value
      - .offset:         96
        .size:           8
        .value_kind:     by_value
      - .offset:         104
        .size:           4
        .value_kind:     by_value
    .group_segment_fixed_size: 4096
    .kernarg_segment_align: 8
    .kernarg_segment_size: 108
    .language:       OpenCL C
    .language_version:
      - 2
      - 0
    .max_flat_workgroup_size: 256
    .name:           _ZL29rocblas_internal_gemmt_kernelIlLi16ELi32ELi8ELc84ELc78ELc76ELb0ELb0E19rocblas_complex_numIfES1_PKS1_PS1_EviT_T9_T10_S5_lS7_S5_lS6_T11_S5_li
    .private_segment_fixed_size: 0
    .sgpr_count:     46
    .sgpr_spill_count: 0
    .symbol:         _ZL29rocblas_internal_gemmt_kernelIlLi16ELi32ELi8ELc84ELc78ELc76ELb0ELb0E19rocblas_complex_numIfES1_PKS1_PS1_EviT_T9_T10_S5_lS7_S5_lS6_T11_S5_li.kd
    .uniform_work_group_size: 1
    .uses_dynamic_stack: false
    .vgpr_count:     51
    .vgpr_spill_count: 0
    .wavefront_size: 64
  - .agpr_count:     0
    .args:
      - .offset:         0
        .size:           4
        .value_kind:     by_value
      - .offset:         8
        .size:           8
        .value_kind:     by_value
      - .offset:         16
        .size:           8
        .value_kind:     by_value
      - .address_space:  global
        .offset:         24
        .size:           8
        .value_kind:     global_buffer
      - .offset:         32
        .size:           8
        .value_kind:     by_value
      - .offset:         40
        .size:           8
        .value_kind:     by_value
      - .address_space:  global
        .offset:         48
        .size:           8
        .value_kind:     global_buffer
      - .offset:         56
        .size:           8
        .value_kind:     by_value
      - .offset:         64
        .size:           8
        .value_kind:     by_value
      - .offset:         72
        .size:           8
        .value_kind:     by_value
      - .address_space:  global
        .offset:         80
        .size:           8
        .value_kind:     global_buffer
      - .offset:         88
        .size:           8
        .value_kind:     by_value
      - .offset:         96
        .size:           8
        .value_kind:     by_value
      - .offset:         104
        .size:           4
        .value_kind:     by_value
    .group_segment_fixed_size: 4096
    .kernarg_segment_align: 8
    .kernarg_segment_size: 108
    .language:       OpenCL C
    .language_version:
      - 2
      - 0
    .max_flat_workgroup_size: 256
    .name:           _ZL29rocblas_internal_gemmt_kernelIlLi16ELi32ELi8ELc84ELc84ELc76ELb0ELb0E19rocblas_complex_numIfES1_PKS1_PS1_EviT_T9_T10_S5_lS7_S5_lS6_T11_S5_li
    .private_segment_fixed_size: 0
    .sgpr_count:     50
    .sgpr_spill_count: 0
    .symbol:         _ZL29rocblas_internal_gemmt_kernelIlLi16ELi32ELi8ELc84ELc84ELc76ELb0ELb0E19rocblas_complex_numIfES1_PKS1_PS1_EviT_T9_T10_S5_lS7_S5_lS6_T11_S5_li.kd
    .uniform_work_group_size: 1
    .uses_dynamic_stack: false
    .vgpr_count:     51
    .vgpr_spill_count: 0
    .wavefront_size: 64
  - .agpr_count:     0
    .args:
      - .offset:         0
        .size:           4
        .value_kind:     by_value
      - .offset:         8
        .size:           8
        .value_kind:     by_value
      - .offset:         16
        .size:           8
        .value_kind:     by_value
      - .address_space:  global
        .offset:         24
        .size:           8
        .value_kind:     global_buffer
      - .offset:         32
        .size:           8
        .value_kind:     by_value
      - .offset:         40
        .size:           8
        .value_kind:     by_value
      - .address_space:  global
        .offset:         48
        .size:           8
        .value_kind:     global_buffer
      - .offset:         56
        .size:           8
        .value_kind:     by_value
      - .offset:         64
        .size:           8
        .value_kind:     by_value
      - .offset:         72
        .size:           8
        .value_kind:     by_value
      - .address_space:  global
        .offset:         80
        .size:           8
        .value_kind:     global_buffer
      - .offset:         88
        .size:           8
        .value_kind:     by_value
      - .offset:         96
        .size:           8
        .value_kind:     by_value
      - .offset:         104
        .size:           4
        .value_kind:     by_value
    .group_segment_fixed_size: 4096
    .kernarg_segment_align: 8
    .kernarg_segment_size: 108
    .language:       OpenCL C
    .language_version:
      - 2
      - 0
    .max_flat_workgroup_size: 256
    .name:           _ZL29rocblas_internal_gemmt_kernelIlLi16ELi32ELi8ELc84ELc67ELc76ELb0ELb1E19rocblas_complex_numIfES1_PKS1_PS1_EviT_T9_T10_S5_lS7_S5_lS6_T11_S5_li
    .private_segment_fixed_size: 0
    .sgpr_count:     50
    .sgpr_spill_count: 0
    .symbol:         _ZL29rocblas_internal_gemmt_kernelIlLi16ELi32ELi8ELc84ELc67ELc76ELb0ELb1E19rocblas_complex_numIfES1_PKS1_PS1_EviT_T9_T10_S5_lS7_S5_lS6_T11_S5_li.kd
    .uniform_work_group_size: 1
    .uses_dynamic_stack: false
    .vgpr_count:     51
    .vgpr_spill_count: 0
    .wavefront_size: 64
  - .agpr_count:     0
    .args:
      - .offset:         0
        .size:           4
        .value_kind:     by_value
      - .offset:         8
        .size:           8
        .value_kind:     by_value
      - .offset:         16
        .size:           8
        .value_kind:     by_value
      - .address_space:  global
        .offset:         24
        .size:           8
        .value_kind:     global_buffer
      - .offset:         32
        .size:           8
        .value_kind:     by_value
      - .offset:         40
        .size:           8
        .value_kind:     by_value
      - .address_space:  global
        .offset:         48
        .size:           8
        .value_kind:     global_buffer
      - .offset:         56
        .size:           8
        .value_kind:     by_value
      - .offset:         64
        .size:           8
        .value_kind:     by_value
      - .offset:         72
        .size:           8
        .value_kind:     by_value
      - .address_space:  global
        .offset:         80
        .size:           8
        .value_kind:     global_buffer
      - .offset:         88
        .size:           8
        .value_kind:     by_value
      - .offset:         96
        .size:           8
        .value_kind:     by_value
      - .offset:         104
        .size:           4
        .value_kind:     by_value
    .group_segment_fixed_size: 4096
    .kernarg_segment_align: 8
    .kernarg_segment_size: 108
    .language:       OpenCL C
    .language_version:
      - 2
      - 0
    .max_flat_workgroup_size: 256
    .name:           _ZL29rocblas_internal_gemmt_kernelIlLi16ELi32ELi8ELc67ELc78ELc76ELb1ELb0E19rocblas_complex_numIfES1_PKS1_PS1_EviT_T9_T10_S5_lS7_S5_lS6_T11_S5_li
    .private_segment_fixed_size: 0
    .sgpr_count:     50
    .sgpr_spill_count: 0
    .symbol:         _ZL29rocblas_internal_gemmt_kernelIlLi16ELi32ELi8ELc67ELc78ELc76ELb1ELb0E19rocblas_complex_numIfES1_PKS1_PS1_EviT_T9_T10_S5_lS7_S5_lS6_T11_S5_li.kd
    .uniform_work_group_size: 1
    .uses_dynamic_stack: false
    .vgpr_count:     53
    .vgpr_spill_count: 0
    .wavefront_size: 64
  - .agpr_count:     0
    .args:
      - .offset:         0
        .size:           4
        .value_kind:     by_value
      - .offset:         8
        .size:           8
        .value_kind:     by_value
      - .offset:         16
        .size:           8
        .value_kind:     by_value
      - .address_space:  global
        .offset:         24
        .size:           8
        .value_kind:     global_buffer
      - .offset:         32
        .size:           8
        .value_kind:     by_value
      - .offset:         40
        .size:           8
        .value_kind:     by_value
      - .address_space:  global
        .offset:         48
        .size:           8
        .value_kind:     global_buffer
      - .offset:         56
        .size:           8
        .value_kind:     by_value
      - .offset:         64
        .size:           8
        .value_kind:     by_value
      - .offset:         72
        .size:           8
        .value_kind:     by_value
      - .address_space:  global
        .offset:         80
        .size:           8
        .value_kind:     global_buffer
      - .offset:         88
        .size:           8
        .value_kind:     by_value
      - .offset:         96
        .size:           8
        .value_kind:     by_value
      - .offset:         104
        .size:           4
        .value_kind:     by_value
    .group_segment_fixed_size: 4096
    .kernarg_segment_align: 8
    .kernarg_segment_size: 108
    .language:       OpenCL C
    .language_version:
      - 2
      - 0
    .max_flat_workgroup_size: 256
    .name:           _ZL29rocblas_internal_gemmt_kernelIlLi16ELi32ELi8ELc67ELc84ELc76ELb1ELb0E19rocblas_complex_numIfES1_PKS1_PS1_EviT_T9_T10_S5_lS7_S5_lS6_T11_S5_li
    .private_segment_fixed_size: 0
    .sgpr_count:     38
    .sgpr_spill_count: 0
    .symbol:         _ZL29rocblas_internal_gemmt_kernelIlLi16ELi32ELi8ELc67ELc84ELc76ELb1ELb0E19rocblas_complex_numIfES1_PKS1_PS1_EviT_T9_T10_S5_lS7_S5_lS6_T11_S5_li.kd
    .uniform_work_group_size: 1
    .uses_dynamic_stack: false
    .vgpr_count:     53
    .vgpr_spill_count: 0
    .wavefront_size: 64
  - .agpr_count:     0
    .args:
      - .offset:         0
        .size:           4
        .value_kind:     by_value
      - .offset:         8
        .size:           8
        .value_kind:     by_value
      - .offset:         16
        .size:           8
        .value_kind:     by_value
      - .address_space:  global
        .offset:         24
        .size:           8
        .value_kind:     global_buffer
      - .offset:         32
        .size:           8
        .value_kind:     by_value
      - .offset:         40
        .size:           8
        .value_kind:     by_value
      - .address_space:  global
        .offset:         48
        .size:           8
        .value_kind:     global_buffer
      - .offset:         56
        .size:           8
        .value_kind:     by_value
      - .offset:         64
        .size:           8
        .value_kind:     by_value
      - .offset:         72
        .size:           8
        .value_kind:     by_value
      - .address_space:  global
        .offset:         80
        .size:           8
        .value_kind:     global_buffer
      - .offset:         88
        .size:           8
        .value_kind:     by_value
      - .offset:         96
        .size:           8
        .value_kind:     by_value
      - .offset:         104
        .size:           4
        .value_kind:     by_value
    .group_segment_fixed_size: 4096
    .kernarg_segment_align: 8
    .kernarg_segment_size: 108
    .language:       OpenCL C
    .language_version:
      - 2
      - 0
    .max_flat_workgroup_size: 256
    .name:           _ZL29rocblas_internal_gemmt_kernelIlLi16ELi32ELi8ELc67ELc67ELc76ELb1ELb1E19rocblas_complex_numIfES1_PKS1_PS1_EviT_T9_T10_S5_lS7_S5_lS6_T11_S5_li
    .private_segment_fixed_size: 0
    .sgpr_count:     38
    .sgpr_spill_count: 0
    .symbol:         _ZL29rocblas_internal_gemmt_kernelIlLi16ELi32ELi8ELc67ELc67ELc76ELb1ELb1E19rocblas_complex_numIfES1_PKS1_PS1_EviT_T9_T10_S5_lS7_S5_lS6_T11_S5_li.kd
    .uniform_work_group_size: 1
    .uses_dynamic_stack: false
    .vgpr_count:     53
    .vgpr_spill_count: 0
    .wavefront_size: 64
  - .agpr_count:     0
    .args:
      - .offset:         0
        .size:           4
        .value_kind:     by_value
      - .offset:         8
        .size:           8
        .value_kind:     by_value
      - .address_space:  global
        .offset:         16
        .size:           8
        .value_kind:     global_buffer
      - .address_space:  global
        .offset:         24
        .size:           8
        .value_kind:     global_buffer
      - .offset:         32
        .size:           8
        .value_kind:     by_value
      - .offset:         40
        .size:           8
        .value_kind:     by_value
      - .address_space:  global
        .offset:         48
        .size:           8
        .value_kind:     global_buffer
      - .offset:         56
        .size:           8
        .value_kind:     by_value
      - .offset:         64
        .size:           8
        .value_kind:     by_value
      - .address_space:  global
        .offset:         72
        .size:           8
        .value_kind:     global_buffer
      - .address_space:  global
        .offset:         80
        .size:           8
        .value_kind:     global_buffer
      - .offset:         88
        .size:           8
        .value_kind:     by_value
      - .offset:         96
        .size:           8
        .value_kind:     by_value
      - .offset:         104
        .size:           4
        .value_kind:     by_value
    .group_segment_fixed_size: 8192
    .kernarg_segment_align: 8
    .kernarg_segment_size: 108
    .language:       OpenCL C
    .language_version:
      - 2
      - 0
    .max_flat_workgroup_size: 256
    .name:           _ZL29rocblas_internal_gemmt_kernelIlLi16ELi32ELi8ELc78ELc78ELc85ELb0ELb0E19rocblas_complex_numIdEPKS1_S3_PS1_EviT_T9_T10_S5_lS7_S5_lS6_T11_S5_li
    .private_segment_fixed_size: 0
    .sgpr_count:     50
    .sgpr_spill_count: 0
    .symbol:         _ZL29rocblas_internal_gemmt_kernelIlLi16ELi32ELi8ELc78ELc78ELc85ELb0ELb0E19rocblas_complex_numIdEPKS1_S3_PS1_EviT_T9_T10_S5_lS7_S5_lS6_T11_S5_li.kd
    .uniform_work_group_size: 1
    .uses_dynamic_stack: false
    .vgpr_count:     62
    .vgpr_spill_count: 0
    .wavefront_size: 64
  - .agpr_count:     0
    .args:
      - .offset:         0
        .size:           4
        .value_kind:     by_value
      - .offset:         8
        .size:           8
        .value_kind:     by_value
      - .address_space:  global
        .offset:         16
        .size:           8
        .value_kind:     global_buffer
      - .address_space:  global
        .offset:         24
        .size:           8
        .value_kind:     global_buffer
      - .offset:         32
        .size:           8
        .value_kind:     by_value
      - .offset:         40
        .size:           8
        .value_kind:     by_value
      - .address_space:  global
        .offset:         48
        .size:           8
        .value_kind:     global_buffer
      - .offset:         56
        .size:           8
        .value_kind:     by_value
      - .offset:         64
        .size:           8
        .value_kind:     by_value
      - .address_space:  global
        .offset:         72
        .size:           8
        .value_kind:     global_buffer
      - .address_space:  global
        .offset:         80
        .size:           8
        .value_kind:     global_buffer
      - .offset:         88
        .size:           8
        .value_kind:     by_value
      - .offset:         96
        .size:           8
        .value_kind:     by_value
      - .offset:         104
        .size:           4
        .value_kind:     by_value
    .group_segment_fixed_size: 8192
    .kernarg_segment_align: 8
    .kernarg_segment_size: 108
    .language:       OpenCL C
    .language_version:
      - 2
      - 0
    .max_flat_workgroup_size: 256
    .name:           _ZL29rocblas_internal_gemmt_kernelIlLi16ELi32ELi8ELc78ELc84ELc85ELb0ELb0E19rocblas_complex_numIdEPKS1_S3_PS1_EviT_T9_T10_S5_lS7_S5_lS6_T11_S5_li
    .private_segment_fixed_size: 0
    .sgpr_count:     50
    .sgpr_spill_count: 0
    .symbol:         _ZL29rocblas_internal_gemmt_kernelIlLi16ELi32ELi8ELc78ELc84ELc85ELb0ELb0E19rocblas_complex_numIdEPKS1_S3_PS1_EviT_T9_T10_S5_lS7_S5_lS6_T11_S5_li.kd
    .uniform_work_group_size: 1
    .uses_dynamic_stack: false
    .vgpr_count:     62
    .vgpr_spill_count: 0
    .wavefront_size: 64
  - .agpr_count:     0
    .args:
      - .offset:         0
        .size:           4
        .value_kind:     by_value
      - .offset:         8
        .size:           8
        .value_kind:     by_value
      - .address_space:  global
        .offset:         16
        .size:           8
        .value_kind:     global_buffer
      - .address_space:  global
        .offset:         24
        .size:           8
        .value_kind:     global_buffer
      - .offset:         32
        .size:           8
        .value_kind:     by_value
      - .offset:         40
        .size:           8
        .value_kind:     by_value
      - .address_space:  global
        .offset:         48
        .size:           8
        .value_kind:     global_buffer
      - .offset:         56
        .size:           8
        .value_kind:     by_value
      - .offset:         64
        .size:           8
        .value_kind:     by_value
      - .address_space:  global
        .offset:         72
        .size:           8
        .value_kind:     global_buffer
      - .address_space:  global
        .offset:         80
        .size:           8
        .value_kind:     global_buffer
      - .offset:         88
        .size:           8
        .value_kind:     by_value
      - .offset:         96
        .size:           8
        .value_kind:     by_value
      - .offset:         104
        .size:           4
        .value_kind:     by_value
    .group_segment_fixed_size: 8192
    .kernarg_segment_align: 8
    .kernarg_segment_size: 108
    .language:       OpenCL C
    .language_version:
      - 2
      - 0
    .max_flat_workgroup_size: 256
    .name:           _ZL29rocblas_internal_gemmt_kernelIlLi16ELi32ELi8ELc78ELc67ELc85ELb0ELb1E19rocblas_complex_numIdEPKS1_S3_PS1_EviT_T9_T10_S5_lS7_S5_lS6_T11_S5_li
    .private_segment_fixed_size: 0
    .sgpr_count:     50
    .sgpr_spill_count: 0
    .symbol:         _ZL29rocblas_internal_gemmt_kernelIlLi16ELi32ELi8ELc78ELc67ELc85ELb0ELb1E19rocblas_complex_numIdEPKS1_S3_PS1_EviT_T9_T10_S5_lS7_S5_lS6_T11_S5_li.kd
    .uniform_work_group_size: 1
    .uses_dynamic_stack: false
    .vgpr_count:     66
    .vgpr_spill_count: 0
    .wavefront_size: 64
  - .agpr_count:     0
    .args:
      - .offset:         0
        .size:           4
        .value_kind:     by_value
      - .offset:         8
        .size:           8
        .value_kind:     by_value
      - .address_space:  global
        .offset:         16
        .size:           8
        .value_kind:     global_buffer
      - .address_space:  global
        .offset:         24
        .size:           8
        .value_kind:     global_buffer
      - .offset:         32
        .size:           8
        .value_kind:     by_value
      - .offset:         40
        .size:           8
        .value_kind:     by_value
      - .address_space:  global
        .offset:         48
        .size:           8
        .value_kind:     global_buffer
      - .offset:         56
        .size:           8
        .value_kind:     by_value
      - .offset:         64
        .size:           8
        .value_kind:     by_value
      - .address_space:  global
        .offset:         72
        .size:           8
        .value_kind:     global_buffer
      - .address_space:  global
        .offset:         80
        .size:           8
        .value_kind:     global_buffer
      - .offset:         88
        .size:           8
        .value_kind:     by_value
      - .offset:         96
        .size:           8
        .value_kind:     by_value
      - .offset:         104
        .size:           4
        .value_kind:     by_value
    .group_segment_fixed_size: 8192
    .kernarg_segment_align: 8
    .kernarg_segment_size: 108
    .language:       OpenCL C
    .language_version:
      - 2
      - 0
    .max_flat_workgroup_size: 256
    .name:           _ZL29rocblas_internal_gemmt_kernelIlLi16ELi32ELi8ELc84ELc78ELc85ELb0ELb0E19rocblas_complex_numIdEPKS1_S3_PS1_EviT_T9_T10_S5_lS7_S5_lS6_T11_S5_li
    .private_segment_fixed_size: 0
    .sgpr_count:     50
    .sgpr_spill_count: 0
    .symbol:         _ZL29rocblas_internal_gemmt_kernelIlLi16ELi32ELi8ELc84ELc78ELc85ELb0ELb0E19rocblas_complex_numIdEPKS1_S3_PS1_EviT_T9_T10_S5_lS7_S5_lS6_T11_S5_li.kd
    .uniform_work_group_size: 1
    .uses_dynamic_stack: false
    .vgpr_count:     62
    .vgpr_spill_count: 0
    .wavefront_size: 64
  - .agpr_count:     0
    .args:
      - .offset:         0
        .size:           4
        .value_kind:     by_value
      - .offset:         8
        .size:           8
        .value_kind:     by_value
      - .address_space:  global
        .offset:         16
        .size:           8
        .value_kind:     global_buffer
      - .address_space:  global
        .offset:         24
        .size:           8
        .value_kind:     global_buffer
      - .offset:         32
        .size:           8
        .value_kind:     by_value
      - .offset:         40
        .size:           8
        .value_kind:     by_value
      - .address_space:  global
        .offset:         48
        .size:           8
        .value_kind:     global_buffer
      - .offset:         56
        .size:           8
        .value_kind:     by_value
      - .offset:         64
        .size:           8
        .value_kind:     by_value
      - .address_space:  global
        .offset:         72
        .size:           8
        .value_kind:     global_buffer
      - .address_space:  global
        .offset:         80
        .size:           8
        .value_kind:     global_buffer
      - .offset:         88
        .size:           8
        .value_kind:     by_value
      - .offset:         96
        .size:           8
        .value_kind:     by_value
      - .offset:         104
        .size:           4
        .value_kind:     by_value
    .group_segment_fixed_size: 8192
    .kernarg_segment_align: 8
    .kernarg_segment_size: 108
    .language:       OpenCL C
    .language_version:
      - 2
      - 0
    .max_flat_workgroup_size: 256
    .name:           _ZL29rocblas_internal_gemmt_kernelIlLi16ELi32ELi8ELc84ELc84ELc85ELb0ELb0E19rocblas_complex_numIdEPKS1_S3_PS1_EviT_T9_T10_S5_lS7_S5_lS6_T11_S5_li
    .private_segment_fixed_size: 0
    .sgpr_count:     50
    .sgpr_spill_count: 0
    .symbol:         _ZL29rocblas_internal_gemmt_kernelIlLi16ELi32ELi8ELc84ELc84ELc85ELb0ELb0E19rocblas_complex_numIdEPKS1_S3_PS1_EviT_T9_T10_S5_lS7_S5_lS6_T11_S5_li.kd
    .uniform_work_group_size: 1
    .uses_dynamic_stack: false
    .vgpr_count:     62
    .vgpr_spill_count: 0
    .wavefront_size: 64
  - .agpr_count:     0
    .args:
      - .offset:         0
        .size:           4
        .value_kind:     by_value
      - .offset:         8
        .size:           8
        .value_kind:     by_value
      - .address_space:  global
        .offset:         16
        .size:           8
        .value_kind:     global_buffer
      - .address_space:  global
        .offset:         24
        .size:           8
        .value_kind:     global_buffer
      - .offset:         32
        .size:           8
        .value_kind:     by_value
      - .offset:         40
        .size:           8
        .value_kind:     by_value
      - .address_space:  global
        .offset:         48
        .size:           8
        .value_kind:     global_buffer
      - .offset:         56
        .size:           8
        .value_kind:     by_value
      - .offset:         64
        .size:           8
        .value_kind:     by_value
      - .address_space:  global
        .offset:         72
        .size:           8
        .value_kind:     global_buffer
      - .address_space:  global
        .offset:         80
        .size:           8
        .value_kind:     global_buffer
      - .offset:         88
        .size:           8
        .value_kind:     by_value
      - .offset:         96
        .size:           8
        .value_kind:     by_value
      - .offset:         104
        .size:           4
        .value_kind:     by_value
    .group_segment_fixed_size: 8192
    .kernarg_segment_align: 8
    .kernarg_segment_size: 108
    .language:       OpenCL C
    .language_version:
      - 2
      - 0
    .max_flat_workgroup_size: 256
    .name:           _ZL29rocblas_internal_gemmt_kernelIlLi16ELi32ELi8ELc84ELc67ELc85ELb0ELb1E19rocblas_complex_numIdEPKS1_S3_PS1_EviT_T9_T10_S5_lS7_S5_lS6_T11_S5_li
    .private_segment_fixed_size: 0
    .sgpr_count:     50
    .sgpr_spill_count: 0
    .symbol:         _ZL29rocblas_internal_gemmt_kernelIlLi16ELi32ELi8ELc84ELc67ELc85ELb0ELb1E19rocblas_complex_numIdEPKS1_S3_PS1_EviT_T9_T10_S5_lS7_S5_lS6_T11_S5_li.kd
    .uniform_work_group_size: 1
    .uses_dynamic_stack: false
    .vgpr_count:     66
    .vgpr_spill_count: 0
    .wavefront_size: 64
  - .agpr_count:     0
    .args:
      - .offset:         0
        .size:           4
        .value_kind:     by_value
      - .offset:         8
        .size:           8
        .value_kind:     by_value
      - .address_space:  global
        .offset:         16
        .size:           8
        .value_kind:     global_buffer
      - .address_space:  global
        .offset:         24
        .size:           8
        .value_kind:     global_buffer
      - .offset:         32
        .size:           8
        .value_kind:     by_value
      - .offset:         40
        .size:           8
        .value_kind:     by_value
      - .address_space:  global
        .offset:         48
        .size:           8
        .value_kind:     global_buffer
      - .offset:         56
        .size:           8
        .value_kind:     by_value
      - .offset:         64
        .size:           8
        .value_kind:     by_value
      - .address_space:  global
        .offset:         72
        .size:           8
        .value_kind:     global_buffer
      - .address_space:  global
        .offset:         80
        .size:           8
        .value_kind:     global_buffer
      - .offset:         88
        .size:           8
        .value_kind:     by_value
      - .offset:         96
        .size:           8
        .value_kind:     by_value
      - .offset:         104
        .size:           4
        .value_kind:     by_value
    .group_segment_fixed_size: 8192
    .kernarg_segment_align: 8
    .kernarg_segment_size: 108
    .language:       OpenCL C
    .language_version:
      - 2
      - 0
    .max_flat_workgroup_size: 256
    .name:           _ZL29rocblas_internal_gemmt_kernelIlLi16ELi32ELi8ELc67ELc78ELc85ELb1ELb0E19rocblas_complex_numIdEPKS1_S3_PS1_EviT_T9_T10_S5_lS7_S5_lS6_T11_S5_li
    .private_segment_fixed_size: 0
    .sgpr_count:     50
    .sgpr_spill_count: 0
    .symbol:         _ZL29rocblas_internal_gemmt_kernelIlLi16ELi32ELi8ELc67ELc78ELc85ELb1ELb0E19rocblas_complex_numIdEPKS1_S3_PS1_EviT_T9_T10_S5_lS7_S5_lS6_T11_S5_li.kd
    .uniform_work_group_size: 1
    .uses_dynamic_stack: false
    .vgpr_count:     64
    .vgpr_spill_count: 0
    .wavefront_size: 64
  - .agpr_count:     0
    .args:
      - .offset:         0
        .size:           4
        .value_kind:     by_value
      - .offset:         8
        .size:           8
        .value_kind:     by_value
      - .address_space:  global
        .offset:         16
        .size:           8
        .value_kind:     global_buffer
      - .address_space:  global
        .offset:         24
        .size:           8
        .value_kind:     global_buffer
      - .offset:         32
        .size:           8
        .value_kind:     by_value
      - .offset:         40
        .size:           8
        .value_kind:     by_value
      - .address_space:  global
        .offset:         48
        .size:           8
        .value_kind:     global_buffer
      - .offset:         56
        .size:           8
        .value_kind:     by_value
      - .offset:         64
        .size:           8
        .value_kind:     by_value
      - .address_space:  global
        .offset:         72
        .size:           8
        .value_kind:     global_buffer
      - .address_space:  global
        .offset:         80
        .size:           8
        .value_kind:     global_buffer
      - .offset:         88
        .size:           8
        .value_kind:     by_value
      - .offset:         96
        .size:           8
        .value_kind:     by_value
      - .offset:         104
        .size:           4
        .value_kind:     by_value
    .group_segment_fixed_size: 8192
    .kernarg_segment_align: 8
    .kernarg_segment_size: 108
    .language:       OpenCL C
    .language_version:
      - 2
      - 0
    .max_flat_workgroup_size: 256
    .name:           _ZL29rocblas_internal_gemmt_kernelIlLi16ELi32ELi8ELc67ELc84ELc85ELb1ELb0E19rocblas_complex_numIdEPKS1_S3_PS1_EviT_T9_T10_S5_lS7_S5_lS6_T11_S5_li
    .private_segment_fixed_size: 0
    .sgpr_count:     50
    .sgpr_spill_count: 0
    .symbol:         _ZL29rocblas_internal_gemmt_kernelIlLi16ELi32ELi8ELc67ELc84ELc85ELb1ELb0E19rocblas_complex_numIdEPKS1_S3_PS1_EviT_T9_T10_S5_lS7_S5_lS6_T11_S5_li.kd
    .uniform_work_group_size: 1
    .uses_dynamic_stack: false
    .vgpr_count:     64
    .vgpr_spill_count: 0
    .wavefront_size: 64
  - .agpr_count:     0
    .args:
      - .offset:         0
        .size:           4
        .value_kind:     by_value
      - .offset:         8
        .size:           8
        .value_kind:     by_value
      - .address_space:  global
        .offset:         16
        .size:           8
        .value_kind:     global_buffer
      - .address_space:  global
        .offset:         24
        .size:           8
        .value_kind:     global_buffer
      - .offset:         32
        .size:           8
        .value_kind:     by_value
      - .offset:         40
        .size:           8
        .value_kind:     by_value
      - .address_space:  global
        .offset:         48
        .size:           8
        .value_kind:     global_buffer
      - .offset:         56
        .size:           8
        .value_kind:     by_value
      - .offset:         64
        .size:           8
        .value_kind:     by_value
      - .address_space:  global
        .offset:         72
        .size:           8
        .value_kind:     global_buffer
      - .address_space:  global
        .offset:         80
        .size:           8
        .value_kind:     global_buffer
      - .offset:         88
        .size:           8
        .value_kind:     by_value
      - .offset:         96
        .size:           8
        .value_kind:     by_value
      - .offset:         104
        .size:           4
        .value_kind:     by_value
    .group_segment_fixed_size: 8192
    .kernarg_segment_align: 8
    .kernarg_segment_size: 108
    .language:       OpenCL C
    .language_version:
      - 2
      - 0
    .max_flat_workgroup_size: 256
    .name:           _ZL29rocblas_internal_gemmt_kernelIlLi16ELi32ELi8ELc67ELc67ELc85ELb1ELb1E19rocblas_complex_numIdEPKS1_S3_PS1_EviT_T9_T10_S5_lS7_S5_lS6_T11_S5_li
    .private_segment_fixed_size: 0
    .sgpr_count:     50
    .sgpr_spill_count: 0
    .symbol:         _ZL29rocblas_internal_gemmt_kernelIlLi16ELi32ELi8ELc67ELc67ELc85ELb1ELb1E19rocblas_complex_numIdEPKS1_S3_PS1_EviT_T9_T10_S5_lS7_S5_lS6_T11_S5_li.kd
    .uniform_work_group_size: 1
    .uses_dynamic_stack: false
    .vgpr_count:     60
    .vgpr_spill_count: 0
    .wavefront_size: 64
  - .agpr_count:     0
    .args:
      - .offset:         0
        .size:           4
        .value_kind:     by_value
      - .offset:         8
        .size:           8
        .value_kind:     by_value
      - .address_space:  global
        .offset:         16
        .size:           8
        .value_kind:     global_buffer
      - .address_space:  global
        .offset:         24
        .size:           8
        .value_kind:     global_buffer
      - .offset:         32
        .size:           8
        .value_kind:     by_value
      - .offset:         40
        .size:           8
        .value_kind:     by_value
      - .address_space:  global
        .offset:         48
        .size:           8
        .value_kind:     global_buffer
      - .offset:         56
        .size:           8
        .value_kind:     by_value
      - .offset:         64
        .size:           8
        .value_kind:     by_value
      - .address_space:  global
        .offset:         72
        .size:           8
        .value_kind:     global_buffer
      - .address_space:  global
        .offset:         80
        .size:           8
        .value_kind:     global_buffer
      - .offset:         88
        .size:           8
        .value_kind:     by_value
      - .offset:         96
        .size:           8
        .value_kind:     by_value
      - .offset:         104
        .size:           4
        .value_kind:     by_value
    .group_segment_fixed_size: 8192
    .kernarg_segment_align: 8
    .kernarg_segment_size: 108
    .language:       OpenCL C
    .language_version:
      - 2
      - 0
    .max_flat_workgroup_size: 256
    .name:           _ZL29rocblas_internal_gemmt_kernelIlLi16ELi32ELi8ELc78ELc78ELc76ELb0ELb0E19rocblas_complex_numIdEPKS1_S3_PS1_EviT_T9_T10_S5_lS7_S5_lS6_T11_S5_li
    .private_segment_fixed_size: 0
    .sgpr_count:     50
    .sgpr_spill_count: 0
    .symbol:         _ZL29rocblas_internal_gemmt_kernelIlLi16ELi32ELi8ELc78ELc78ELc76ELb0ELb0E19rocblas_complex_numIdEPKS1_S3_PS1_EviT_T9_T10_S5_lS7_S5_lS6_T11_S5_li.kd
    .uniform_work_group_size: 1
    .uses_dynamic_stack: false
    .vgpr_count:     62
    .vgpr_spill_count: 0
    .wavefront_size: 64
  - .agpr_count:     0
    .args:
      - .offset:         0
        .size:           4
        .value_kind:     by_value
      - .offset:         8
        .size:           8
        .value_kind:     by_value
      - .address_space:  global
        .offset:         16
        .size:           8
        .value_kind:     global_buffer
      - .address_space:  global
        .offset:         24
        .size:           8
        .value_kind:     global_buffer
      - .offset:         32
        .size:           8
        .value_kind:     by_value
      - .offset:         40
        .size:           8
        .value_kind:     by_value
      - .address_space:  global
        .offset:         48
        .size:           8
        .value_kind:     global_buffer
      - .offset:         56
        .size:           8
        .value_kind:     by_value
      - .offset:         64
        .size:           8
        .value_kind:     by_value
      - .address_space:  global
        .offset:         72
        .size:           8
        .value_kind:     global_buffer
      - .address_space:  global
        .offset:         80
        .size:           8
        .value_kind:     global_buffer
      - .offset:         88
        .size:           8
        .value_kind:     by_value
      - .offset:         96
        .size:           8
        .value_kind:     by_value
      - .offset:         104
        .size:           4
        .value_kind:     by_value
    .group_segment_fixed_size: 8192
    .kernarg_segment_align: 8
    .kernarg_segment_size: 108
    .language:       OpenCL C
    .language_version:
      - 2
      - 0
    .max_flat_workgroup_size: 256
    .name:           _ZL29rocblas_internal_gemmt_kernelIlLi16ELi32ELi8ELc78ELc84ELc76ELb0ELb0E19rocblas_complex_numIdEPKS1_S3_PS1_EviT_T9_T10_S5_lS7_S5_lS6_T11_S5_li
    .private_segment_fixed_size: 0
    .sgpr_count:     50
    .sgpr_spill_count: 0
    .symbol:         _ZL29rocblas_internal_gemmt_kernelIlLi16ELi32ELi8ELc78ELc84ELc76ELb0ELb0E19rocblas_complex_numIdEPKS1_S3_PS1_EviT_T9_T10_S5_lS7_S5_lS6_T11_S5_li.kd
    .uniform_work_group_size: 1
    .uses_dynamic_stack: false
    .vgpr_count:     62
    .vgpr_spill_count: 0
    .wavefront_size: 64
  - .agpr_count:     0
    .args:
      - .offset:         0
        .size:           4
        .value_kind:     by_value
      - .offset:         8
        .size:           8
        .value_kind:     by_value
      - .address_space:  global
        .offset:         16
        .size:           8
        .value_kind:     global_buffer
      - .address_space:  global
        .offset:         24
        .size:           8
        .value_kind:     global_buffer
      - .offset:         32
        .size:           8
        .value_kind:     by_value
      - .offset:         40
        .size:           8
        .value_kind:     by_value
      - .address_space:  global
        .offset:         48
        .size:           8
        .value_kind:     global_buffer
      - .offset:         56
        .size:           8
        .value_kind:     by_value
      - .offset:         64
        .size:           8
        .value_kind:     by_value
      - .address_space:  global
        .offset:         72
        .size:           8
        .value_kind:     global_buffer
      - .address_space:  global
        .offset:         80
        .size:           8
        .value_kind:     global_buffer
      - .offset:         88
        .size:           8
        .value_kind:     by_value
      - .offset:         96
        .size:           8
        .value_kind:     by_value
      - .offset:         104
        .size:           4
        .value_kind:     by_value
    .group_segment_fixed_size: 8192
    .kernarg_segment_align: 8
    .kernarg_segment_size: 108
    .language:       OpenCL C
    .language_version:
      - 2
      - 0
    .max_flat_workgroup_size: 256
    .name:           _ZL29rocblas_internal_gemmt_kernelIlLi16ELi32ELi8ELc78ELc67ELc76ELb0ELb1E19rocblas_complex_numIdEPKS1_S3_PS1_EviT_T9_T10_S5_lS7_S5_lS6_T11_S5_li
    .private_segment_fixed_size: 0
    .sgpr_count:     50
    .sgpr_spill_count: 0
    .symbol:         _ZL29rocblas_internal_gemmt_kernelIlLi16ELi32ELi8ELc78ELc67ELc76ELb0ELb1E19rocblas_complex_numIdEPKS1_S3_PS1_EviT_T9_T10_S5_lS7_S5_lS6_T11_S5_li.kd
    .uniform_work_group_size: 1
    .uses_dynamic_stack: false
    .vgpr_count:     66
    .vgpr_spill_count: 0
    .wavefront_size: 64
  - .agpr_count:     0
    .args:
      - .offset:         0
        .size:           4
        .value_kind:     by_value
      - .offset:         8
        .size:           8
        .value_kind:     by_value
      - .address_space:  global
        .offset:         16
        .size:           8
        .value_kind:     global_buffer
      - .address_space:  global
        .offset:         24
        .size:           8
        .value_kind:     global_buffer
      - .offset:         32
        .size:           8
        .value_kind:     by_value
      - .offset:         40
        .size:           8
        .value_kind:     by_value
      - .address_space:  global
        .offset:         48
        .size:           8
        .value_kind:     global_buffer
      - .offset:         56
        .size:           8
        .value_kind:     by_value
      - .offset:         64
        .size:           8
        .value_kind:     by_value
      - .address_space:  global
        .offset:         72
        .size:           8
        .value_kind:     global_buffer
      - .address_space:  global
        .offset:         80
        .size:           8
        .value_kind:     global_buffer
      - .offset:         88
        .size:           8
        .value_kind:     by_value
      - .offset:         96
        .size:           8
        .value_kind:     by_value
      - .offset:         104
        .size:           4
        .value_kind:     by_value
    .group_segment_fixed_size: 8192
    .kernarg_segment_align: 8
    .kernarg_segment_size: 108
    .language:       OpenCL C
    .language_version:
      - 2
      - 0
    .max_flat_workgroup_size: 256
    .name:           _ZL29rocblas_internal_gemmt_kernelIlLi16ELi32ELi8ELc84ELc78ELc76ELb0ELb0E19rocblas_complex_numIdEPKS1_S3_PS1_EviT_T9_T10_S5_lS7_S5_lS6_T11_S5_li
    .private_segment_fixed_size: 0
    .sgpr_count:     50
    .sgpr_spill_count: 0
    .symbol:         _ZL29rocblas_internal_gemmt_kernelIlLi16ELi32ELi8ELc84ELc78ELc76ELb0ELb0E19rocblas_complex_numIdEPKS1_S3_PS1_EviT_T9_T10_S5_lS7_S5_lS6_T11_S5_li.kd
    .uniform_work_group_size: 1
    .uses_dynamic_stack: false
    .vgpr_count:     62
    .vgpr_spill_count: 0
    .wavefront_size: 64
  - .agpr_count:     0
    .args:
      - .offset:         0
        .size:           4
        .value_kind:     by_value
      - .offset:         8
        .size:           8
        .value_kind:     by_value
      - .address_space:  global
        .offset:         16
        .size:           8
        .value_kind:     global_buffer
      - .address_space:  global
        .offset:         24
        .size:           8
        .value_kind:     global_buffer
      - .offset:         32
        .size:           8
        .value_kind:     by_value
      - .offset:         40
        .size:           8
        .value_kind:     by_value
      - .address_space:  global
        .offset:         48
        .size:           8
        .value_kind:     global_buffer
      - .offset:         56
        .size:           8
        .value_kind:     by_value
      - .offset:         64
        .size:           8
        .value_kind:     by_value
      - .address_space:  global
        .offset:         72
        .size:           8
        .value_kind:     global_buffer
      - .address_space:  global
        .offset:         80
        .size:           8
        .value_kind:     global_buffer
      - .offset:         88
        .size:           8
        .value_kind:     by_value
      - .offset:         96
        .size:           8
        .value_kind:     by_value
      - .offset:         104
        .size:           4
        .value_kind:     by_value
    .group_segment_fixed_size: 8192
    .kernarg_segment_align: 8
    .kernarg_segment_size: 108
    .language:       OpenCL C
    .language_version:
      - 2
      - 0
    .max_flat_workgroup_size: 256
    .name:           _ZL29rocblas_internal_gemmt_kernelIlLi16ELi32ELi8ELc84ELc84ELc76ELb0ELb0E19rocblas_complex_numIdEPKS1_S3_PS1_EviT_T9_T10_S5_lS7_S5_lS6_T11_S5_li
    .private_segment_fixed_size: 0
    .sgpr_count:     50
    .sgpr_spill_count: 0
    .symbol:         _ZL29rocblas_internal_gemmt_kernelIlLi16ELi32ELi8ELc84ELc84ELc76ELb0ELb0E19rocblas_complex_numIdEPKS1_S3_PS1_EviT_T9_T10_S5_lS7_S5_lS6_T11_S5_li.kd
    .uniform_work_group_size: 1
    .uses_dynamic_stack: false
    .vgpr_count:     62
    .vgpr_spill_count: 0
    .wavefront_size: 64
  - .agpr_count:     0
    .args:
      - .offset:         0
        .size:           4
        .value_kind:     by_value
      - .offset:         8
        .size:           8
        .value_kind:     by_value
      - .address_space:  global
        .offset:         16
        .size:           8
        .value_kind:     global_buffer
      - .address_space:  global
        .offset:         24
        .size:           8
        .value_kind:     global_buffer
      - .offset:         32
        .size:           8
        .value_kind:     by_value
      - .offset:         40
        .size:           8
        .value_kind:     by_value
      - .address_space:  global
        .offset:         48
        .size:           8
        .value_kind:     global_buffer
      - .offset:         56
        .size:           8
        .value_kind:     by_value
      - .offset:         64
        .size:           8
        .value_kind:     by_value
      - .address_space:  global
        .offset:         72
        .size:           8
        .value_kind:     global_buffer
      - .address_space:  global
        .offset:         80
        .size:           8
        .value_kind:     global_buffer
      - .offset:         88
        .size:           8
        .value_kind:     by_value
      - .offset:         96
        .size:           8
        .value_kind:     by_value
      - .offset:         104
        .size:           4
        .value_kind:     by_value
    .group_segment_fixed_size: 8192
    .kernarg_segment_align: 8
    .kernarg_segment_size: 108
    .language:       OpenCL C
    .language_version:
      - 2
      - 0
    .max_flat_workgroup_size: 256
    .name:           _ZL29rocblas_internal_gemmt_kernelIlLi16ELi32ELi8ELc84ELc67ELc76ELb0ELb1E19rocblas_complex_numIdEPKS1_S3_PS1_EviT_T9_T10_S5_lS7_S5_lS6_T11_S5_li
    .private_segment_fixed_size: 0
    .sgpr_count:     50
    .sgpr_spill_count: 0
    .symbol:         _ZL29rocblas_internal_gemmt_kernelIlLi16ELi32ELi8ELc84ELc67ELc76ELb0ELb1E19rocblas_complex_numIdEPKS1_S3_PS1_EviT_T9_T10_S5_lS7_S5_lS6_T11_S5_li.kd
    .uniform_work_group_size: 1
    .uses_dynamic_stack: false
    .vgpr_count:     66
    .vgpr_spill_count: 0
    .wavefront_size: 64
  - .agpr_count:     0
    .args:
      - .offset:         0
        .size:           4
        .value_kind:     by_value
      - .offset:         8
        .size:           8
        .value_kind:     by_value
      - .address_space:  global
        .offset:         16
        .size:           8
        .value_kind:     global_buffer
      - .address_space:  global
        .offset:         24
        .size:           8
        .value_kind:     global_buffer
      - .offset:         32
        .size:           8
        .value_kind:     by_value
      - .offset:         40
        .size:           8
        .value_kind:     by_value
      - .address_space:  global
        .offset:         48
        .size:           8
        .value_kind:     global_buffer
      - .offset:         56
        .size:           8
        .value_kind:     by_value
      - .offset:         64
        .size:           8
        .value_kind:     by_value
      - .address_space:  global
        .offset:         72
        .size:           8
        .value_kind:     global_buffer
      - .address_space:  global
        .offset:         80
        .size:           8
        .value_kind:     global_buffer
      - .offset:         88
        .size:           8
        .value_kind:     by_value
      - .offset:         96
        .size:           8
        .value_kind:     by_value
      - .offset:         104
        .size:           4
        .value_kind:     by_value
    .group_segment_fixed_size: 8192
    .kernarg_segment_align: 8
    .kernarg_segment_size: 108
    .language:       OpenCL C
    .language_version:
      - 2
      - 0
    .max_flat_workgroup_size: 256
    .name:           _ZL29rocblas_internal_gemmt_kernelIlLi16ELi32ELi8ELc67ELc78ELc76ELb1ELb0E19rocblas_complex_numIdEPKS1_S3_PS1_EviT_T9_T10_S5_lS7_S5_lS6_T11_S5_li
    .private_segment_fixed_size: 0
    .sgpr_count:     50
    .sgpr_spill_count: 0
    .symbol:         _ZL29rocblas_internal_gemmt_kernelIlLi16ELi32ELi8ELc67ELc78ELc76ELb1ELb0E19rocblas_complex_numIdEPKS1_S3_PS1_EviT_T9_T10_S5_lS7_S5_lS6_T11_S5_li.kd
    .uniform_work_group_size: 1
    .uses_dynamic_stack: false
    .vgpr_count:     64
    .vgpr_spill_count: 0
    .wavefront_size: 64
  - .agpr_count:     0
    .args:
      - .offset:         0
        .size:           4
        .value_kind:     by_value
      - .offset:         8
        .size:           8
        .value_kind:     by_value
      - .address_space:  global
        .offset:         16
        .size:           8
        .value_kind:     global_buffer
      - .address_space:  global
        .offset:         24
        .size:           8
        .value_kind:     global_buffer
      - .offset:         32
        .size:           8
        .value_kind:     by_value
      - .offset:         40
        .size:           8
        .value_kind:     by_value
      - .address_space:  global
        .offset:         48
        .size:           8
        .value_kind:     global_buffer
      - .offset:         56
        .size:           8
        .value_kind:     by_value
      - .offset:         64
        .size:           8
        .value_kind:     by_value
      - .address_space:  global
        .offset:         72
        .size:           8
        .value_kind:     global_buffer
      - .address_space:  global
        .offset:         80
        .size:           8
        .value_kind:     global_buffer
      - .offset:         88
        .size:           8
        .value_kind:     by_value
      - .offset:         96
        .size:           8
        .value_kind:     by_value
      - .offset:         104
        .size:           4
        .value_kind:     by_value
    .group_segment_fixed_size: 8192
    .kernarg_segment_align: 8
    .kernarg_segment_size: 108
    .language:       OpenCL C
    .language_version:
      - 2
      - 0
    .max_flat_workgroup_size: 256
    .name:           _ZL29rocblas_internal_gemmt_kernelIlLi16ELi32ELi8ELc67ELc84ELc76ELb1ELb0E19rocblas_complex_numIdEPKS1_S3_PS1_EviT_T9_T10_S5_lS7_S5_lS6_T11_S5_li
    .private_segment_fixed_size: 0
    .sgpr_count:     50
    .sgpr_spill_count: 0
    .symbol:         _ZL29rocblas_internal_gemmt_kernelIlLi16ELi32ELi8ELc67ELc84ELc76ELb1ELb0E19rocblas_complex_numIdEPKS1_S3_PS1_EviT_T9_T10_S5_lS7_S5_lS6_T11_S5_li.kd
    .uniform_work_group_size: 1
    .uses_dynamic_stack: false
    .vgpr_count:     64
    .vgpr_spill_count: 0
    .wavefront_size: 64
  - .agpr_count:     0
    .args:
      - .offset:         0
        .size:           4
        .value_kind:     by_value
      - .offset:         8
        .size:           8
        .value_kind:     by_value
      - .address_space:  global
        .offset:         16
        .size:           8
        .value_kind:     global_buffer
      - .address_space:  global
        .offset:         24
        .size:           8
        .value_kind:     global_buffer
      - .offset:         32
        .size:           8
        .value_kind:     by_value
      - .offset:         40
        .size:           8
        .value_kind:     by_value
      - .address_space:  global
        .offset:         48
        .size:           8
        .value_kind:     global_buffer
      - .offset:         56
        .size:           8
        .value_kind:     by_value
      - .offset:         64
        .size:           8
        .value_kind:     by_value
      - .address_space:  global
        .offset:         72
        .size:           8
        .value_kind:     global_buffer
      - .address_space:  global
        .offset:         80
        .size:           8
        .value_kind:     global_buffer
      - .offset:         88
        .size:           8
        .value_kind:     by_value
      - .offset:         96
        .size:           8
        .value_kind:     by_value
      - .offset:         104
        .size:           4
        .value_kind:     by_value
    .group_segment_fixed_size: 8192
    .kernarg_segment_align: 8
    .kernarg_segment_size: 108
    .language:       OpenCL C
    .language_version:
      - 2
      - 0
    .max_flat_workgroup_size: 256
    .name:           _ZL29rocblas_internal_gemmt_kernelIlLi16ELi32ELi8ELc67ELc67ELc76ELb1ELb1E19rocblas_complex_numIdEPKS1_S3_PS1_EviT_T9_T10_S5_lS7_S5_lS6_T11_S5_li
    .private_segment_fixed_size: 0
    .sgpr_count:     50
    .sgpr_spill_count: 0
    .symbol:         _ZL29rocblas_internal_gemmt_kernelIlLi16ELi32ELi8ELc67ELc67ELc76ELb1ELb1E19rocblas_complex_numIdEPKS1_S3_PS1_EviT_T9_T10_S5_lS7_S5_lS6_T11_S5_li.kd
    .uniform_work_group_size: 1
    .uses_dynamic_stack: false
    .vgpr_count:     60
    .vgpr_spill_count: 0
    .wavefront_size: 64
  - .agpr_count:     0
    .args:
      - .offset:         0
        .size:           4
        .value_kind:     by_value
      - .offset:         8
        .size:           8
        .value_kind:     by_value
      - .offset:         16
        .size:           16
        .value_kind:     by_value
      - .address_space:  global
        .offset:         32
        .size:           8
        .value_kind:     global_buffer
      - .offset:         40
        .size:           8
        .value_kind:     by_value
      - .offset:         48
        .size:           8
        .value_kind:     by_value
      - .address_space:  global
        .offset:         56
        .size:           8
        .value_kind:     global_buffer
      - .offset:         64
        .size:           8
        .value_kind:     by_value
      - .offset:         72
        .size:           8
        .value_kind:     by_value
      - .offset:         80
        .size:           16
        .value_kind:     by_value
      - .address_space:  global
        .offset:         96
        .size:           8
        .value_kind:     global_buffer
      - .offset:         104
        .size:           8
        .value_kind:     by_value
      - .offset:         112
        .size:           8
        .value_kind:     by_value
      - .offset:         120
        .size:           4
        .value_kind:     by_value
    .group_segment_fixed_size: 8192
    .kernarg_segment_align: 8
    .kernarg_segment_size: 124
    .language:       OpenCL C
    .language_version:
      - 2
      - 0
    .max_flat_workgroup_size: 256
    .name:           _ZL29rocblas_internal_gemmt_kernelIlLi16ELi32ELi8ELc78ELc78ELc85ELb0ELb0E19rocblas_complex_numIdES1_PKS1_PS1_EviT_T9_T10_S5_lS7_S5_lS6_T11_S5_li
    .private_segment_fixed_size: 0
    .sgpr_count:     48
    .sgpr_spill_count: 0
    .symbol:         _ZL29rocblas_internal_gemmt_kernelIlLi16ELi32ELi8ELc78ELc78ELc85ELb0ELb0E19rocblas_complex_numIdES1_PKS1_PS1_EviT_T9_T10_S5_lS7_S5_lS6_T11_S5_li.kd
    .uniform_work_group_size: 1
    .uses_dynamic_stack: false
    .vgpr_count:     62
    .vgpr_spill_count: 0
    .wavefront_size: 64
  - .agpr_count:     0
    .args:
      - .offset:         0
        .size:           4
        .value_kind:     by_value
      - .offset:         8
        .size:           8
        .value_kind:     by_value
      - .offset:         16
        .size:           16
        .value_kind:     by_value
      - .address_space:  global
        .offset:         32
        .size:           8
        .value_kind:     global_buffer
      - .offset:         40
        .size:           8
        .value_kind:     by_value
      - .offset:         48
        .size:           8
        .value_kind:     by_value
      - .address_space:  global
        .offset:         56
        .size:           8
        .value_kind:     global_buffer
      - .offset:         64
        .size:           8
        .value_kind:     by_value
      - .offset:         72
        .size:           8
        .value_kind:     by_value
      - .offset:         80
        .size:           16
        .value_kind:     by_value
      - .address_space:  global
        .offset:         96
        .size:           8
        .value_kind:     global_buffer
      - .offset:         104
        .size:           8
        .value_kind:     by_value
      - .offset:         112
        .size:           8
        .value_kind:     by_value
      - .offset:         120
        .size:           4
        .value_kind:     by_value
    .group_segment_fixed_size: 8192
    .kernarg_segment_align: 8
    .kernarg_segment_size: 124
    .language:       OpenCL C
    .language_version:
      - 2
      - 0
    .max_flat_workgroup_size: 256
    .name:           _ZL29rocblas_internal_gemmt_kernelIlLi16ELi32ELi8ELc78ELc84ELc85ELb0ELb0E19rocblas_complex_numIdES1_PKS1_PS1_EviT_T9_T10_S5_lS7_S5_lS6_T11_S5_li
    .private_segment_fixed_size: 0
    .sgpr_count:     50
    .sgpr_spill_count: 0
    .symbol:         _ZL29rocblas_internal_gemmt_kernelIlLi16ELi32ELi8ELc78ELc84ELc85ELb0ELb0E19rocblas_complex_numIdES1_PKS1_PS1_EviT_T9_T10_S5_lS7_S5_lS6_T11_S5_li.kd
    .uniform_work_group_size: 1
    .uses_dynamic_stack: false
    .vgpr_count:     62
    .vgpr_spill_count: 0
    .wavefront_size: 64
  - .agpr_count:     0
    .args:
      - .offset:         0
        .size:           4
        .value_kind:     by_value
      - .offset:         8
        .size:           8
        .value_kind:     by_value
      - .offset:         16
        .size:           16
        .value_kind:     by_value
      - .address_space:  global
        .offset:         32
        .size:           8
        .value_kind:     global_buffer
      - .offset:         40
        .size:           8
        .value_kind:     by_value
      - .offset:         48
        .size:           8
        .value_kind:     by_value
      - .address_space:  global
        .offset:         56
        .size:           8
        .value_kind:     global_buffer
      - .offset:         64
        .size:           8
        .value_kind:     by_value
      - .offset:         72
        .size:           8
        .value_kind:     by_value
      - .offset:         80
        .size:           16
        .value_kind:     by_value
      - .address_space:  global
        .offset:         96
        .size:           8
        .value_kind:     global_buffer
      - .offset:         104
        .size:           8
        .value_kind:     by_value
      - .offset:         112
        .size:           8
        .value_kind:     by_value
      - .offset:         120
        .size:           4
        .value_kind:     by_value
    .group_segment_fixed_size: 8192
    .kernarg_segment_align: 8
    .kernarg_segment_size: 124
    .language:       OpenCL C
    .language_version:
      - 2
      - 0
    .max_flat_workgroup_size: 256
    .name:           _ZL29rocblas_internal_gemmt_kernelIlLi16ELi32ELi8ELc78ELc67ELc85ELb0ELb1E19rocblas_complex_numIdES1_PKS1_PS1_EviT_T9_T10_S5_lS7_S5_lS6_T11_S5_li
    .private_segment_fixed_size: 0
    .sgpr_count:     50
    .sgpr_spill_count: 0
    .symbol:         _ZL29rocblas_internal_gemmt_kernelIlLi16ELi32ELi8ELc78ELc67ELc85ELb0ELb1E19rocblas_complex_numIdES1_PKS1_PS1_EviT_T9_T10_S5_lS7_S5_lS6_T11_S5_li.kd
    .uniform_work_group_size: 1
    .uses_dynamic_stack: false
    .vgpr_count:     66
    .vgpr_spill_count: 0
    .wavefront_size: 64
  - .agpr_count:     0
    .args:
      - .offset:         0
        .size:           4
        .value_kind:     by_value
      - .offset:         8
        .size:           8
        .value_kind:     by_value
      - .offset:         16
        .size:           16
        .value_kind:     by_value
      - .address_space:  global
        .offset:         32
        .size:           8
        .value_kind:     global_buffer
      - .offset:         40
        .size:           8
        .value_kind:     by_value
      - .offset:         48
        .size:           8
        .value_kind:     by_value
      - .address_space:  global
        .offset:         56
        .size:           8
        .value_kind:     global_buffer
      - .offset:         64
        .size:           8
        .value_kind:     by_value
      - .offset:         72
        .size:           8
        .value_kind:     by_value
      - .offset:         80
        .size:           16
        .value_kind:     by_value
      - .address_space:  global
        .offset:         96
        .size:           8
        .value_kind:     global_buffer
      - .offset:         104
        .size:           8
        .value_kind:     by_value
      - .offset:         112
        .size:           8
        .value_kind:     by_value
      - .offset:         120
        .size:           4
        .value_kind:     by_value
    .group_segment_fixed_size: 8192
    .kernarg_segment_align: 8
    .kernarg_segment_size: 124
    .language:       OpenCL C
    .language_version:
      - 2
      - 0
    .max_flat_workgroup_size: 256
    .name:           _ZL29rocblas_internal_gemmt_kernelIlLi16ELi32ELi8ELc84ELc78ELc85ELb0ELb0E19rocblas_complex_numIdES1_PKS1_PS1_EviT_T9_T10_S5_lS7_S5_lS6_T11_S5_li
    .private_segment_fixed_size: 0
    .sgpr_count:     46
    .sgpr_spill_count: 0
    .symbol:         _ZL29rocblas_internal_gemmt_kernelIlLi16ELi32ELi8ELc84ELc78ELc85ELb0ELb0E19rocblas_complex_numIdES1_PKS1_PS1_EviT_T9_T10_S5_lS7_S5_lS6_T11_S5_li.kd
    .uniform_work_group_size: 1
    .uses_dynamic_stack: false
    .vgpr_count:     62
    .vgpr_spill_count: 0
    .wavefront_size: 64
  - .agpr_count:     0
    .args:
      - .offset:         0
        .size:           4
        .value_kind:     by_value
      - .offset:         8
        .size:           8
        .value_kind:     by_value
      - .offset:         16
        .size:           16
        .value_kind:     by_value
      - .address_space:  global
        .offset:         32
        .size:           8
        .value_kind:     global_buffer
      - .offset:         40
        .size:           8
        .value_kind:     by_value
      - .offset:         48
        .size:           8
        .value_kind:     by_value
      - .address_space:  global
        .offset:         56
        .size:           8
        .value_kind:     global_buffer
      - .offset:         64
        .size:           8
        .value_kind:     by_value
      - .offset:         72
        .size:           8
        .value_kind:     by_value
      - .offset:         80
        .size:           16
        .value_kind:     by_value
      - .address_space:  global
        .offset:         96
        .size:           8
        .value_kind:     global_buffer
      - .offset:         104
        .size:           8
        .value_kind:     by_value
      - .offset:         112
        .size:           8
        .value_kind:     by_value
      - .offset:         120
        .size:           4
        .value_kind:     by_value
    .group_segment_fixed_size: 8192
    .kernarg_segment_align: 8
    .kernarg_segment_size: 124
    .language:       OpenCL C
    .language_version:
      - 2
      - 0
    .max_flat_workgroup_size: 256
    .name:           _ZL29rocblas_internal_gemmt_kernelIlLi16ELi32ELi8ELc84ELc84ELc85ELb0ELb0E19rocblas_complex_numIdES1_PKS1_PS1_EviT_T9_T10_S5_lS7_S5_lS6_T11_S5_li
    .private_segment_fixed_size: 0
    .sgpr_count:     48
    .sgpr_spill_count: 0
    .symbol:         _ZL29rocblas_internal_gemmt_kernelIlLi16ELi32ELi8ELc84ELc84ELc85ELb0ELb0E19rocblas_complex_numIdES1_PKS1_PS1_EviT_T9_T10_S5_lS7_S5_lS6_T11_S5_li.kd
    .uniform_work_group_size: 1
    .uses_dynamic_stack: false
    .vgpr_count:     62
    .vgpr_spill_count: 0
    .wavefront_size: 64
  - .agpr_count:     0
    .args:
      - .offset:         0
        .size:           4
        .value_kind:     by_value
      - .offset:         8
        .size:           8
        .value_kind:     by_value
      - .offset:         16
        .size:           16
        .value_kind:     by_value
      - .address_space:  global
        .offset:         32
        .size:           8
        .value_kind:     global_buffer
      - .offset:         40
        .size:           8
        .value_kind:     by_value
      - .offset:         48
        .size:           8
        .value_kind:     by_value
      - .address_space:  global
        .offset:         56
        .size:           8
        .value_kind:     global_buffer
      - .offset:         64
        .size:           8
        .value_kind:     by_value
      - .offset:         72
        .size:           8
        .value_kind:     by_value
      - .offset:         80
        .size:           16
        .value_kind:     by_value
      - .address_space:  global
        .offset:         96
        .size:           8
        .value_kind:     global_buffer
      - .offset:         104
        .size:           8
        .value_kind:     by_value
      - .offset:         112
        .size:           8
        .value_kind:     by_value
      - .offset:         120
        .size:           4
        .value_kind:     by_value
    .group_segment_fixed_size: 8192
    .kernarg_segment_align: 8
    .kernarg_segment_size: 124
    .language:       OpenCL C
    .language_version:
      - 2
      - 0
    .max_flat_workgroup_size: 256
    .name:           _ZL29rocblas_internal_gemmt_kernelIlLi16ELi32ELi8ELc84ELc67ELc85ELb0ELb1E19rocblas_complex_numIdES1_PKS1_PS1_EviT_T9_T10_S5_lS7_S5_lS6_T11_S5_li
    .private_segment_fixed_size: 0
    .sgpr_count:     48
    .sgpr_spill_count: 0
    .symbol:         _ZL29rocblas_internal_gemmt_kernelIlLi16ELi32ELi8ELc84ELc67ELc85ELb0ELb1E19rocblas_complex_numIdES1_PKS1_PS1_EviT_T9_T10_S5_lS7_S5_lS6_T11_S5_li.kd
    .uniform_work_group_size: 1
    .uses_dynamic_stack: false
    .vgpr_count:     66
    .vgpr_spill_count: 0
    .wavefront_size: 64
  - .agpr_count:     0
    .args:
      - .offset:         0
        .size:           4
        .value_kind:     by_value
      - .offset:         8
        .size:           8
        .value_kind:     by_value
      - .offset:         16
        .size:           16
        .value_kind:     by_value
      - .address_space:  global
        .offset:         32
        .size:           8
        .value_kind:     global_buffer
      - .offset:         40
        .size:           8
        .value_kind:     by_value
      - .offset:         48
        .size:           8
        .value_kind:     by_value
      - .address_space:  global
        .offset:         56
        .size:           8
        .value_kind:     global_buffer
      - .offset:         64
        .size:           8
        .value_kind:     by_value
      - .offset:         72
        .size:           8
        .value_kind:     by_value
      - .offset:         80
        .size:           16
        .value_kind:     by_value
      - .address_space:  global
        .offset:         96
        .size:           8
        .value_kind:     global_buffer
      - .offset:         104
        .size:           8
        .value_kind:     by_value
      - .offset:         112
        .size:           8
        .value_kind:     by_value
      - .offset:         120
        .size:           4
        .value_kind:     by_value
    .group_segment_fixed_size: 8192
    .kernarg_segment_align: 8
    .kernarg_segment_size: 124
    .language:       OpenCL C
    .language_version:
      - 2
      - 0
    .max_flat_workgroup_size: 256
    .name:           _ZL29rocblas_internal_gemmt_kernelIlLi16ELi32ELi8ELc67ELc78ELc85ELb1ELb0E19rocblas_complex_numIdES1_PKS1_PS1_EviT_T9_T10_S5_lS7_S5_lS6_T11_S5_li
    .private_segment_fixed_size: 0
    .sgpr_count:     46
    .sgpr_spill_count: 0
    .symbol:         _ZL29rocblas_internal_gemmt_kernelIlLi16ELi32ELi8ELc67ELc78ELc85ELb1ELb0E19rocblas_complex_numIdES1_PKS1_PS1_EviT_T9_T10_S5_lS7_S5_lS6_T11_S5_li.kd
    .uniform_work_group_size: 1
    .uses_dynamic_stack: false
    .vgpr_count:     64
    .vgpr_spill_count: 0
    .wavefront_size: 64
  - .agpr_count:     0
    .args:
      - .offset:         0
        .size:           4
        .value_kind:     by_value
      - .offset:         8
        .size:           8
        .value_kind:     by_value
      - .offset:         16
        .size:           16
        .value_kind:     by_value
      - .address_space:  global
        .offset:         32
        .size:           8
        .value_kind:     global_buffer
      - .offset:         40
        .size:           8
        .value_kind:     by_value
      - .offset:         48
        .size:           8
        .value_kind:     by_value
      - .address_space:  global
        .offset:         56
        .size:           8
        .value_kind:     global_buffer
      - .offset:         64
        .size:           8
        .value_kind:     by_value
      - .offset:         72
        .size:           8
        .value_kind:     by_value
      - .offset:         80
        .size:           16
        .value_kind:     by_value
      - .address_space:  global
        .offset:         96
        .size:           8
        .value_kind:     global_buffer
      - .offset:         104
        .size:           8
        .value_kind:     by_value
      - .offset:         112
        .size:           8
        .value_kind:     by_value
      - .offset:         120
        .size:           4
        .value_kind:     by_value
    .group_segment_fixed_size: 8192
    .kernarg_segment_align: 8
    .kernarg_segment_size: 124
    .language:       OpenCL C
    .language_version:
      - 2
      - 0
    .max_flat_workgroup_size: 256
    .name:           _ZL29rocblas_internal_gemmt_kernelIlLi16ELi32ELi8ELc67ELc84ELc85ELb1ELb0E19rocblas_complex_numIdES1_PKS1_PS1_EviT_T9_T10_S5_lS7_S5_lS6_T11_S5_li
    .private_segment_fixed_size: 0
    .sgpr_count:     46
    .sgpr_spill_count: 0
    .symbol:         _ZL29rocblas_internal_gemmt_kernelIlLi16ELi32ELi8ELc67ELc84ELc85ELb1ELb0E19rocblas_complex_numIdES1_PKS1_PS1_EviT_T9_T10_S5_lS7_S5_lS6_T11_S5_li.kd
    .uniform_work_group_size: 1
    .uses_dynamic_stack: false
    .vgpr_count:     64
    .vgpr_spill_count: 0
    .wavefront_size: 64
  - .agpr_count:     0
    .args:
      - .offset:         0
        .size:           4
        .value_kind:     by_value
      - .offset:         8
        .size:           8
        .value_kind:     by_value
      - .offset:         16
        .size:           16
        .value_kind:     by_value
      - .address_space:  global
        .offset:         32
        .size:           8
        .value_kind:     global_buffer
      - .offset:         40
        .size:           8
        .value_kind:     by_value
      - .offset:         48
        .size:           8
        .value_kind:     by_value
      - .address_space:  global
        .offset:         56
        .size:           8
        .value_kind:     global_buffer
      - .offset:         64
        .size:           8
        .value_kind:     by_value
      - .offset:         72
        .size:           8
        .value_kind:     by_value
      - .offset:         80
        .size:           16
        .value_kind:     by_value
      - .address_space:  global
        .offset:         96
        .size:           8
        .value_kind:     global_buffer
      - .offset:         104
        .size:           8
        .value_kind:     by_value
      - .offset:         112
        .size:           8
        .value_kind:     by_value
      - .offset:         120
        .size:           4
        .value_kind:     by_value
    .group_segment_fixed_size: 8192
    .kernarg_segment_align: 8
    .kernarg_segment_size: 124
    .language:       OpenCL C
    .language_version:
      - 2
      - 0
    .max_flat_workgroup_size: 256
    .name:           _ZL29rocblas_internal_gemmt_kernelIlLi16ELi32ELi8ELc67ELc67ELc85ELb1ELb1E19rocblas_complex_numIdES1_PKS1_PS1_EviT_T9_T10_S5_lS7_S5_lS6_T11_S5_li
    .private_segment_fixed_size: 0
    .sgpr_count:     46
    .sgpr_spill_count: 0
    .symbol:         _ZL29rocblas_internal_gemmt_kernelIlLi16ELi32ELi8ELc67ELc67ELc85ELb1ELb1E19rocblas_complex_numIdES1_PKS1_PS1_EviT_T9_T10_S5_lS7_S5_lS6_T11_S5_li.kd
    .uniform_work_group_size: 1
    .uses_dynamic_stack: false
    .vgpr_count:     60
    .vgpr_spill_count: 0
    .wavefront_size: 64
  - .agpr_count:     0
    .args:
      - .offset:         0
        .size:           4
        .value_kind:     by_value
      - .offset:         8
        .size:           8
        .value_kind:     by_value
      - .offset:         16
        .size:           16
        .value_kind:     by_value
      - .address_space:  global
        .offset:         32
        .size:           8
        .value_kind:     global_buffer
      - .offset:         40
        .size:           8
        .value_kind:     by_value
      - .offset:         48
        .size:           8
        .value_kind:     by_value
      - .address_space:  global
        .offset:         56
        .size:           8
        .value_kind:     global_buffer
      - .offset:         64
        .size:           8
        .value_kind:     by_value
      - .offset:         72
        .size:           8
        .value_kind:     by_value
      - .offset:         80
        .size:           16
        .value_kind:     by_value
      - .address_space:  global
        .offset:         96
        .size:           8
        .value_kind:     global_buffer
      - .offset:         104
        .size:           8
        .value_kind:     by_value
      - .offset:         112
        .size:           8
        .value_kind:     by_value
      - .offset:         120
        .size:           4
        .value_kind:     by_value
    .group_segment_fixed_size: 8192
    .kernarg_segment_align: 8
    .kernarg_segment_size: 124
    .language:       OpenCL C
    .language_version:
      - 2
      - 0
    .max_flat_workgroup_size: 256
    .name:           _ZL29rocblas_internal_gemmt_kernelIlLi16ELi32ELi8ELc78ELc78ELc76ELb0ELb0E19rocblas_complex_numIdES1_PKS1_PS1_EviT_T9_T10_S5_lS7_S5_lS6_T11_S5_li
    .private_segment_fixed_size: 0
    .sgpr_count:     48
    .sgpr_spill_count: 0
    .symbol:         _ZL29rocblas_internal_gemmt_kernelIlLi16ELi32ELi8ELc78ELc78ELc76ELb0ELb0E19rocblas_complex_numIdES1_PKS1_PS1_EviT_T9_T10_S5_lS7_S5_lS6_T11_S5_li.kd
    .uniform_work_group_size: 1
    .uses_dynamic_stack: false
    .vgpr_count:     62
    .vgpr_spill_count: 0
    .wavefront_size: 64
  - .agpr_count:     0
    .args:
      - .offset:         0
        .size:           4
        .value_kind:     by_value
      - .offset:         8
        .size:           8
        .value_kind:     by_value
      - .offset:         16
        .size:           16
        .value_kind:     by_value
      - .address_space:  global
        .offset:         32
        .size:           8
        .value_kind:     global_buffer
      - .offset:         40
        .size:           8
        .value_kind:     by_value
      - .offset:         48
        .size:           8
        .value_kind:     by_value
      - .address_space:  global
        .offset:         56
        .size:           8
        .value_kind:     global_buffer
      - .offset:         64
        .size:           8
        .value_kind:     by_value
      - .offset:         72
        .size:           8
        .value_kind:     by_value
      - .offset:         80
        .size:           16
        .value_kind:     by_value
      - .address_space:  global
        .offset:         96
        .size:           8
        .value_kind:     global_buffer
      - .offset:         104
        .size:           8
        .value_kind:     by_value
      - .offset:         112
        .size:           8
        .value_kind:     by_value
      - .offset:         120
        .size:           4
        .value_kind:     by_value
    .group_segment_fixed_size: 8192
    .kernarg_segment_align: 8
    .kernarg_segment_size: 124
    .language:       OpenCL C
    .language_version:
      - 2
      - 0
    .max_flat_workgroup_size: 256
    .name:           _ZL29rocblas_internal_gemmt_kernelIlLi16ELi32ELi8ELc78ELc84ELc76ELb0ELb0E19rocblas_complex_numIdES1_PKS1_PS1_EviT_T9_T10_S5_lS7_S5_lS6_T11_S5_li
    .private_segment_fixed_size: 0
    .sgpr_count:     50
    .sgpr_spill_count: 0
    .symbol:         _ZL29rocblas_internal_gemmt_kernelIlLi16ELi32ELi8ELc78ELc84ELc76ELb0ELb0E19rocblas_complex_numIdES1_PKS1_PS1_EviT_T9_T10_S5_lS7_S5_lS6_T11_S5_li.kd
    .uniform_work_group_size: 1
    .uses_dynamic_stack: false
    .vgpr_count:     62
    .vgpr_spill_count: 0
    .wavefront_size: 64
  - .agpr_count:     0
    .args:
      - .offset:         0
        .size:           4
        .value_kind:     by_value
      - .offset:         8
        .size:           8
        .value_kind:     by_value
      - .offset:         16
        .size:           16
        .value_kind:     by_value
      - .address_space:  global
        .offset:         32
        .size:           8
        .value_kind:     global_buffer
      - .offset:         40
        .size:           8
        .value_kind:     by_value
      - .offset:         48
        .size:           8
        .value_kind:     by_value
      - .address_space:  global
        .offset:         56
        .size:           8
        .value_kind:     global_buffer
      - .offset:         64
        .size:           8
        .value_kind:     by_value
      - .offset:         72
        .size:           8
        .value_kind:     by_value
      - .offset:         80
        .size:           16
        .value_kind:     by_value
      - .address_space:  global
        .offset:         96
        .size:           8
        .value_kind:     global_buffer
      - .offset:         104
        .size:           8
        .value_kind:     by_value
      - .offset:         112
        .size:           8
        .value_kind:     by_value
      - .offset:         120
        .size:           4
        .value_kind:     by_value
    .group_segment_fixed_size: 8192
    .kernarg_segment_align: 8
    .kernarg_segment_size: 124
    .language:       OpenCL C
    .language_version:
      - 2
      - 0
    .max_flat_workgroup_size: 256
    .name:           _ZL29rocblas_internal_gemmt_kernelIlLi16ELi32ELi8ELc78ELc67ELc76ELb0ELb1E19rocblas_complex_numIdES1_PKS1_PS1_EviT_T9_T10_S5_lS7_S5_lS6_T11_S5_li
    .private_segment_fixed_size: 0
    .sgpr_count:     50
    .sgpr_spill_count: 0
    .symbol:         _ZL29rocblas_internal_gemmt_kernelIlLi16ELi32ELi8ELc78ELc67ELc76ELb0ELb1E19rocblas_complex_numIdES1_PKS1_PS1_EviT_T9_T10_S5_lS7_S5_lS6_T11_S5_li.kd
    .uniform_work_group_size: 1
    .uses_dynamic_stack: false
    .vgpr_count:     66
    .vgpr_spill_count: 0
    .wavefront_size: 64
  - .agpr_count:     0
    .args:
      - .offset:         0
        .size:           4
        .value_kind:     by_value
      - .offset:         8
        .size:           8
        .value_kind:     by_value
      - .offset:         16
        .size:           16
        .value_kind:     by_value
      - .address_space:  global
        .offset:         32
        .size:           8
        .value_kind:     global_buffer
      - .offset:         40
        .size:           8
        .value_kind:     by_value
      - .offset:         48
        .size:           8
        .value_kind:     by_value
      - .address_space:  global
        .offset:         56
        .size:           8
        .value_kind:     global_buffer
      - .offset:         64
        .size:           8
        .value_kind:     by_value
      - .offset:         72
        .size:           8
        .value_kind:     by_value
      - .offset:         80
        .size:           16
        .value_kind:     by_value
      - .address_space:  global
        .offset:         96
        .size:           8
        .value_kind:     global_buffer
      - .offset:         104
        .size:           8
        .value_kind:     by_value
      - .offset:         112
        .size:           8
        .value_kind:     by_value
      - .offset:         120
        .size:           4
        .value_kind:     by_value
    .group_segment_fixed_size: 8192
    .kernarg_segment_align: 8
    .kernarg_segment_size: 124
    .language:       OpenCL C
    .language_version:
      - 2
      - 0
    .max_flat_workgroup_size: 256
    .name:           _ZL29rocblas_internal_gemmt_kernelIlLi16ELi32ELi8ELc84ELc78ELc76ELb0ELb0E19rocblas_complex_numIdES1_PKS1_PS1_EviT_T9_T10_S5_lS7_S5_lS6_T11_S5_li
    .private_segment_fixed_size: 0
    .sgpr_count:     46
    .sgpr_spill_count: 0
    .symbol:         _ZL29rocblas_internal_gemmt_kernelIlLi16ELi32ELi8ELc84ELc78ELc76ELb0ELb0E19rocblas_complex_numIdES1_PKS1_PS1_EviT_T9_T10_S5_lS7_S5_lS6_T11_S5_li.kd
    .uniform_work_group_size: 1
    .uses_dynamic_stack: false
    .vgpr_count:     62
    .vgpr_spill_count: 0
    .wavefront_size: 64
  - .agpr_count:     0
    .args:
      - .offset:         0
        .size:           4
        .value_kind:     by_value
      - .offset:         8
        .size:           8
        .value_kind:     by_value
      - .offset:         16
        .size:           16
        .value_kind:     by_value
      - .address_space:  global
        .offset:         32
        .size:           8
        .value_kind:     global_buffer
      - .offset:         40
        .size:           8
        .value_kind:     by_value
      - .offset:         48
        .size:           8
        .value_kind:     by_value
      - .address_space:  global
        .offset:         56
        .size:           8
        .value_kind:     global_buffer
      - .offset:         64
        .size:           8
        .value_kind:     by_value
      - .offset:         72
        .size:           8
        .value_kind:     by_value
      - .offset:         80
        .size:           16
        .value_kind:     by_value
      - .address_space:  global
        .offset:         96
        .size:           8
        .value_kind:     global_buffer
      - .offset:         104
        .size:           8
        .value_kind:     by_value
      - .offset:         112
        .size:           8
        .value_kind:     by_value
      - .offset:         120
        .size:           4
        .value_kind:     by_value
    .group_segment_fixed_size: 8192
    .kernarg_segment_align: 8
    .kernarg_segment_size: 124
    .language:       OpenCL C
    .language_version:
      - 2
      - 0
    .max_flat_workgroup_size: 256
    .name:           _ZL29rocblas_internal_gemmt_kernelIlLi16ELi32ELi8ELc84ELc84ELc76ELb0ELb0E19rocblas_complex_numIdES1_PKS1_PS1_EviT_T9_T10_S5_lS7_S5_lS6_T11_S5_li
    .private_segment_fixed_size: 0
    .sgpr_count:     48
    .sgpr_spill_count: 0
    .symbol:         _ZL29rocblas_internal_gemmt_kernelIlLi16ELi32ELi8ELc84ELc84ELc76ELb0ELb0E19rocblas_complex_numIdES1_PKS1_PS1_EviT_T9_T10_S5_lS7_S5_lS6_T11_S5_li.kd
    .uniform_work_group_size: 1
    .uses_dynamic_stack: false
    .vgpr_count:     62
    .vgpr_spill_count: 0
    .wavefront_size: 64
  - .agpr_count:     0
    .args:
      - .offset:         0
        .size:           4
        .value_kind:     by_value
      - .offset:         8
        .size:           8
        .value_kind:     by_value
      - .offset:         16
        .size:           16
        .value_kind:     by_value
      - .address_space:  global
        .offset:         32
        .size:           8
        .value_kind:     global_buffer
      - .offset:         40
        .size:           8
        .value_kind:     by_value
      - .offset:         48
        .size:           8
        .value_kind:     by_value
      - .address_space:  global
        .offset:         56
        .size:           8
        .value_kind:     global_buffer
      - .offset:         64
        .size:           8
        .value_kind:     by_value
      - .offset:         72
        .size:           8
        .value_kind:     by_value
      - .offset:         80
        .size:           16
        .value_kind:     by_value
      - .address_space:  global
        .offset:         96
        .size:           8
        .value_kind:     global_buffer
      - .offset:         104
        .size:           8
        .value_kind:     by_value
      - .offset:         112
        .size:           8
        .value_kind:     by_value
      - .offset:         120
        .size:           4
        .value_kind:     by_value
    .group_segment_fixed_size: 8192
    .kernarg_segment_align: 8
    .kernarg_segment_size: 124
    .language:       OpenCL C
    .language_version:
      - 2
      - 0
    .max_flat_workgroup_size: 256
    .name:           _ZL29rocblas_internal_gemmt_kernelIlLi16ELi32ELi8ELc84ELc67ELc76ELb0ELb1E19rocblas_complex_numIdES1_PKS1_PS1_EviT_T9_T10_S5_lS7_S5_lS6_T11_S5_li
    .private_segment_fixed_size: 0
    .sgpr_count:     48
    .sgpr_spill_count: 0
    .symbol:         _ZL29rocblas_internal_gemmt_kernelIlLi16ELi32ELi8ELc84ELc67ELc76ELb0ELb1E19rocblas_complex_numIdES1_PKS1_PS1_EviT_T9_T10_S5_lS7_S5_lS6_T11_S5_li.kd
    .uniform_work_group_size: 1
    .uses_dynamic_stack: false
    .vgpr_count:     66
    .vgpr_spill_count: 0
    .wavefront_size: 64
  - .agpr_count:     0
    .args:
      - .offset:         0
        .size:           4
        .value_kind:     by_value
      - .offset:         8
        .size:           8
        .value_kind:     by_value
      - .offset:         16
        .size:           16
        .value_kind:     by_value
      - .address_space:  global
        .offset:         32
        .size:           8
        .value_kind:     global_buffer
      - .offset:         40
        .size:           8
        .value_kind:     by_value
      - .offset:         48
        .size:           8
        .value_kind:     by_value
      - .address_space:  global
        .offset:         56
        .size:           8
        .value_kind:     global_buffer
      - .offset:         64
        .size:           8
        .value_kind:     by_value
      - .offset:         72
        .size:           8
        .value_kind:     by_value
      - .offset:         80
        .size:           16
        .value_kind:     by_value
      - .address_space:  global
        .offset:         96
        .size:           8
        .value_kind:     global_buffer
      - .offset:         104
        .size:           8
        .value_kind:     by_value
      - .offset:         112
        .size:           8
        .value_kind:     by_value
      - .offset:         120
        .size:           4
        .value_kind:     by_value
    .group_segment_fixed_size: 8192
    .kernarg_segment_align: 8
    .kernarg_segment_size: 124
    .language:       OpenCL C
    .language_version:
      - 2
      - 0
    .max_flat_workgroup_size: 256
    .name:           _ZL29rocblas_internal_gemmt_kernelIlLi16ELi32ELi8ELc67ELc78ELc76ELb1ELb0E19rocblas_complex_numIdES1_PKS1_PS1_EviT_T9_T10_S5_lS7_S5_lS6_T11_S5_li
    .private_segment_fixed_size: 0
    .sgpr_count:     46
    .sgpr_spill_count: 0
    .symbol:         _ZL29rocblas_internal_gemmt_kernelIlLi16ELi32ELi8ELc67ELc78ELc76ELb1ELb0E19rocblas_complex_numIdES1_PKS1_PS1_EviT_T9_T10_S5_lS7_S5_lS6_T11_S5_li.kd
    .uniform_work_group_size: 1
    .uses_dynamic_stack: false
    .vgpr_count:     64
    .vgpr_spill_count: 0
    .wavefront_size: 64
  - .agpr_count:     0
    .args:
      - .offset:         0
        .size:           4
        .value_kind:     by_value
      - .offset:         8
        .size:           8
        .value_kind:     by_value
      - .offset:         16
        .size:           16
        .value_kind:     by_value
      - .address_space:  global
        .offset:         32
        .size:           8
        .value_kind:     global_buffer
      - .offset:         40
        .size:           8
        .value_kind:     by_value
      - .offset:         48
        .size:           8
        .value_kind:     by_value
      - .address_space:  global
        .offset:         56
        .size:           8
        .value_kind:     global_buffer
      - .offset:         64
        .size:           8
        .value_kind:     by_value
      - .offset:         72
        .size:           8
        .value_kind:     by_value
      - .offset:         80
        .size:           16
        .value_kind:     by_value
      - .address_space:  global
        .offset:         96
        .size:           8
        .value_kind:     global_buffer
      - .offset:         104
        .size:           8
        .value_kind:     by_value
      - .offset:         112
        .size:           8
        .value_kind:     by_value
      - .offset:         120
        .size:           4
        .value_kind:     by_value
    .group_segment_fixed_size: 8192
    .kernarg_segment_align: 8
    .kernarg_segment_size: 124
    .language:       OpenCL C
    .language_version:
      - 2
      - 0
    .max_flat_workgroup_size: 256
    .name:           _ZL29rocblas_internal_gemmt_kernelIlLi16ELi32ELi8ELc67ELc84ELc76ELb1ELb0E19rocblas_complex_numIdES1_PKS1_PS1_EviT_T9_T10_S5_lS7_S5_lS6_T11_S5_li
    .private_segment_fixed_size: 0
    .sgpr_count:     46
    .sgpr_spill_count: 0
    .symbol:         _ZL29rocblas_internal_gemmt_kernelIlLi16ELi32ELi8ELc67ELc84ELc76ELb1ELb0E19rocblas_complex_numIdES1_PKS1_PS1_EviT_T9_T10_S5_lS7_S5_lS6_T11_S5_li.kd
    .uniform_work_group_size: 1
    .uses_dynamic_stack: false
    .vgpr_count:     64
    .vgpr_spill_count: 0
    .wavefront_size: 64
  - .agpr_count:     0
    .args:
      - .offset:         0
        .size:           4
        .value_kind:     by_value
      - .offset:         8
        .size:           8
        .value_kind:     by_value
      - .offset:         16
        .size:           16
        .value_kind:     by_value
      - .address_space:  global
        .offset:         32
        .size:           8
        .value_kind:     global_buffer
      - .offset:         40
        .size:           8
        .value_kind:     by_value
      - .offset:         48
        .size:           8
        .value_kind:     by_value
      - .address_space:  global
        .offset:         56
        .size:           8
        .value_kind:     global_buffer
      - .offset:         64
        .size:           8
        .value_kind:     by_value
      - .offset:         72
        .size:           8
        .value_kind:     by_value
      - .offset:         80
        .size:           16
        .value_kind:     by_value
      - .address_space:  global
        .offset:         96
        .size:           8
        .value_kind:     global_buffer
      - .offset:         104
        .size:           8
        .value_kind:     by_value
      - .offset:         112
        .size:           8
        .value_kind:     by_value
      - .offset:         120
        .size:           4
        .value_kind:     by_value
    .group_segment_fixed_size: 8192
    .kernarg_segment_align: 8
    .kernarg_segment_size: 124
    .language:       OpenCL C
    .language_version:
      - 2
      - 0
    .max_flat_workgroup_size: 256
    .name:           _ZL29rocblas_internal_gemmt_kernelIlLi16ELi32ELi8ELc67ELc67ELc76ELb1ELb1E19rocblas_complex_numIdES1_PKS1_PS1_EviT_T9_T10_S5_lS7_S5_lS6_T11_S5_li
    .private_segment_fixed_size: 0
    .sgpr_count:     46
    .sgpr_spill_count: 0
    .symbol:         _ZL29rocblas_internal_gemmt_kernelIlLi16ELi32ELi8ELc67ELc67ELc76ELb1ELb1E19rocblas_complex_numIdES1_PKS1_PS1_EviT_T9_T10_S5_lS7_S5_lS6_T11_S5_li.kd
    .uniform_work_group_size: 1
    .uses_dynamic_stack: false
    .vgpr_count:     60
    .vgpr_spill_count: 0
    .wavefront_size: 64
  - .agpr_count:     0
    .args:
      - .offset:         0
        .size:           4
        .value_kind:     by_value
      - .offset:         4
        .size:           4
        .value_kind:     by_value
      - .address_space:  global
        .offset:         8
        .size:           8
        .value_kind:     global_buffer
      - .address_space:  global
        .offset:         16
        .size:           8
        .value_kind:     global_buffer
      - .offset:         24
        .size:           4
        .value_kind:     by_value
      - .offset:         32
        .size:           8
        .value_kind:     by_value
      - .address_space:  global
        .offset:         40
        .size:           8
        .value_kind:     global_buffer
      - .offset:         48
        .size:           4
        .value_kind:     by_value
      - .offset:         56
        .size:           8
        .value_kind:     by_value
      - .address_space:  global
        .offset:         64
        .size:           8
        .value_kind:     global_buffer
      - .address_space:  global
        .offset:         72
        .size:           8
        .value_kind:     global_buffer
      - .offset:         80
        .size:           4
        .value_kind:     by_value
      - .offset:         88
        .size:           8
        .value_kind:     by_value
      - .offset:         96
        .size:           4
        .value_kind:     by_value
    .group_segment_fixed_size: 2048
    .kernarg_segment_align: 8
    .kernarg_segment_size: 100
    .language:       OpenCL C
    .language_version:
      - 2
      - 0
    .max_flat_workgroup_size: 256
    .name:           _ZL29rocblas_internal_gemmt_kernelIiLi16ELi32ELi8ELc78ELc78ELc85ELb0ELb0EfPKfPKS1_PKPfEviT_T9_T10_S7_lS9_S7_lS8_T11_S7_li
    .private_segment_fixed_size: 0
    .sgpr_count:     34
    .sgpr_spill_count: 0
    .symbol:         _ZL29rocblas_internal_gemmt_kernelIiLi16ELi32ELi8ELc78ELc78ELc85ELb0ELb0EfPKfPKS1_PKPfEviT_T9_T10_S7_lS9_S7_lS8_T11_S7_li.kd
    .uniform_work_group_size: 1
    .uses_dynamic_stack: false
    .vgpr_count:     48
    .vgpr_spill_count: 0
    .wavefront_size: 64
  - .agpr_count:     0
    .args:
      - .offset:         0
        .size:           4
        .value_kind:     by_value
      - .offset:         4
        .size:           4
        .value_kind:     by_value
      - .address_space:  global
        .offset:         8
        .size:           8
        .value_kind:     global_buffer
      - .address_space:  global
        .offset:         16
        .size:           8
        .value_kind:     global_buffer
      - .offset:         24
        .size:           4
        .value_kind:     by_value
      - .offset:         32
        .size:           8
        .value_kind:     by_value
      - .address_space:  global
        .offset:         40
        .size:           8
        .value_kind:     global_buffer
      - .offset:         48
        .size:           4
        .value_kind:     by_value
      - .offset:         56
        .size:           8
        .value_kind:     by_value
      - .address_space:  global
        .offset:         64
        .size:           8
        .value_kind:     global_buffer
      - .address_space:  global
        .offset:         72
        .size:           8
        .value_kind:     global_buffer
      - .offset:         80
        .size:           4
        .value_kind:     by_value
      - .offset:         88
        .size:           8
        .value_kind:     by_value
      - .offset:         96
        .size:           4
        .value_kind:     by_value
    .group_segment_fixed_size: 2048
    .kernarg_segment_align: 8
    .kernarg_segment_size: 100
    .language:       OpenCL C
    .language_version:
      - 2
      - 0
    .max_flat_workgroup_size: 256
    .name:           _ZL29rocblas_internal_gemmt_kernelIiLi16ELi32ELi8ELc78ELc84ELc85ELb0ELb0EfPKfPKS1_PKPfEviT_T9_T10_S7_lS9_S7_lS8_T11_S7_li
    .private_segment_fixed_size: 0
    .sgpr_count:     34
    .sgpr_spill_count: 0
    .symbol:         _ZL29rocblas_internal_gemmt_kernelIiLi16ELi32ELi8ELc78ELc84ELc85ELb0ELb0EfPKfPKS1_PKPfEviT_T9_T10_S7_lS9_S7_lS8_T11_S7_li.kd
    .uniform_work_group_size: 1
    .uses_dynamic_stack: false
    .vgpr_count:     48
    .vgpr_spill_count: 0
    .wavefront_size: 64
  - .agpr_count:     0
    .args:
      - .offset:         0
        .size:           4
        .value_kind:     by_value
      - .offset:         4
        .size:           4
        .value_kind:     by_value
      - .address_space:  global
        .offset:         8
        .size:           8
        .value_kind:     global_buffer
      - .address_space:  global
        .offset:         16
        .size:           8
        .value_kind:     global_buffer
      - .offset:         24
        .size:           4
        .value_kind:     by_value
      - .offset:         32
        .size:           8
        .value_kind:     by_value
      - .address_space:  global
        .offset:         40
        .size:           8
        .value_kind:     global_buffer
      - .offset:         48
        .size:           4
        .value_kind:     by_value
      - .offset:         56
        .size:           8
        .value_kind:     by_value
      - .address_space:  global
        .offset:         64
        .size:           8
        .value_kind:     global_buffer
      - .address_space:  global
        .offset:         72
        .size:           8
        .value_kind:     global_buffer
      - .offset:         80
        .size:           4
        .value_kind:     by_value
      - .offset:         88
        .size:           8
        .value_kind:     by_value
      - .offset:         96
        .size:           4
        .value_kind:     by_value
    .group_segment_fixed_size: 2048
    .kernarg_segment_align: 8
    .kernarg_segment_size: 100
    .language:       OpenCL C
    .language_version:
      - 2
      - 0
    .max_flat_workgroup_size: 256
    .name:           _ZL29rocblas_internal_gemmt_kernelIiLi16ELi32ELi8ELc78ELc67ELc85ELb0ELb0EfPKfPKS1_PKPfEviT_T9_T10_S7_lS9_S7_lS8_T11_S7_li
    .private_segment_fixed_size: 0
    .sgpr_count:     34
    .sgpr_spill_count: 0
    .symbol:         _ZL29rocblas_internal_gemmt_kernelIiLi16ELi32ELi8ELc78ELc67ELc85ELb0ELb0EfPKfPKS1_PKPfEviT_T9_T10_S7_lS9_S7_lS8_T11_S7_li.kd
    .uniform_work_group_size: 1
    .uses_dynamic_stack: false
    .vgpr_count:     48
    .vgpr_spill_count: 0
    .wavefront_size: 64
  - .agpr_count:     0
    .args:
      - .offset:         0
        .size:           4
        .value_kind:     by_value
      - .offset:         4
        .size:           4
        .value_kind:     by_value
      - .address_space:  global
        .offset:         8
        .size:           8
        .value_kind:     global_buffer
      - .address_space:  global
        .offset:         16
        .size:           8
        .value_kind:     global_buffer
      - .offset:         24
        .size:           4
        .value_kind:     by_value
      - .offset:         32
        .size:           8
        .value_kind:     by_value
      - .address_space:  global
        .offset:         40
        .size:           8
        .value_kind:     global_buffer
      - .offset:         48
        .size:           4
        .value_kind:     by_value
      - .offset:         56
        .size:           8
        .value_kind:     by_value
      - .address_space:  global
        .offset:         64
        .size:           8
        .value_kind:     global_buffer
      - .address_space:  global
        .offset:         72
        .size:           8
        .value_kind:     global_buffer
      - .offset:         80
        .size:           4
        .value_kind:     by_value
      - .offset:         88
        .size:           8
        .value_kind:     by_value
      - .offset:         96
        .size:           4
        .value_kind:     by_value
    .group_segment_fixed_size: 2048
    .kernarg_segment_align: 8
    .kernarg_segment_size: 100
    .language:       OpenCL C
    .language_version:
      - 2
      - 0
    .max_flat_workgroup_size: 256
    .name:           _ZL29rocblas_internal_gemmt_kernelIiLi16ELi32ELi8ELc84ELc78ELc85ELb0ELb0EfPKfPKS1_PKPfEviT_T9_T10_S7_lS9_S7_lS8_T11_S7_li
    .private_segment_fixed_size: 0
    .sgpr_count:     31
    .sgpr_spill_count: 0
    .symbol:         _ZL29rocblas_internal_gemmt_kernelIiLi16ELi32ELi8ELc84ELc78ELc85ELb0ELb0EfPKfPKS1_PKPfEviT_T9_T10_S7_lS9_S7_lS8_T11_S7_li.kd
    .uniform_work_group_size: 1
    .uses_dynamic_stack: false
    .vgpr_count:     48
    .vgpr_spill_count: 0
    .wavefront_size: 64
  - .agpr_count:     0
    .args:
      - .offset:         0
        .size:           4
        .value_kind:     by_value
      - .offset:         4
        .size:           4
        .value_kind:     by_value
      - .address_space:  global
        .offset:         8
        .size:           8
        .value_kind:     global_buffer
      - .address_space:  global
        .offset:         16
        .size:           8
        .value_kind:     global_buffer
      - .offset:         24
        .size:           4
        .value_kind:     by_value
      - .offset:         32
        .size:           8
        .value_kind:     by_value
      - .address_space:  global
        .offset:         40
        .size:           8
        .value_kind:     global_buffer
      - .offset:         48
        .size:           4
        .value_kind:     by_value
      - .offset:         56
        .size:           8
        .value_kind:     by_value
      - .address_space:  global
        .offset:         64
        .size:           8
        .value_kind:     global_buffer
      - .address_space:  global
        .offset:         72
        .size:           8
        .value_kind:     global_buffer
      - .offset:         80
        .size:           4
        .value_kind:     by_value
      - .offset:         88
        .size:           8
        .value_kind:     by_value
      - .offset:         96
        .size:           4
        .value_kind:     by_value
    .group_segment_fixed_size: 2048
    .kernarg_segment_align: 8
    .kernarg_segment_size: 100
    .language:       OpenCL C
    .language_version:
      - 2
      - 0
    .max_flat_workgroup_size: 256
    .name:           _ZL29rocblas_internal_gemmt_kernelIiLi16ELi32ELi8ELc84ELc84ELc85ELb0ELb0EfPKfPKS1_PKPfEviT_T9_T10_S7_lS9_S7_lS8_T11_S7_li
    .private_segment_fixed_size: 0
    .sgpr_count:     32
    .sgpr_spill_count: 0
    .symbol:         _ZL29rocblas_internal_gemmt_kernelIiLi16ELi32ELi8ELc84ELc84ELc85ELb0ELb0EfPKfPKS1_PKPfEviT_T9_T10_S7_lS9_S7_lS8_T11_S7_li.kd
    .uniform_work_group_size: 1
    .uses_dynamic_stack: false
    .vgpr_count:     48
    .vgpr_spill_count: 0
    .wavefront_size: 64
  - .agpr_count:     0
    .args:
      - .offset:         0
        .size:           4
        .value_kind:     by_value
      - .offset:         4
        .size:           4
        .value_kind:     by_value
      - .address_space:  global
        .offset:         8
        .size:           8
        .value_kind:     global_buffer
      - .address_space:  global
        .offset:         16
        .size:           8
        .value_kind:     global_buffer
      - .offset:         24
        .size:           4
        .value_kind:     by_value
      - .offset:         32
        .size:           8
        .value_kind:     by_value
      - .address_space:  global
        .offset:         40
        .size:           8
        .value_kind:     global_buffer
      - .offset:         48
        .size:           4
        .value_kind:     by_value
      - .offset:         56
        .size:           8
        .value_kind:     by_value
      - .address_space:  global
        .offset:         64
        .size:           8
        .value_kind:     global_buffer
      - .address_space:  global
        .offset:         72
        .size:           8
        .value_kind:     global_buffer
      - .offset:         80
        .size:           4
        .value_kind:     by_value
      - .offset:         88
        .size:           8
        .value_kind:     by_value
      - .offset:         96
        .size:           4
        .value_kind:     by_value
    .group_segment_fixed_size: 2048
    .kernarg_segment_align: 8
    .kernarg_segment_size: 100
    .language:       OpenCL C
    .language_version:
      - 2
      - 0
    .max_flat_workgroup_size: 256
    .name:           _ZL29rocblas_internal_gemmt_kernelIiLi16ELi32ELi8ELc84ELc67ELc85ELb0ELb0EfPKfPKS1_PKPfEviT_T9_T10_S7_lS9_S7_lS8_T11_S7_li
    .private_segment_fixed_size: 0
    .sgpr_count:     32
    .sgpr_spill_count: 0
    .symbol:         _ZL29rocblas_internal_gemmt_kernelIiLi16ELi32ELi8ELc84ELc67ELc85ELb0ELb0EfPKfPKS1_PKPfEviT_T9_T10_S7_lS9_S7_lS8_T11_S7_li.kd
    .uniform_work_group_size: 1
    .uses_dynamic_stack: false
    .vgpr_count:     48
    .vgpr_spill_count: 0
    .wavefront_size: 64
  - .agpr_count:     0
    .args:
      - .offset:         0
        .size:           4
        .value_kind:     by_value
      - .offset:         4
        .size:           4
        .value_kind:     by_value
      - .address_space:  global
        .offset:         8
        .size:           8
        .value_kind:     global_buffer
      - .address_space:  global
        .offset:         16
        .size:           8
        .value_kind:     global_buffer
      - .offset:         24
        .size:           4
        .value_kind:     by_value
      - .offset:         32
        .size:           8
        .value_kind:     by_value
      - .address_space:  global
        .offset:         40
        .size:           8
        .value_kind:     global_buffer
      - .offset:         48
        .size:           4
        .value_kind:     by_value
      - .offset:         56
        .size:           8
        .value_kind:     by_value
      - .address_space:  global
        .offset:         64
        .size:           8
        .value_kind:     global_buffer
      - .address_space:  global
        .offset:         72
        .size:           8
        .value_kind:     global_buffer
      - .offset:         80
        .size:           4
        .value_kind:     by_value
      - .offset:         88
        .size:           8
        .value_kind:     by_value
      - .offset:         96
        .size:           4
        .value_kind:     by_value
    .group_segment_fixed_size: 2048
    .kernarg_segment_align: 8
    .kernarg_segment_size: 100
    .language:       OpenCL C
    .language_version:
      - 2
      - 0
    .max_flat_workgroup_size: 256
    .name:           _ZL29rocblas_internal_gemmt_kernelIiLi16ELi32ELi8ELc67ELc78ELc85ELb0ELb0EfPKfPKS1_PKPfEviT_T9_T10_S7_lS9_S7_lS8_T11_S7_li
    .private_segment_fixed_size: 0
    .sgpr_count:     31
    .sgpr_spill_count: 0
    .symbol:         _ZL29rocblas_internal_gemmt_kernelIiLi16ELi32ELi8ELc67ELc78ELc85ELb0ELb0EfPKfPKS1_PKPfEviT_T9_T10_S7_lS9_S7_lS8_T11_S7_li.kd
    .uniform_work_group_size: 1
    .uses_dynamic_stack: false
    .vgpr_count:     48
    .vgpr_spill_count: 0
    .wavefront_size: 64
  - .agpr_count:     0
    .args:
      - .offset:         0
        .size:           4
        .value_kind:     by_value
      - .offset:         4
        .size:           4
        .value_kind:     by_value
      - .address_space:  global
        .offset:         8
        .size:           8
        .value_kind:     global_buffer
      - .address_space:  global
        .offset:         16
        .size:           8
        .value_kind:     global_buffer
      - .offset:         24
        .size:           4
        .value_kind:     by_value
      - .offset:         32
        .size:           8
        .value_kind:     by_value
      - .address_space:  global
        .offset:         40
        .size:           8
        .value_kind:     global_buffer
      - .offset:         48
        .size:           4
        .value_kind:     by_value
      - .offset:         56
        .size:           8
        .value_kind:     by_value
      - .address_space:  global
        .offset:         64
        .size:           8
        .value_kind:     global_buffer
      - .address_space:  global
        .offset:         72
        .size:           8
        .value_kind:     global_buffer
      - .offset:         80
        .size:           4
        .value_kind:     by_value
      - .offset:         88
        .size:           8
        .value_kind:     by_value
      - .offset:         96
        .size:           4
        .value_kind:     by_value
    .group_segment_fixed_size: 2048
    .kernarg_segment_align: 8
    .kernarg_segment_size: 100
    .language:       OpenCL C
    .language_version:
      - 2
      - 0
    .max_flat_workgroup_size: 256
    .name:           _ZL29rocblas_internal_gemmt_kernelIiLi16ELi32ELi8ELc67ELc84ELc85ELb0ELb0EfPKfPKS1_PKPfEviT_T9_T10_S7_lS9_S7_lS8_T11_S7_li
    .private_segment_fixed_size: 0
    .sgpr_count:     32
    .sgpr_spill_count: 0
    .symbol:         _ZL29rocblas_internal_gemmt_kernelIiLi16ELi32ELi8ELc67ELc84ELc85ELb0ELb0EfPKfPKS1_PKPfEviT_T9_T10_S7_lS9_S7_lS8_T11_S7_li.kd
    .uniform_work_group_size: 1
    .uses_dynamic_stack: false
    .vgpr_count:     48
    .vgpr_spill_count: 0
    .wavefront_size: 64
  - .agpr_count:     0
    .args:
      - .offset:         0
        .size:           4
        .value_kind:     by_value
      - .offset:         4
        .size:           4
        .value_kind:     by_value
      - .address_space:  global
        .offset:         8
        .size:           8
        .value_kind:     global_buffer
      - .address_space:  global
        .offset:         16
        .size:           8
        .value_kind:     global_buffer
      - .offset:         24
        .size:           4
        .value_kind:     by_value
      - .offset:         32
        .size:           8
        .value_kind:     by_value
      - .address_space:  global
        .offset:         40
        .size:           8
        .value_kind:     global_buffer
      - .offset:         48
        .size:           4
        .value_kind:     by_value
      - .offset:         56
        .size:           8
        .value_kind:     by_value
      - .address_space:  global
        .offset:         64
        .size:           8
        .value_kind:     global_buffer
      - .address_space:  global
        .offset:         72
        .size:           8
        .value_kind:     global_buffer
      - .offset:         80
        .size:           4
        .value_kind:     by_value
      - .offset:         88
        .size:           8
        .value_kind:     by_value
      - .offset:         96
        .size:           4
        .value_kind:     by_value
    .group_segment_fixed_size: 2048
    .kernarg_segment_align: 8
    .kernarg_segment_size: 100
    .language:       OpenCL C
    .language_version:
      - 2
      - 0
    .max_flat_workgroup_size: 256
    .name:           _ZL29rocblas_internal_gemmt_kernelIiLi16ELi32ELi8ELc67ELc67ELc85ELb0ELb0EfPKfPKS1_PKPfEviT_T9_T10_S7_lS9_S7_lS8_T11_S7_li
    .private_segment_fixed_size: 0
    .sgpr_count:     32
    .sgpr_spill_count: 0
    .symbol:         _ZL29rocblas_internal_gemmt_kernelIiLi16ELi32ELi8ELc67ELc67ELc85ELb0ELb0EfPKfPKS1_PKPfEviT_T9_T10_S7_lS9_S7_lS8_T11_S7_li.kd
    .uniform_work_group_size: 1
    .uses_dynamic_stack: false
    .vgpr_count:     48
    .vgpr_spill_count: 0
    .wavefront_size: 64
  - .agpr_count:     0
    .args:
      - .offset:         0
        .size:           4
        .value_kind:     by_value
      - .offset:         4
        .size:           4
        .value_kind:     by_value
      - .address_space:  global
        .offset:         8
        .size:           8
        .value_kind:     global_buffer
      - .address_space:  global
        .offset:         16
        .size:           8
        .value_kind:     global_buffer
      - .offset:         24
        .size:           4
        .value_kind:     by_value
      - .offset:         32
        .size:           8
        .value_kind:     by_value
      - .address_space:  global
        .offset:         40
        .size:           8
        .value_kind:     global_buffer
      - .offset:         48
        .size:           4
        .value_kind:     by_value
      - .offset:         56
        .size:           8
        .value_kind:     by_value
      - .address_space:  global
        .offset:         64
        .size:           8
        .value_kind:     global_buffer
      - .address_space:  global
        .offset:         72
        .size:           8
        .value_kind:     global_buffer
      - .offset:         80
        .size:           4
        .value_kind:     by_value
      - .offset:         88
        .size:           8
        .value_kind:     by_value
      - .offset:         96
        .size:           4
        .value_kind:     by_value
    .group_segment_fixed_size: 2048
    .kernarg_segment_align: 8
    .kernarg_segment_size: 100
    .language:       OpenCL C
    .language_version:
      - 2
      - 0
    .max_flat_workgroup_size: 256
    .name:           _ZL29rocblas_internal_gemmt_kernelIiLi16ELi32ELi8ELc78ELc78ELc76ELb0ELb0EfPKfPKS1_PKPfEviT_T9_T10_S7_lS9_S7_lS8_T11_S7_li
    .private_segment_fixed_size: 0
    .sgpr_count:     34
    .sgpr_spill_count: 0
    .symbol:         _ZL29rocblas_internal_gemmt_kernelIiLi16ELi32ELi8ELc78ELc78ELc76ELb0ELb0EfPKfPKS1_PKPfEviT_T9_T10_S7_lS9_S7_lS8_T11_S7_li.kd
    .uniform_work_group_size: 1
    .uses_dynamic_stack: false
    .vgpr_count:     48
    .vgpr_spill_count: 0
    .wavefront_size: 64
  - .agpr_count:     0
    .args:
      - .offset:         0
        .size:           4
        .value_kind:     by_value
      - .offset:         4
        .size:           4
        .value_kind:     by_value
      - .address_space:  global
        .offset:         8
        .size:           8
        .value_kind:     global_buffer
      - .address_space:  global
        .offset:         16
        .size:           8
        .value_kind:     global_buffer
      - .offset:         24
        .size:           4
        .value_kind:     by_value
      - .offset:         32
        .size:           8
        .value_kind:     by_value
      - .address_space:  global
        .offset:         40
        .size:           8
        .value_kind:     global_buffer
      - .offset:         48
        .size:           4
        .value_kind:     by_value
      - .offset:         56
        .size:           8
        .value_kind:     by_value
      - .address_space:  global
        .offset:         64
        .size:           8
        .value_kind:     global_buffer
      - .address_space:  global
        .offset:         72
        .size:           8
        .value_kind:     global_buffer
      - .offset:         80
        .size:           4
        .value_kind:     by_value
      - .offset:         88
        .size:           8
        .value_kind:     by_value
      - .offset:         96
        .size:           4
        .value_kind:     by_value
    .group_segment_fixed_size: 2048
    .kernarg_segment_align: 8
    .kernarg_segment_size: 100
    .language:       OpenCL C
    .language_version:
      - 2
      - 0
    .max_flat_workgroup_size: 256
    .name:           _ZL29rocblas_internal_gemmt_kernelIiLi16ELi32ELi8ELc78ELc84ELc76ELb0ELb0EfPKfPKS1_PKPfEviT_T9_T10_S7_lS9_S7_lS8_T11_S7_li
    .private_segment_fixed_size: 0
    .sgpr_count:     34
    .sgpr_spill_count: 0
    .symbol:         _ZL29rocblas_internal_gemmt_kernelIiLi16ELi32ELi8ELc78ELc84ELc76ELb0ELb0EfPKfPKS1_PKPfEviT_T9_T10_S7_lS9_S7_lS8_T11_S7_li.kd
    .uniform_work_group_size: 1
    .uses_dynamic_stack: false
    .vgpr_count:     48
    .vgpr_spill_count: 0
    .wavefront_size: 64
  - .agpr_count:     0
    .args:
      - .offset:         0
        .size:           4
        .value_kind:     by_value
      - .offset:         4
        .size:           4
        .value_kind:     by_value
      - .address_space:  global
        .offset:         8
        .size:           8
        .value_kind:     global_buffer
      - .address_space:  global
        .offset:         16
        .size:           8
        .value_kind:     global_buffer
      - .offset:         24
        .size:           4
        .value_kind:     by_value
      - .offset:         32
        .size:           8
        .value_kind:     by_value
      - .address_space:  global
        .offset:         40
        .size:           8
        .value_kind:     global_buffer
      - .offset:         48
        .size:           4
        .value_kind:     by_value
      - .offset:         56
        .size:           8
        .value_kind:     by_value
      - .address_space:  global
        .offset:         64
        .size:           8
        .value_kind:     global_buffer
      - .address_space:  global
        .offset:         72
        .size:           8
        .value_kind:     global_buffer
      - .offset:         80
        .size:           4
        .value_kind:     by_value
      - .offset:         88
        .size:           8
        .value_kind:     by_value
      - .offset:         96
        .size:           4
        .value_kind:     by_value
    .group_segment_fixed_size: 2048
    .kernarg_segment_align: 8
    .kernarg_segment_size: 100
    .language:       OpenCL C
    .language_version:
      - 2
      - 0
    .max_flat_workgroup_size: 256
    .name:           _ZL29rocblas_internal_gemmt_kernelIiLi16ELi32ELi8ELc78ELc67ELc76ELb0ELb0EfPKfPKS1_PKPfEviT_T9_T10_S7_lS9_S7_lS8_T11_S7_li
    .private_segment_fixed_size: 0
    .sgpr_count:     34
    .sgpr_spill_count: 0
    .symbol:         _ZL29rocblas_internal_gemmt_kernelIiLi16ELi32ELi8ELc78ELc67ELc76ELb0ELb0EfPKfPKS1_PKPfEviT_T9_T10_S7_lS9_S7_lS8_T11_S7_li.kd
    .uniform_work_group_size: 1
    .uses_dynamic_stack: false
    .vgpr_count:     48
    .vgpr_spill_count: 0
    .wavefront_size: 64
  - .agpr_count:     0
    .args:
      - .offset:         0
        .size:           4
        .value_kind:     by_value
      - .offset:         4
        .size:           4
        .value_kind:     by_value
      - .address_space:  global
        .offset:         8
        .size:           8
        .value_kind:     global_buffer
      - .address_space:  global
        .offset:         16
        .size:           8
        .value_kind:     global_buffer
      - .offset:         24
        .size:           4
        .value_kind:     by_value
      - .offset:         32
        .size:           8
        .value_kind:     by_value
      - .address_space:  global
        .offset:         40
        .size:           8
        .value_kind:     global_buffer
      - .offset:         48
        .size:           4
        .value_kind:     by_value
      - .offset:         56
        .size:           8
        .value_kind:     by_value
      - .address_space:  global
        .offset:         64
        .size:           8
        .value_kind:     global_buffer
      - .address_space:  global
        .offset:         72
        .size:           8
        .value_kind:     global_buffer
      - .offset:         80
        .size:           4
        .value_kind:     by_value
      - .offset:         88
        .size:           8
        .value_kind:     by_value
      - .offset:         96
        .size:           4
        .value_kind:     by_value
    .group_segment_fixed_size: 2048
    .kernarg_segment_align: 8
    .kernarg_segment_size: 100
    .language:       OpenCL C
    .language_version:
      - 2
      - 0
    .max_flat_workgroup_size: 256
    .name:           _ZL29rocblas_internal_gemmt_kernelIiLi16ELi32ELi8ELc84ELc78ELc76ELb0ELb0EfPKfPKS1_PKPfEviT_T9_T10_S7_lS9_S7_lS8_T11_S7_li
    .private_segment_fixed_size: 0
    .sgpr_count:     31
    .sgpr_spill_count: 0
    .symbol:         _ZL29rocblas_internal_gemmt_kernelIiLi16ELi32ELi8ELc84ELc78ELc76ELb0ELb0EfPKfPKS1_PKPfEviT_T9_T10_S7_lS9_S7_lS8_T11_S7_li.kd
    .uniform_work_group_size: 1
    .uses_dynamic_stack: false
    .vgpr_count:     48
    .vgpr_spill_count: 0
    .wavefront_size: 64
  - .agpr_count:     0
    .args:
      - .offset:         0
        .size:           4
        .value_kind:     by_value
      - .offset:         4
        .size:           4
        .value_kind:     by_value
      - .address_space:  global
        .offset:         8
        .size:           8
        .value_kind:     global_buffer
      - .address_space:  global
        .offset:         16
        .size:           8
        .value_kind:     global_buffer
      - .offset:         24
        .size:           4
        .value_kind:     by_value
      - .offset:         32
        .size:           8
        .value_kind:     by_value
      - .address_space:  global
        .offset:         40
        .size:           8
        .value_kind:     global_buffer
      - .offset:         48
        .size:           4
        .value_kind:     by_value
      - .offset:         56
        .size:           8
        .value_kind:     by_value
      - .address_space:  global
        .offset:         64
        .size:           8
        .value_kind:     global_buffer
      - .address_space:  global
        .offset:         72
        .size:           8
        .value_kind:     global_buffer
      - .offset:         80
        .size:           4
        .value_kind:     by_value
      - .offset:         88
        .size:           8
        .value_kind:     by_value
      - .offset:         96
        .size:           4
        .value_kind:     by_value
    .group_segment_fixed_size: 2048
    .kernarg_segment_align: 8
    .kernarg_segment_size: 100
    .language:       OpenCL C
    .language_version:
      - 2
      - 0
    .max_flat_workgroup_size: 256
    .name:           _ZL29rocblas_internal_gemmt_kernelIiLi16ELi32ELi8ELc84ELc84ELc76ELb0ELb0EfPKfPKS1_PKPfEviT_T9_T10_S7_lS9_S7_lS8_T11_S7_li
    .private_segment_fixed_size: 0
    .sgpr_count:     32
    .sgpr_spill_count: 0
    .symbol:         _ZL29rocblas_internal_gemmt_kernelIiLi16ELi32ELi8ELc84ELc84ELc76ELb0ELb0EfPKfPKS1_PKPfEviT_T9_T10_S7_lS9_S7_lS8_T11_S7_li.kd
    .uniform_work_group_size: 1
    .uses_dynamic_stack: false
    .vgpr_count:     48
    .vgpr_spill_count: 0
    .wavefront_size: 64
  - .agpr_count:     0
    .args:
      - .offset:         0
        .size:           4
        .value_kind:     by_value
      - .offset:         4
        .size:           4
        .value_kind:     by_value
      - .address_space:  global
        .offset:         8
        .size:           8
        .value_kind:     global_buffer
      - .address_space:  global
        .offset:         16
        .size:           8
        .value_kind:     global_buffer
      - .offset:         24
        .size:           4
        .value_kind:     by_value
      - .offset:         32
        .size:           8
        .value_kind:     by_value
      - .address_space:  global
        .offset:         40
        .size:           8
        .value_kind:     global_buffer
      - .offset:         48
        .size:           4
        .value_kind:     by_value
      - .offset:         56
        .size:           8
        .value_kind:     by_value
      - .address_space:  global
        .offset:         64
        .size:           8
        .value_kind:     global_buffer
      - .address_space:  global
        .offset:         72
        .size:           8
        .value_kind:     global_buffer
      - .offset:         80
        .size:           4
        .value_kind:     by_value
      - .offset:         88
        .size:           8
        .value_kind:     by_value
      - .offset:         96
        .size:           4
        .value_kind:     by_value
    .group_segment_fixed_size: 2048
    .kernarg_segment_align: 8
    .kernarg_segment_size: 100
    .language:       OpenCL C
    .language_version:
      - 2
      - 0
    .max_flat_workgroup_size: 256
    .name:           _ZL29rocblas_internal_gemmt_kernelIiLi16ELi32ELi8ELc84ELc67ELc76ELb0ELb0EfPKfPKS1_PKPfEviT_T9_T10_S7_lS9_S7_lS8_T11_S7_li
    .private_segment_fixed_size: 0
    .sgpr_count:     32
    .sgpr_spill_count: 0
    .symbol:         _ZL29rocblas_internal_gemmt_kernelIiLi16ELi32ELi8ELc84ELc67ELc76ELb0ELb0EfPKfPKS1_PKPfEviT_T9_T10_S7_lS9_S7_lS8_T11_S7_li.kd
    .uniform_work_group_size: 1
    .uses_dynamic_stack: false
    .vgpr_count:     48
    .vgpr_spill_count: 0
    .wavefront_size: 64
  - .agpr_count:     0
    .args:
      - .offset:         0
        .size:           4
        .value_kind:     by_value
      - .offset:         4
        .size:           4
        .value_kind:     by_value
      - .address_space:  global
        .offset:         8
        .size:           8
        .value_kind:     global_buffer
      - .address_space:  global
        .offset:         16
        .size:           8
        .value_kind:     global_buffer
      - .offset:         24
        .size:           4
        .value_kind:     by_value
      - .offset:         32
        .size:           8
        .value_kind:     by_value
      - .address_space:  global
        .offset:         40
        .size:           8
        .value_kind:     global_buffer
      - .offset:         48
        .size:           4
        .value_kind:     by_value
      - .offset:         56
        .size:           8
        .value_kind:     by_value
      - .address_space:  global
        .offset:         64
        .size:           8
        .value_kind:     global_buffer
      - .address_space:  global
        .offset:         72
        .size:           8
        .value_kind:     global_buffer
      - .offset:         80
        .size:           4
        .value_kind:     by_value
      - .offset:         88
        .size:           8
        .value_kind:     by_value
      - .offset:         96
        .size:           4
        .value_kind:     by_value
    .group_segment_fixed_size: 2048
    .kernarg_segment_align: 8
    .kernarg_segment_size: 100
    .language:       OpenCL C
    .language_version:
      - 2
      - 0
    .max_flat_workgroup_size: 256
    .name:           _ZL29rocblas_internal_gemmt_kernelIiLi16ELi32ELi8ELc67ELc78ELc76ELb0ELb0EfPKfPKS1_PKPfEviT_T9_T10_S7_lS9_S7_lS8_T11_S7_li
    .private_segment_fixed_size: 0
    .sgpr_count:     31
    .sgpr_spill_count: 0
    .symbol:         _ZL29rocblas_internal_gemmt_kernelIiLi16ELi32ELi8ELc67ELc78ELc76ELb0ELb0EfPKfPKS1_PKPfEviT_T9_T10_S7_lS9_S7_lS8_T11_S7_li.kd
    .uniform_work_group_size: 1
    .uses_dynamic_stack: false
    .vgpr_count:     48
    .vgpr_spill_count: 0
    .wavefront_size: 64
  - .agpr_count:     0
    .args:
      - .offset:         0
        .size:           4
        .value_kind:     by_value
      - .offset:         4
        .size:           4
        .value_kind:     by_value
      - .address_space:  global
        .offset:         8
        .size:           8
        .value_kind:     global_buffer
      - .address_space:  global
        .offset:         16
        .size:           8
        .value_kind:     global_buffer
      - .offset:         24
        .size:           4
        .value_kind:     by_value
      - .offset:         32
        .size:           8
        .value_kind:     by_value
      - .address_space:  global
        .offset:         40
        .size:           8
        .value_kind:     global_buffer
      - .offset:         48
        .size:           4
        .value_kind:     by_value
      - .offset:         56
        .size:           8
        .value_kind:     by_value
      - .address_space:  global
        .offset:         64
        .size:           8
        .value_kind:     global_buffer
      - .address_space:  global
        .offset:         72
        .size:           8
        .value_kind:     global_buffer
      - .offset:         80
        .size:           4
        .value_kind:     by_value
      - .offset:         88
        .size:           8
        .value_kind:     by_value
      - .offset:         96
        .size:           4
        .value_kind:     by_value
    .group_segment_fixed_size: 2048
    .kernarg_segment_align: 8
    .kernarg_segment_size: 100
    .language:       OpenCL C
    .language_version:
      - 2
      - 0
    .max_flat_workgroup_size: 256
    .name:           _ZL29rocblas_internal_gemmt_kernelIiLi16ELi32ELi8ELc67ELc84ELc76ELb0ELb0EfPKfPKS1_PKPfEviT_T9_T10_S7_lS9_S7_lS8_T11_S7_li
    .private_segment_fixed_size: 0
    .sgpr_count:     32
    .sgpr_spill_count: 0
    .symbol:         _ZL29rocblas_internal_gemmt_kernelIiLi16ELi32ELi8ELc67ELc84ELc76ELb0ELb0EfPKfPKS1_PKPfEviT_T9_T10_S7_lS9_S7_lS8_T11_S7_li.kd
    .uniform_work_group_size: 1
    .uses_dynamic_stack: false
    .vgpr_count:     48
    .vgpr_spill_count: 0
    .wavefront_size: 64
  - .agpr_count:     0
    .args:
      - .offset:         0
        .size:           4
        .value_kind:     by_value
      - .offset:         4
        .size:           4
        .value_kind:     by_value
      - .address_space:  global
        .offset:         8
        .size:           8
        .value_kind:     global_buffer
      - .address_space:  global
        .offset:         16
        .size:           8
        .value_kind:     global_buffer
      - .offset:         24
        .size:           4
        .value_kind:     by_value
      - .offset:         32
        .size:           8
        .value_kind:     by_value
      - .address_space:  global
        .offset:         40
        .size:           8
        .value_kind:     global_buffer
      - .offset:         48
        .size:           4
        .value_kind:     by_value
      - .offset:         56
        .size:           8
        .value_kind:     by_value
      - .address_space:  global
        .offset:         64
        .size:           8
        .value_kind:     global_buffer
      - .address_space:  global
        .offset:         72
        .size:           8
        .value_kind:     global_buffer
      - .offset:         80
        .size:           4
        .value_kind:     by_value
      - .offset:         88
        .size:           8
        .value_kind:     by_value
      - .offset:         96
        .size:           4
        .value_kind:     by_value
    .group_segment_fixed_size: 2048
    .kernarg_segment_align: 8
    .kernarg_segment_size: 100
    .language:       OpenCL C
    .language_version:
      - 2
      - 0
    .max_flat_workgroup_size: 256
    .name:           _ZL29rocblas_internal_gemmt_kernelIiLi16ELi32ELi8ELc67ELc67ELc76ELb0ELb0EfPKfPKS1_PKPfEviT_T9_T10_S7_lS9_S7_lS8_T11_S7_li
    .private_segment_fixed_size: 0
    .sgpr_count:     32
    .sgpr_spill_count: 0
    .symbol:         _ZL29rocblas_internal_gemmt_kernelIiLi16ELi32ELi8ELc67ELc67ELc76ELb0ELb0EfPKfPKS1_PKPfEviT_T9_T10_S7_lS9_S7_lS8_T11_S7_li.kd
    .uniform_work_group_size: 1
    .uses_dynamic_stack: false
    .vgpr_count:     48
    .vgpr_spill_count: 0
    .wavefront_size: 64
  - .agpr_count:     0
    .args:
      - .offset:         0
        .size:           4
        .value_kind:     by_value
      - .offset:         4
        .size:           4
        .value_kind:     by_value
      - .offset:         8
        .size:           4
        .value_kind:     by_value
      - .address_space:  global
        .offset:         16
        .size:           8
        .value_kind:     global_buffer
      - .offset:         24
        .size:           4
        .value_kind:     by_value
      - .offset:         32
        .size:           8
        .value_kind:     by_value
      - .address_space:  global
        .offset:         40
        .size:           8
        .value_kind:     global_buffer
      - .offset:         48
        .size:           4
        .value_kind:     by_value
      - .offset:         56
        .size:           8
        .value_kind:     by_value
      - .offset:         64
        .size:           4
        .value_kind:     by_value
      - .address_space:  global
        .offset:         72
        .size:           8
        .value_kind:     global_buffer
      - .offset:         80
        .size:           4
        .value_kind:     by_value
      - .offset:         88
        .size:           8
        .value_kind:     by_value
      - .offset:         96
        .size:           4
        .value_kind:     by_value
    .group_segment_fixed_size: 2048
    .kernarg_segment_align: 8
    .kernarg_segment_size: 100
    .language:       OpenCL C
    .language_version:
      - 2
      - 0
    .max_flat_workgroup_size: 256
    .name:           _ZL29rocblas_internal_gemmt_kernelIiLi16ELi32ELi8ELc78ELc78ELc85ELb0ELb0EffPKPKfPKPfEviT_T9_T10_S7_lS9_S7_lS8_T11_S7_li
    .private_segment_fixed_size: 0
    .sgpr_count:     32
    .sgpr_spill_count: 0
    .symbol:         _ZL29rocblas_internal_gemmt_kernelIiLi16ELi32ELi8ELc78ELc78ELc85ELb0ELb0EffPKPKfPKPfEviT_T9_T10_S7_lS9_S7_lS8_T11_S7_li.kd
    .uniform_work_group_size: 1
    .uses_dynamic_stack: false
    .vgpr_count:     48
    .vgpr_spill_count: 0
    .wavefront_size: 64
  - .agpr_count:     0
    .args:
      - .offset:         0
        .size:           4
        .value_kind:     by_value
      - .offset:         4
        .size:           4
        .value_kind:     by_value
      - .offset:         8
        .size:           4
        .value_kind:     by_value
      - .address_space:  global
        .offset:         16
        .size:           8
        .value_kind:     global_buffer
      - .offset:         24
        .size:           4
        .value_kind:     by_value
      - .offset:         32
        .size:           8
        .value_kind:     by_value
      - .address_space:  global
        .offset:         40
        .size:           8
        .value_kind:     global_buffer
      - .offset:         48
        .size:           4
        .value_kind:     by_value
      - .offset:         56
        .size:           8
        .value_kind:     by_value
      - .offset:         64
        .size:           4
        .value_kind:     by_value
      - .address_space:  global
        .offset:         72
        .size:           8
        .value_kind:     global_buffer
      - .offset:         80
        .size:           4
        .value_kind:     by_value
      - .offset:         88
        .size:           8
        .value_kind:     by_value
      - .offset:         96
        .size:           4
        .value_kind:     by_value
    .group_segment_fixed_size: 2048
    .kernarg_segment_align: 8
    .kernarg_segment_size: 100
    .language:       OpenCL C
    .language_version:
      - 2
      - 0
    .max_flat_workgroup_size: 256
    .name:           _ZL29rocblas_internal_gemmt_kernelIiLi16ELi32ELi8ELc78ELc84ELc85ELb0ELb0EffPKPKfPKPfEviT_T9_T10_S7_lS9_S7_lS8_T11_S7_li
    .private_segment_fixed_size: 0
    .sgpr_count:     34
    .sgpr_spill_count: 0
    .symbol:         _ZL29rocblas_internal_gemmt_kernelIiLi16ELi32ELi8ELc78ELc84ELc85ELb0ELb0EffPKPKfPKPfEviT_T9_T10_S7_lS9_S7_lS8_T11_S7_li.kd
    .uniform_work_group_size: 1
    .uses_dynamic_stack: false
    .vgpr_count:     48
    .vgpr_spill_count: 0
    .wavefront_size: 64
  - .agpr_count:     0
    .args:
      - .offset:         0
        .size:           4
        .value_kind:     by_value
      - .offset:         4
        .size:           4
        .value_kind:     by_value
      - .offset:         8
        .size:           4
        .value_kind:     by_value
      - .address_space:  global
        .offset:         16
        .size:           8
        .value_kind:     global_buffer
      - .offset:         24
        .size:           4
        .value_kind:     by_value
      - .offset:         32
        .size:           8
        .value_kind:     by_value
      - .address_space:  global
        .offset:         40
        .size:           8
        .value_kind:     global_buffer
      - .offset:         48
        .size:           4
        .value_kind:     by_value
      - .offset:         56
        .size:           8
        .value_kind:     by_value
      - .offset:         64
        .size:           4
        .value_kind:     by_value
      - .address_space:  global
        .offset:         72
        .size:           8
        .value_kind:     global_buffer
      - .offset:         80
        .size:           4
        .value_kind:     by_value
      - .offset:         88
        .size:           8
        .value_kind:     by_value
      - .offset:         96
        .size:           4
        .value_kind:     by_value
    .group_segment_fixed_size: 2048
    .kernarg_segment_align: 8
    .kernarg_segment_size: 100
    .language:       OpenCL C
    .language_version:
      - 2
      - 0
    .max_flat_workgroup_size: 256
    .name:           _ZL29rocblas_internal_gemmt_kernelIiLi16ELi32ELi8ELc78ELc67ELc85ELb0ELb0EffPKPKfPKPfEviT_T9_T10_S7_lS9_S7_lS8_T11_S7_li
    .private_segment_fixed_size: 0
    .sgpr_count:     34
    .sgpr_spill_count: 0
    .symbol:         _ZL29rocblas_internal_gemmt_kernelIiLi16ELi32ELi8ELc78ELc67ELc85ELb0ELb0EffPKPKfPKPfEviT_T9_T10_S7_lS9_S7_lS8_T11_S7_li.kd
    .uniform_work_group_size: 1
    .uses_dynamic_stack: false
    .vgpr_count:     48
    .vgpr_spill_count: 0
    .wavefront_size: 64
  - .agpr_count:     0
    .args:
      - .offset:         0
        .size:           4
        .value_kind:     by_value
      - .offset:         4
        .size:           4
        .value_kind:     by_value
      - .offset:         8
        .size:           4
        .value_kind:     by_value
      - .address_space:  global
        .offset:         16
        .size:           8
        .value_kind:     global_buffer
      - .offset:         24
        .size:           4
        .value_kind:     by_value
      - .offset:         32
        .size:           8
        .value_kind:     by_value
      - .address_space:  global
        .offset:         40
        .size:           8
        .value_kind:     global_buffer
      - .offset:         48
        .size:           4
        .value_kind:     by_value
      - .offset:         56
        .size:           8
        .value_kind:     by_value
      - .offset:         64
        .size:           4
        .value_kind:     by_value
      - .address_space:  global
        .offset:         72
        .size:           8
        .value_kind:     global_buffer
      - .offset:         80
        .size:           4
        .value_kind:     by_value
      - .offset:         88
        .size:           8
        .value_kind:     by_value
      - .offset:         96
        .size:           4
        .value_kind:     by_value
    .group_segment_fixed_size: 2048
    .kernarg_segment_align: 8
    .kernarg_segment_size: 100
    .language:       OpenCL C
    .language_version:
      - 2
      - 0
    .max_flat_workgroup_size: 256
    .name:           _ZL29rocblas_internal_gemmt_kernelIiLi16ELi32ELi8ELc84ELc78ELc85ELb0ELb0EffPKPKfPKPfEviT_T9_T10_S7_lS9_S7_lS8_T11_S7_li
    .private_segment_fixed_size: 0
    .sgpr_count:     31
    .sgpr_spill_count: 0
    .symbol:         _ZL29rocblas_internal_gemmt_kernelIiLi16ELi32ELi8ELc84ELc78ELc85ELb0ELb0EffPKPKfPKPfEviT_T9_T10_S7_lS9_S7_lS8_T11_S7_li.kd
    .uniform_work_group_size: 1
    .uses_dynamic_stack: false
    .vgpr_count:     48
    .vgpr_spill_count: 0
    .wavefront_size: 64
  - .agpr_count:     0
    .args:
      - .offset:         0
        .size:           4
        .value_kind:     by_value
      - .offset:         4
        .size:           4
        .value_kind:     by_value
      - .offset:         8
        .size:           4
        .value_kind:     by_value
      - .address_space:  global
        .offset:         16
        .size:           8
        .value_kind:     global_buffer
      - .offset:         24
        .size:           4
        .value_kind:     by_value
      - .offset:         32
        .size:           8
        .value_kind:     by_value
      - .address_space:  global
        .offset:         40
        .size:           8
        .value_kind:     global_buffer
      - .offset:         48
        .size:           4
        .value_kind:     by_value
      - .offset:         56
        .size:           8
        .value_kind:     by_value
      - .offset:         64
        .size:           4
        .value_kind:     by_value
      - .address_space:  global
        .offset:         72
        .size:           8
        .value_kind:     global_buffer
      - .offset:         80
        .size:           4
        .value_kind:     by_value
      - .offset:         88
        .size:           8
        .value_kind:     by_value
      - .offset:         96
        .size:           4
        .value_kind:     by_value
    .group_segment_fixed_size: 2048
    .kernarg_segment_align: 8
    .kernarg_segment_size: 100
    .language:       OpenCL C
    .language_version:
      - 2
      - 0
    .max_flat_workgroup_size: 256
    .name:           _ZL29rocblas_internal_gemmt_kernelIiLi16ELi32ELi8ELc84ELc84ELc85ELb0ELb0EffPKPKfPKPfEviT_T9_T10_S7_lS9_S7_lS8_T11_S7_li
    .private_segment_fixed_size: 0
    .sgpr_count:     32
    .sgpr_spill_count: 0
    .symbol:         _ZL29rocblas_internal_gemmt_kernelIiLi16ELi32ELi8ELc84ELc84ELc85ELb0ELb0EffPKPKfPKPfEviT_T9_T10_S7_lS9_S7_lS8_T11_S7_li.kd
    .uniform_work_group_size: 1
    .uses_dynamic_stack: false
    .vgpr_count:     48
    .vgpr_spill_count: 0
    .wavefront_size: 64
  - .agpr_count:     0
    .args:
      - .offset:         0
        .size:           4
        .value_kind:     by_value
      - .offset:         4
        .size:           4
        .value_kind:     by_value
      - .offset:         8
        .size:           4
        .value_kind:     by_value
      - .address_space:  global
        .offset:         16
        .size:           8
        .value_kind:     global_buffer
      - .offset:         24
        .size:           4
        .value_kind:     by_value
      - .offset:         32
        .size:           8
        .value_kind:     by_value
      - .address_space:  global
        .offset:         40
        .size:           8
        .value_kind:     global_buffer
      - .offset:         48
        .size:           4
        .value_kind:     by_value
      - .offset:         56
        .size:           8
        .value_kind:     by_value
      - .offset:         64
        .size:           4
        .value_kind:     by_value
      - .address_space:  global
        .offset:         72
        .size:           8
        .value_kind:     global_buffer
      - .offset:         80
        .size:           4
        .value_kind:     by_value
      - .offset:         88
        .size:           8
        .value_kind:     by_value
      - .offset:         96
        .size:           4
        .value_kind:     by_value
    .group_segment_fixed_size: 2048
    .kernarg_segment_align: 8
    .kernarg_segment_size: 100
    .language:       OpenCL C
    .language_version:
      - 2
      - 0
    .max_flat_workgroup_size: 256
    .name:           _ZL29rocblas_internal_gemmt_kernelIiLi16ELi32ELi8ELc84ELc67ELc85ELb0ELb0EffPKPKfPKPfEviT_T9_T10_S7_lS9_S7_lS8_T11_S7_li
    .private_segment_fixed_size: 0
    .sgpr_count:     32
    .sgpr_spill_count: 0
    .symbol:         _ZL29rocblas_internal_gemmt_kernelIiLi16ELi32ELi8ELc84ELc67ELc85ELb0ELb0EffPKPKfPKPfEviT_T9_T10_S7_lS9_S7_lS8_T11_S7_li.kd
    .uniform_work_group_size: 1
    .uses_dynamic_stack: false
    .vgpr_count:     48
    .vgpr_spill_count: 0
    .wavefront_size: 64
  - .agpr_count:     0
    .args:
      - .offset:         0
        .size:           4
        .value_kind:     by_value
      - .offset:         4
        .size:           4
        .value_kind:     by_value
      - .offset:         8
        .size:           4
        .value_kind:     by_value
      - .address_space:  global
        .offset:         16
        .size:           8
        .value_kind:     global_buffer
      - .offset:         24
        .size:           4
        .value_kind:     by_value
      - .offset:         32
        .size:           8
        .value_kind:     by_value
      - .address_space:  global
        .offset:         40
        .size:           8
        .value_kind:     global_buffer
      - .offset:         48
        .size:           4
        .value_kind:     by_value
      - .offset:         56
        .size:           8
        .value_kind:     by_value
      - .offset:         64
        .size:           4
        .value_kind:     by_value
      - .address_space:  global
        .offset:         72
        .size:           8
        .value_kind:     global_buffer
      - .offset:         80
        .size:           4
        .value_kind:     by_value
      - .offset:         88
        .size:           8
        .value_kind:     by_value
      - .offset:         96
        .size:           4
        .value_kind:     by_value
    .group_segment_fixed_size: 2048
    .kernarg_segment_align: 8
    .kernarg_segment_size: 100
    .language:       OpenCL C
    .language_version:
      - 2
      - 0
    .max_flat_workgroup_size: 256
    .name:           _ZL29rocblas_internal_gemmt_kernelIiLi16ELi32ELi8ELc67ELc78ELc85ELb0ELb0EffPKPKfPKPfEviT_T9_T10_S7_lS9_S7_lS8_T11_S7_li
    .private_segment_fixed_size: 0
    .sgpr_count:     31
    .sgpr_spill_count: 0
    .symbol:         _ZL29rocblas_internal_gemmt_kernelIiLi16ELi32ELi8ELc67ELc78ELc85ELb0ELb0EffPKPKfPKPfEviT_T9_T10_S7_lS9_S7_lS8_T11_S7_li.kd
    .uniform_work_group_size: 1
    .uses_dynamic_stack: false
    .vgpr_count:     48
    .vgpr_spill_count: 0
    .wavefront_size: 64
  - .agpr_count:     0
    .args:
      - .offset:         0
        .size:           4
        .value_kind:     by_value
      - .offset:         4
        .size:           4
        .value_kind:     by_value
      - .offset:         8
        .size:           4
        .value_kind:     by_value
      - .address_space:  global
        .offset:         16
        .size:           8
        .value_kind:     global_buffer
      - .offset:         24
        .size:           4
        .value_kind:     by_value
      - .offset:         32
        .size:           8
        .value_kind:     by_value
      - .address_space:  global
        .offset:         40
        .size:           8
        .value_kind:     global_buffer
      - .offset:         48
        .size:           4
        .value_kind:     by_value
      - .offset:         56
        .size:           8
        .value_kind:     by_value
      - .offset:         64
        .size:           4
        .value_kind:     by_value
      - .address_space:  global
        .offset:         72
        .size:           8
        .value_kind:     global_buffer
      - .offset:         80
        .size:           4
        .value_kind:     by_value
      - .offset:         88
        .size:           8
        .value_kind:     by_value
      - .offset:         96
        .size:           4
        .value_kind:     by_value
    .group_segment_fixed_size: 2048
    .kernarg_segment_align: 8
    .kernarg_segment_size: 100
    .language:       OpenCL C
    .language_version:
      - 2
      - 0
    .max_flat_workgroup_size: 256
    .name:           _ZL29rocblas_internal_gemmt_kernelIiLi16ELi32ELi8ELc67ELc84ELc85ELb0ELb0EffPKPKfPKPfEviT_T9_T10_S7_lS9_S7_lS8_T11_S7_li
    .private_segment_fixed_size: 0
    .sgpr_count:     32
    .sgpr_spill_count: 0
    .symbol:         _ZL29rocblas_internal_gemmt_kernelIiLi16ELi32ELi8ELc67ELc84ELc85ELb0ELb0EffPKPKfPKPfEviT_T9_T10_S7_lS9_S7_lS8_T11_S7_li.kd
    .uniform_work_group_size: 1
    .uses_dynamic_stack: false
    .vgpr_count:     48
    .vgpr_spill_count: 0
    .wavefront_size: 64
  - .agpr_count:     0
    .args:
      - .offset:         0
        .size:           4
        .value_kind:     by_value
      - .offset:         4
        .size:           4
        .value_kind:     by_value
      - .offset:         8
        .size:           4
        .value_kind:     by_value
      - .address_space:  global
        .offset:         16
        .size:           8
        .value_kind:     global_buffer
      - .offset:         24
        .size:           4
        .value_kind:     by_value
      - .offset:         32
        .size:           8
        .value_kind:     by_value
      - .address_space:  global
        .offset:         40
        .size:           8
        .value_kind:     global_buffer
      - .offset:         48
        .size:           4
        .value_kind:     by_value
      - .offset:         56
        .size:           8
        .value_kind:     by_value
      - .offset:         64
        .size:           4
        .value_kind:     by_value
      - .address_space:  global
        .offset:         72
        .size:           8
        .value_kind:     global_buffer
      - .offset:         80
        .size:           4
        .value_kind:     by_value
      - .offset:         88
        .size:           8
        .value_kind:     by_value
      - .offset:         96
        .size:           4
        .value_kind:     by_value
    .group_segment_fixed_size: 2048
    .kernarg_segment_align: 8
    .kernarg_segment_size: 100
    .language:       OpenCL C
    .language_version:
      - 2
      - 0
    .max_flat_workgroup_size: 256
    .name:           _ZL29rocblas_internal_gemmt_kernelIiLi16ELi32ELi8ELc67ELc67ELc85ELb0ELb0EffPKPKfPKPfEviT_T9_T10_S7_lS9_S7_lS8_T11_S7_li
    .private_segment_fixed_size: 0
    .sgpr_count:     32
    .sgpr_spill_count: 0
    .symbol:         _ZL29rocblas_internal_gemmt_kernelIiLi16ELi32ELi8ELc67ELc67ELc85ELb0ELb0EffPKPKfPKPfEviT_T9_T10_S7_lS9_S7_lS8_T11_S7_li.kd
    .uniform_work_group_size: 1
    .uses_dynamic_stack: false
    .vgpr_count:     48
    .vgpr_spill_count: 0
    .wavefront_size: 64
  - .agpr_count:     0
    .args:
      - .offset:         0
        .size:           4
        .value_kind:     by_value
      - .offset:         4
        .size:           4
        .value_kind:     by_value
      - .offset:         8
        .size:           4
        .value_kind:     by_value
      - .address_space:  global
        .offset:         16
        .size:           8
        .value_kind:     global_buffer
      - .offset:         24
        .size:           4
        .value_kind:     by_value
      - .offset:         32
        .size:           8
        .value_kind:     by_value
      - .address_space:  global
        .offset:         40
        .size:           8
        .value_kind:     global_buffer
      - .offset:         48
        .size:           4
        .value_kind:     by_value
      - .offset:         56
        .size:           8
        .value_kind:     by_value
      - .offset:         64
        .size:           4
        .value_kind:     by_value
      - .address_space:  global
        .offset:         72
        .size:           8
        .value_kind:     global_buffer
      - .offset:         80
        .size:           4
        .value_kind:     by_value
      - .offset:         88
        .size:           8
        .value_kind:     by_value
      - .offset:         96
        .size:           4
        .value_kind:     by_value
    .group_segment_fixed_size: 2048
    .kernarg_segment_align: 8
    .kernarg_segment_size: 100
    .language:       OpenCL C
    .language_version:
      - 2
      - 0
    .max_flat_workgroup_size: 256
    .name:           _ZL29rocblas_internal_gemmt_kernelIiLi16ELi32ELi8ELc78ELc78ELc76ELb0ELb0EffPKPKfPKPfEviT_T9_T10_S7_lS9_S7_lS8_T11_S7_li
    .private_segment_fixed_size: 0
    .sgpr_count:     32
    .sgpr_spill_count: 0
    .symbol:         _ZL29rocblas_internal_gemmt_kernelIiLi16ELi32ELi8ELc78ELc78ELc76ELb0ELb0EffPKPKfPKPfEviT_T9_T10_S7_lS9_S7_lS8_T11_S7_li.kd
    .uniform_work_group_size: 1
    .uses_dynamic_stack: false
    .vgpr_count:     48
    .vgpr_spill_count: 0
    .wavefront_size: 64
  - .agpr_count:     0
    .args:
      - .offset:         0
        .size:           4
        .value_kind:     by_value
      - .offset:         4
        .size:           4
        .value_kind:     by_value
      - .offset:         8
        .size:           4
        .value_kind:     by_value
      - .address_space:  global
        .offset:         16
        .size:           8
        .value_kind:     global_buffer
      - .offset:         24
        .size:           4
        .value_kind:     by_value
      - .offset:         32
        .size:           8
        .value_kind:     by_value
      - .address_space:  global
        .offset:         40
        .size:           8
        .value_kind:     global_buffer
      - .offset:         48
        .size:           4
        .value_kind:     by_value
      - .offset:         56
        .size:           8
        .value_kind:     by_value
      - .offset:         64
        .size:           4
        .value_kind:     by_value
      - .address_space:  global
        .offset:         72
        .size:           8
        .value_kind:     global_buffer
      - .offset:         80
        .size:           4
        .value_kind:     by_value
      - .offset:         88
        .size:           8
        .value_kind:     by_value
      - .offset:         96
        .size:           4
        .value_kind:     by_value
    .group_segment_fixed_size: 2048
    .kernarg_segment_align: 8
    .kernarg_segment_size: 100
    .language:       OpenCL C
    .language_version:
      - 2
      - 0
    .max_flat_workgroup_size: 256
    .name:           _ZL29rocblas_internal_gemmt_kernelIiLi16ELi32ELi8ELc78ELc84ELc76ELb0ELb0EffPKPKfPKPfEviT_T9_T10_S7_lS9_S7_lS8_T11_S7_li
    .private_segment_fixed_size: 0
    .sgpr_count:     34
    .sgpr_spill_count: 0
    .symbol:         _ZL29rocblas_internal_gemmt_kernelIiLi16ELi32ELi8ELc78ELc84ELc76ELb0ELb0EffPKPKfPKPfEviT_T9_T10_S7_lS9_S7_lS8_T11_S7_li.kd
    .uniform_work_group_size: 1
    .uses_dynamic_stack: false
    .vgpr_count:     48
    .vgpr_spill_count: 0
    .wavefront_size: 64
  - .agpr_count:     0
    .args:
      - .offset:         0
        .size:           4
        .value_kind:     by_value
      - .offset:         4
        .size:           4
        .value_kind:     by_value
      - .offset:         8
        .size:           4
        .value_kind:     by_value
      - .address_space:  global
        .offset:         16
        .size:           8
        .value_kind:     global_buffer
      - .offset:         24
        .size:           4
        .value_kind:     by_value
      - .offset:         32
        .size:           8
        .value_kind:     by_value
      - .address_space:  global
        .offset:         40
        .size:           8
        .value_kind:     global_buffer
      - .offset:         48
        .size:           4
        .value_kind:     by_value
      - .offset:         56
        .size:           8
        .value_kind:     by_value
      - .offset:         64
        .size:           4
        .value_kind:     by_value
      - .address_space:  global
        .offset:         72
        .size:           8
        .value_kind:     global_buffer
      - .offset:         80
        .size:           4
        .value_kind:     by_value
      - .offset:         88
        .size:           8
        .value_kind:     by_value
      - .offset:         96
        .size:           4
        .value_kind:     by_value
    .group_segment_fixed_size: 2048
    .kernarg_segment_align: 8
    .kernarg_segment_size: 100
    .language:       OpenCL C
    .language_version:
      - 2
      - 0
    .max_flat_workgroup_size: 256
    .name:           _ZL29rocblas_internal_gemmt_kernelIiLi16ELi32ELi8ELc78ELc67ELc76ELb0ELb0EffPKPKfPKPfEviT_T9_T10_S7_lS9_S7_lS8_T11_S7_li
    .private_segment_fixed_size: 0
    .sgpr_count:     34
    .sgpr_spill_count: 0
    .symbol:         _ZL29rocblas_internal_gemmt_kernelIiLi16ELi32ELi8ELc78ELc67ELc76ELb0ELb0EffPKPKfPKPfEviT_T9_T10_S7_lS9_S7_lS8_T11_S7_li.kd
    .uniform_work_group_size: 1
    .uses_dynamic_stack: false
    .vgpr_count:     48
    .vgpr_spill_count: 0
    .wavefront_size: 64
  - .agpr_count:     0
    .args:
      - .offset:         0
        .size:           4
        .value_kind:     by_value
      - .offset:         4
        .size:           4
        .value_kind:     by_value
      - .offset:         8
        .size:           4
        .value_kind:     by_value
      - .address_space:  global
        .offset:         16
        .size:           8
        .value_kind:     global_buffer
      - .offset:         24
        .size:           4
        .value_kind:     by_value
      - .offset:         32
        .size:           8
        .value_kind:     by_value
      - .address_space:  global
        .offset:         40
        .size:           8
        .value_kind:     global_buffer
      - .offset:         48
        .size:           4
        .value_kind:     by_value
      - .offset:         56
        .size:           8
        .value_kind:     by_value
      - .offset:         64
        .size:           4
        .value_kind:     by_value
      - .address_space:  global
        .offset:         72
        .size:           8
        .value_kind:     global_buffer
      - .offset:         80
        .size:           4
        .value_kind:     by_value
      - .offset:         88
        .size:           8
        .value_kind:     by_value
      - .offset:         96
        .size:           4
        .value_kind:     by_value
    .group_segment_fixed_size: 2048
    .kernarg_segment_align: 8
    .kernarg_segment_size: 100
    .language:       OpenCL C
    .language_version:
      - 2
      - 0
    .max_flat_workgroup_size: 256
    .name:           _ZL29rocblas_internal_gemmt_kernelIiLi16ELi32ELi8ELc84ELc78ELc76ELb0ELb0EffPKPKfPKPfEviT_T9_T10_S7_lS9_S7_lS8_T11_S7_li
    .private_segment_fixed_size: 0
    .sgpr_count:     31
    .sgpr_spill_count: 0
    .symbol:         _ZL29rocblas_internal_gemmt_kernelIiLi16ELi32ELi8ELc84ELc78ELc76ELb0ELb0EffPKPKfPKPfEviT_T9_T10_S7_lS9_S7_lS8_T11_S7_li.kd
    .uniform_work_group_size: 1
    .uses_dynamic_stack: false
    .vgpr_count:     48
    .vgpr_spill_count: 0
    .wavefront_size: 64
  - .agpr_count:     0
    .args:
      - .offset:         0
        .size:           4
        .value_kind:     by_value
      - .offset:         4
        .size:           4
        .value_kind:     by_value
      - .offset:         8
        .size:           4
        .value_kind:     by_value
      - .address_space:  global
        .offset:         16
        .size:           8
        .value_kind:     global_buffer
      - .offset:         24
        .size:           4
        .value_kind:     by_value
      - .offset:         32
        .size:           8
        .value_kind:     by_value
      - .address_space:  global
        .offset:         40
        .size:           8
        .value_kind:     global_buffer
      - .offset:         48
        .size:           4
        .value_kind:     by_value
      - .offset:         56
        .size:           8
        .value_kind:     by_value
      - .offset:         64
        .size:           4
        .value_kind:     by_value
      - .address_space:  global
        .offset:         72
        .size:           8
        .value_kind:     global_buffer
      - .offset:         80
        .size:           4
        .value_kind:     by_value
      - .offset:         88
        .size:           8
        .value_kind:     by_value
      - .offset:         96
        .size:           4
        .value_kind:     by_value
    .group_segment_fixed_size: 2048
    .kernarg_segment_align: 8
    .kernarg_segment_size: 100
    .language:       OpenCL C
    .language_version:
      - 2
      - 0
    .max_flat_workgroup_size: 256
    .name:           _ZL29rocblas_internal_gemmt_kernelIiLi16ELi32ELi8ELc84ELc84ELc76ELb0ELb0EffPKPKfPKPfEviT_T9_T10_S7_lS9_S7_lS8_T11_S7_li
    .private_segment_fixed_size: 0
    .sgpr_count:     32
    .sgpr_spill_count: 0
    .symbol:         _ZL29rocblas_internal_gemmt_kernelIiLi16ELi32ELi8ELc84ELc84ELc76ELb0ELb0EffPKPKfPKPfEviT_T9_T10_S7_lS9_S7_lS8_T11_S7_li.kd
    .uniform_work_group_size: 1
    .uses_dynamic_stack: false
    .vgpr_count:     48
    .vgpr_spill_count: 0
    .wavefront_size: 64
  - .agpr_count:     0
    .args:
      - .offset:         0
        .size:           4
        .value_kind:     by_value
      - .offset:         4
        .size:           4
        .value_kind:     by_value
      - .offset:         8
        .size:           4
        .value_kind:     by_value
      - .address_space:  global
        .offset:         16
        .size:           8
        .value_kind:     global_buffer
      - .offset:         24
        .size:           4
        .value_kind:     by_value
      - .offset:         32
        .size:           8
        .value_kind:     by_value
      - .address_space:  global
        .offset:         40
        .size:           8
        .value_kind:     global_buffer
      - .offset:         48
        .size:           4
        .value_kind:     by_value
      - .offset:         56
        .size:           8
        .value_kind:     by_value
      - .offset:         64
        .size:           4
        .value_kind:     by_value
      - .address_space:  global
        .offset:         72
        .size:           8
        .value_kind:     global_buffer
      - .offset:         80
        .size:           4
        .value_kind:     by_value
      - .offset:         88
        .size:           8
        .value_kind:     by_value
      - .offset:         96
        .size:           4
        .value_kind:     by_value
    .group_segment_fixed_size: 2048
    .kernarg_segment_align: 8
    .kernarg_segment_size: 100
    .language:       OpenCL C
    .language_version:
      - 2
      - 0
    .max_flat_workgroup_size: 256
    .name:           _ZL29rocblas_internal_gemmt_kernelIiLi16ELi32ELi8ELc84ELc67ELc76ELb0ELb0EffPKPKfPKPfEviT_T9_T10_S7_lS9_S7_lS8_T11_S7_li
    .private_segment_fixed_size: 0
    .sgpr_count:     32
    .sgpr_spill_count: 0
    .symbol:         _ZL29rocblas_internal_gemmt_kernelIiLi16ELi32ELi8ELc84ELc67ELc76ELb0ELb0EffPKPKfPKPfEviT_T9_T10_S7_lS9_S7_lS8_T11_S7_li.kd
    .uniform_work_group_size: 1
    .uses_dynamic_stack: false
    .vgpr_count:     48
    .vgpr_spill_count: 0
    .wavefront_size: 64
  - .agpr_count:     0
    .args:
      - .offset:         0
        .size:           4
        .value_kind:     by_value
      - .offset:         4
        .size:           4
        .value_kind:     by_value
      - .offset:         8
        .size:           4
        .value_kind:     by_value
      - .address_space:  global
        .offset:         16
        .size:           8
        .value_kind:     global_buffer
      - .offset:         24
        .size:           4
        .value_kind:     by_value
      - .offset:         32
        .size:           8
        .value_kind:     by_value
      - .address_space:  global
        .offset:         40
        .size:           8
        .value_kind:     global_buffer
      - .offset:         48
        .size:           4
        .value_kind:     by_value
      - .offset:         56
        .size:           8
        .value_kind:     by_value
      - .offset:         64
        .size:           4
        .value_kind:     by_value
      - .address_space:  global
        .offset:         72
        .size:           8
        .value_kind:     global_buffer
      - .offset:         80
        .size:           4
        .value_kind:     by_value
      - .offset:         88
        .size:           8
        .value_kind:     by_value
      - .offset:         96
        .size:           4
        .value_kind:     by_value
    .group_segment_fixed_size: 2048
    .kernarg_segment_align: 8
    .kernarg_segment_size: 100
    .language:       OpenCL C
    .language_version:
      - 2
      - 0
    .max_flat_workgroup_size: 256
    .name:           _ZL29rocblas_internal_gemmt_kernelIiLi16ELi32ELi8ELc67ELc78ELc76ELb0ELb0EffPKPKfPKPfEviT_T9_T10_S7_lS9_S7_lS8_T11_S7_li
    .private_segment_fixed_size: 0
    .sgpr_count:     31
    .sgpr_spill_count: 0
    .symbol:         _ZL29rocblas_internal_gemmt_kernelIiLi16ELi32ELi8ELc67ELc78ELc76ELb0ELb0EffPKPKfPKPfEviT_T9_T10_S7_lS9_S7_lS8_T11_S7_li.kd
    .uniform_work_group_size: 1
    .uses_dynamic_stack: false
    .vgpr_count:     48
    .vgpr_spill_count: 0
    .wavefront_size: 64
  - .agpr_count:     0
    .args:
      - .offset:         0
        .size:           4
        .value_kind:     by_value
      - .offset:         4
        .size:           4
        .value_kind:     by_value
      - .offset:         8
        .size:           4
        .value_kind:     by_value
      - .address_space:  global
        .offset:         16
        .size:           8
        .value_kind:     global_buffer
      - .offset:         24
        .size:           4
        .value_kind:     by_value
      - .offset:         32
        .size:           8
        .value_kind:     by_value
      - .address_space:  global
        .offset:         40
        .size:           8
        .value_kind:     global_buffer
      - .offset:         48
        .size:           4
        .value_kind:     by_value
      - .offset:         56
        .size:           8
        .value_kind:     by_value
      - .offset:         64
        .size:           4
        .value_kind:     by_value
      - .address_space:  global
        .offset:         72
        .size:           8
        .value_kind:     global_buffer
      - .offset:         80
        .size:           4
        .value_kind:     by_value
      - .offset:         88
        .size:           8
        .value_kind:     by_value
      - .offset:         96
        .size:           4
        .value_kind:     by_value
    .group_segment_fixed_size: 2048
    .kernarg_segment_align: 8
    .kernarg_segment_size: 100
    .language:       OpenCL C
    .language_version:
      - 2
      - 0
    .max_flat_workgroup_size: 256
    .name:           _ZL29rocblas_internal_gemmt_kernelIiLi16ELi32ELi8ELc67ELc84ELc76ELb0ELb0EffPKPKfPKPfEviT_T9_T10_S7_lS9_S7_lS8_T11_S7_li
    .private_segment_fixed_size: 0
    .sgpr_count:     32
    .sgpr_spill_count: 0
    .symbol:         _ZL29rocblas_internal_gemmt_kernelIiLi16ELi32ELi8ELc67ELc84ELc76ELb0ELb0EffPKPKfPKPfEviT_T9_T10_S7_lS9_S7_lS8_T11_S7_li.kd
    .uniform_work_group_size: 1
    .uses_dynamic_stack: false
    .vgpr_count:     48
    .vgpr_spill_count: 0
    .wavefront_size: 64
  - .agpr_count:     0
    .args:
      - .offset:         0
        .size:           4
        .value_kind:     by_value
      - .offset:         4
        .size:           4
        .value_kind:     by_value
      - .offset:         8
        .size:           4
        .value_kind:     by_value
      - .address_space:  global
        .offset:         16
        .size:           8
        .value_kind:     global_buffer
      - .offset:         24
        .size:           4
        .value_kind:     by_value
      - .offset:         32
        .size:           8
        .value_kind:     by_value
      - .address_space:  global
        .offset:         40
        .size:           8
        .value_kind:     global_buffer
      - .offset:         48
        .size:           4
        .value_kind:     by_value
      - .offset:         56
        .size:           8
        .value_kind:     by_value
      - .offset:         64
        .size:           4
        .value_kind:     by_value
      - .address_space:  global
        .offset:         72
        .size:           8
        .value_kind:     global_buffer
      - .offset:         80
        .size:           4
        .value_kind:     by_value
      - .offset:         88
        .size:           8
        .value_kind:     by_value
      - .offset:         96
        .size:           4
        .value_kind:     by_value
    .group_segment_fixed_size: 2048
    .kernarg_segment_align: 8
    .kernarg_segment_size: 100
    .language:       OpenCL C
    .language_version:
      - 2
      - 0
    .max_flat_workgroup_size: 256
    .name:           _ZL29rocblas_internal_gemmt_kernelIiLi16ELi32ELi8ELc67ELc67ELc76ELb0ELb0EffPKPKfPKPfEviT_T9_T10_S7_lS9_S7_lS8_T11_S7_li
    .private_segment_fixed_size: 0
    .sgpr_count:     32
    .sgpr_spill_count: 0
    .symbol:         _ZL29rocblas_internal_gemmt_kernelIiLi16ELi32ELi8ELc67ELc67ELc76ELb0ELb0EffPKPKfPKPfEviT_T9_T10_S7_lS9_S7_lS8_T11_S7_li.kd
    .uniform_work_group_size: 1
    .uses_dynamic_stack: false
    .vgpr_count:     48
    .vgpr_spill_count: 0
    .wavefront_size: 64
  - .agpr_count:     0
    .args:
      - .offset:         0
        .size:           4
        .value_kind:     by_value
      - .offset:         4
        .size:           4
        .value_kind:     by_value
      - .address_space:  global
        .offset:         8
        .size:           8
        .value_kind:     global_buffer
      - .address_space:  global
        .offset:         16
        .size:           8
        .value_kind:     global_buffer
      - .offset:         24
        .size:           4
        .value_kind:     by_value
      - .offset:         32
        .size:           8
        .value_kind:     by_value
      - .address_space:  global
        .offset:         40
        .size:           8
        .value_kind:     global_buffer
      - .offset:         48
        .size:           4
        .value_kind:     by_value
      - .offset:         56
        .size:           8
        .value_kind:     by_value
      - .address_space:  global
        .offset:         64
        .size:           8
        .value_kind:     global_buffer
      - .address_space:  global
        .offset:         72
        .size:           8
        .value_kind:     global_buffer
      - .offset:         80
        .size:           4
        .value_kind:     by_value
      - .offset:         88
        .size:           8
        .value_kind:     by_value
      - .offset:         96
        .size:           4
        .value_kind:     by_value
    .group_segment_fixed_size: 4096
    .kernarg_segment_align: 8
    .kernarg_segment_size: 100
    .language:       OpenCL C
    .language_version:
      - 2
      - 0
    .max_flat_workgroup_size: 256
    .name:           _ZL29rocblas_internal_gemmt_kernelIiLi16ELi32ELi8ELc78ELc78ELc85ELb0ELb0EdPKdPKS1_PKPdEviT_T9_T10_S7_lS9_S7_lS8_T11_S7_li
    .private_segment_fixed_size: 0
    .sgpr_count:     34
    .sgpr_spill_count: 0
    .symbol:         _ZL29rocblas_internal_gemmt_kernelIiLi16ELi32ELi8ELc78ELc78ELc85ELb0ELb0EdPKdPKS1_PKPdEviT_T9_T10_S7_lS9_S7_lS8_T11_S7_li.kd
    .uniform_work_group_size: 1
    .uses_dynamic_stack: false
    .vgpr_count:     52
    .vgpr_spill_count: 0
    .wavefront_size: 64
  - .agpr_count:     0
    .args:
      - .offset:         0
        .size:           4
        .value_kind:     by_value
      - .offset:         4
        .size:           4
        .value_kind:     by_value
      - .address_space:  global
        .offset:         8
        .size:           8
        .value_kind:     global_buffer
      - .address_space:  global
        .offset:         16
        .size:           8
        .value_kind:     global_buffer
      - .offset:         24
        .size:           4
        .value_kind:     by_value
      - .offset:         32
        .size:           8
        .value_kind:     by_value
      - .address_space:  global
        .offset:         40
        .size:           8
        .value_kind:     global_buffer
      - .offset:         48
        .size:           4
        .value_kind:     by_value
      - .offset:         56
        .size:           8
        .value_kind:     by_value
      - .address_space:  global
        .offset:         64
        .size:           8
        .value_kind:     global_buffer
      - .address_space:  global
        .offset:         72
        .size:           8
        .value_kind:     global_buffer
      - .offset:         80
        .size:           4
        .value_kind:     by_value
      - .offset:         88
        .size:           8
        .value_kind:     by_value
      - .offset:         96
        .size:           4
        .value_kind:     by_value
    .group_segment_fixed_size: 4096
    .kernarg_segment_align: 8
    .kernarg_segment_size: 100
    .language:       OpenCL C
    .language_version:
      - 2
      - 0
    .max_flat_workgroup_size: 256
    .name:           _ZL29rocblas_internal_gemmt_kernelIiLi16ELi32ELi8ELc78ELc84ELc85ELb0ELb0EdPKdPKS1_PKPdEviT_T9_T10_S7_lS9_S7_lS8_T11_S7_li
    .private_segment_fixed_size: 0
    .sgpr_count:     36
    .sgpr_spill_count: 0
    .symbol:         _ZL29rocblas_internal_gemmt_kernelIiLi16ELi32ELi8ELc78ELc84ELc85ELb0ELb0EdPKdPKS1_PKPdEviT_T9_T10_S7_lS9_S7_lS8_T11_S7_li.kd
    .uniform_work_group_size: 1
    .uses_dynamic_stack: false
    .vgpr_count:     52
    .vgpr_spill_count: 0
    .wavefront_size: 64
  - .agpr_count:     0
    .args:
      - .offset:         0
        .size:           4
        .value_kind:     by_value
      - .offset:         4
        .size:           4
        .value_kind:     by_value
      - .address_space:  global
        .offset:         8
        .size:           8
        .value_kind:     global_buffer
      - .address_space:  global
        .offset:         16
        .size:           8
        .value_kind:     global_buffer
      - .offset:         24
        .size:           4
        .value_kind:     by_value
      - .offset:         32
        .size:           8
        .value_kind:     by_value
      - .address_space:  global
        .offset:         40
        .size:           8
        .value_kind:     global_buffer
      - .offset:         48
        .size:           4
        .value_kind:     by_value
      - .offset:         56
        .size:           8
        .value_kind:     by_value
      - .address_space:  global
        .offset:         64
        .size:           8
        .value_kind:     global_buffer
      - .address_space:  global
        .offset:         72
        .size:           8
        .value_kind:     global_buffer
      - .offset:         80
        .size:           4
        .value_kind:     by_value
      - .offset:         88
        .size:           8
        .value_kind:     by_value
      - .offset:         96
        .size:           4
        .value_kind:     by_value
    .group_segment_fixed_size: 4096
    .kernarg_segment_align: 8
    .kernarg_segment_size: 100
    .language:       OpenCL C
    .language_version:
      - 2
      - 0
    .max_flat_workgroup_size: 256
    .name:           _ZL29rocblas_internal_gemmt_kernelIiLi16ELi32ELi8ELc78ELc67ELc85ELb0ELb0EdPKdPKS1_PKPdEviT_T9_T10_S7_lS9_S7_lS8_T11_S7_li
    .private_segment_fixed_size: 0
    .sgpr_count:     36
    .sgpr_spill_count: 0
    .symbol:         _ZL29rocblas_internal_gemmt_kernelIiLi16ELi32ELi8ELc78ELc67ELc85ELb0ELb0EdPKdPKS1_PKPdEviT_T9_T10_S7_lS9_S7_lS8_T11_S7_li.kd
    .uniform_work_group_size: 1
    .uses_dynamic_stack: false
    .vgpr_count:     52
    .vgpr_spill_count: 0
    .wavefront_size: 64
  - .agpr_count:     0
    .args:
      - .offset:         0
        .size:           4
        .value_kind:     by_value
      - .offset:         4
        .size:           4
        .value_kind:     by_value
      - .address_space:  global
        .offset:         8
        .size:           8
        .value_kind:     global_buffer
      - .address_space:  global
        .offset:         16
        .size:           8
        .value_kind:     global_buffer
      - .offset:         24
        .size:           4
        .value_kind:     by_value
      - .offset:         32
        .size:           8
        .value_kind:     by_value
      - .address_space:  global
        .offset:         40
        .size:           8
        .value_kind:     global_buffer
      - .offset:         48
        .size:           4
        .value_kind:     by_value
      - .offset:         56
        .size:           8
        .value_kind:     by_value
      - .address_space:  global
        .offset:         64
        .size:           8
        .value_kind:     global_buffer
      - .address_space:  global
        .offset:         72
        .size:           8
        .value_kind:     global_buffer
      - .offset:         80
        .size:           4
        .value_kind:     by_value
      - .offset:         88
        .size:           8
        .value_kind:     by_value
      - .offset:         96
        .size:           4
        .value_kind:     by_value
    .group_segment_fixed_size: 4096
    .kernarg_segment_align: 8
    .kernarg_segment_size: 100
    .language:       OpenCL C
    .language_version:
      - 2
      - 0
    .max_flat_workgroup_size: 256
    .name:           _ZL29rocblas_internal_gemmt_kernelIiLi16ELi32ELi8ELc84ELc78ELc85ELb0ELb0EdPKdPKS1_PKPdEviT_T9_T10_S7_lS9_S7_lS8_T11_S7_li
    .private_segment_fixed_size: 0
    .sgpr_count:     35
    .sgpr_spill_count: 0
    .symbol:         _ZL29rocblas_internal_gemmt_kernelIiLi16ELi32ELi8ELc84ELc78ELc85ELb0ELb0EdPKdPKS1_PKPdEviT_T9_T10_S7_lS9_S7_lS8_T11_S7_li.kd
    .uniform_work_group_size: 1
    .uses_dynamic_stack: false
    .vgpr_count:     52
    .vgpr_spill_count: 0
    .wavefront_size: 64
  - .agpr_count:     0
    .args:
      - .offset:         0
        .size:           4
        .value_kind:     by_value
      - .offset:         4
        .size:           4
        .value_kind:     by_value
      - .address_space:  global
        .offset:         8
        .size:           8
        .value_kind:     global_buffer
      - .address_space:  global
        .offset:         16
        .size:           8
        .value_kind:     global_buffer
      - .offset:         24
        .size:           4
        .value_kind:     by_value
      - .offset:         32
        .size:           8
        .value_kind:     by_value
      - .address_space:  global
        .offset:         40
        .size:           8
        .value_kind:     global_buffer
      - .offset:         48
        .size:           4
        .value_kind:     by_value
      - .offset:         56
        .size:           8
        .value_kind:     by_value
      - .address_space:  global
        .offset:         64
        .size:           8
        .value_kind:     global_buffer
      - .address_space:  global
        .offset:         72
        .size:           8
        .value_kind:     global_buffer
      - .offset:         80
        .size:           4
        .value_kind:     by_value
      - .offset:         88
        .size:           8
        .value_kind:     by_value
      - .offset:         96
        .size:           4
        .value_kind:     by_value
    .group_segment_fixed_size: 4096
    .kernarg_segment_align: 8
    .kernarg_segment_size: 100
    .language:       OpenCL C
    .language_version:
      - 2
      - 0
    .max_flat_workgroup_size: 256
    .name:           _ZL29rocblas_internal_gemmt_kernelIiLi16ELi32ELi8ELc84ELc84ELc85ELb0ELb0EdPKdPKS1_PKPdEviT_T9_T10_S7_lS9_S7_lS8_T11_S7_li
    .private_segment_fixed_size: 0
    .sgpr_count:     34
    .sgpr_spill_count: 0
    .symbol:         _ZL29rocblas_internal_gemmt_kernelIiLi16ELi32ELi8ELc84ELc84ELc85ELb0ELb0EdPKdPKS1_PKPdEviT_T9_T10_S7_lS9_S7_lS8_T11_S7_li.kd
    .uniform_work_group_size: 1
    .uses_dynamic_stack: false
    .vgpr_count:     52
    .vgpr_spill_count: 0
    .wavefront_size: 64
  - .agpr_count:     0
    .args:
      - .offset:         0
        .size:           4
        .value_kind:     by_value
      - .offset:         4
        .size:           4
        .value_kind:     by_value
      - .address_space:  global
        .offset:         8
        .size:           8
        .value_kind:     global_buffer
      - .address_space:  global
        .offset:         16
        .size:           8
        .value_kind:     global_buffer
      - .offset:         24
        .size:           4
        .value_kind:     by_value
      - .offset:         32
        .size:           8
        .value_kind:     by_value
      - .address_space:  global
        .offset:         40
        .size:           8
        .value_kind:     global_buffer
      - .offset:         48
        .size:           4
        .value_kind:     by_value
      - .offset:         56
        .size:           8
        .value_kind:     by_value
      - .address_space:  global
        .offset:         64
        .size:           8
        .value_kind:     global_buffer
      - .address_space:  global
        .offset:         72
        .size:           8
        .value_kind:     global_buffer
      - .offset:         80
        .size:           4
        .value_kind:     by_value
      - .offset:         88
        .size:           8
        .value_kind:     by_value
      - .offset:         96
        .size:           4
        .value_kind:     by_value
    .group_segment_fixed_size: 4096
    .kernarg_segment_align: 8
    .kernarg_segment_size: 100
    .language:       OpenCL C
    .language_version:
      - 2
      - 0
    .max_flat_workgroup_size: 256
    .name:           _ZL29rocblas_internal_gemmt_kernelIiLi16ELi32ELi8ELc84ELc67ELc85ELb0ELb0EdPKdPKS1_PKPdEviT_T9_T10_S7_lS9_S7_lS8_T11_S7_li
    .private_segment_fixed_size: 0
    .sgpr_count:     34
    .sgpr_spill_count: 0
    .symbol:         _ZL29rocblas_internal_gemmt_kernelIiLi16ELi32ELi8ELc84ELc67ELc85ELb0ELb0EdPKdPKS1_PKPdEviT_T9_T10_S7_lS9_S7_lS8_T11_S7_li.kd
    .uniform_work_group_size: 1
    .uses_dynamic_stack: false
    .vgpr_count:     52
    .vgpr_spill_count: 0
    .wavefront_size: 64
  - .agpr_count:     0
    .args:
      - .offset:         0
        .size:           4
        .value_kind:     by_value
      - .offset:         4
        .size:           4
        .value_kind:     by_value
      - .address_space:  global
        .offset:         8
        .size:           8
        .value_kind:     global_buffer
      - .address_space:  global
        .offset:         16
        .size:           8
        .value_kind:     global_buffer
      - .offset:         24
        .size:           4
        .value_kind:     by_value
      - .offset:         32
        .size:           8
        .value_kind:     by_value
      - .address_space:  global
        .offset:         40
        .size:           8
        .value_kind:     global_buffer
      - .offset:         48
        .size:           4
        .value_kind:     by_value
      - .offset:         56
        .size:           8
        .value_kind:     by_value
      - .address_space:  global
        .offset:         64
        .size:           8
        .value_kind:     global_buffer
      - .address_space:  global
        .offset:         72
        .size:           8
        .value_kind:     global_buffer
      - .offset:         80
        .size:           4
        .value_kind:     by_value
      - .offset:         88
        .size:           8
        .value_kind:     by_value
      - .offset:         96
        .size:           4
        .value_kind:     by_value
    .group_segment_fixed_size: 4096
    .kernarg_segment_align: 8
    .kernarg_segment_size: 100
    .language:       OpenCL C
    .language_version:
      - 2
      - 0
    .max_flat_workgroup_size: 256
    .name:           _ZL29rocblas_internal_gemmt_kernelIiLi16ELi32ELi8ELc67ELc78ELc85ELb0ELb0EdPKdPKS1_PKPdEviT_T9_T10_S7_lS9_S7_lS8_T11_S7_li
    .private_segment_fixed_size: 0
    .sgpr_count:     35
    .sgpr_spill_count: 0
    .symbol:         _ZL29rocblas_internal_gemmt_kernelIiLi16ELi32ELi8ELc67ELc78ELc85ELb0ELb0EdPKdPKS1_PKPdEviT_T9_T10_S7_lS9_S7_lS8_T11_S7_li.kd
    .uniform_work_group_size: 1
    .uses_dynamic_stack: false
    .vgpr_count:     52
    .vgpr_spill_count: 0
    .wavefront_size: 64
  - .agpr_count:     0
    .args:
      - .offset:         0
        .size:           4
        .value_kind:     by_value
      - .offset:         4
        .size:           4
        .value_kind:     by_value
      - .address_space:  global
        .offset:         8
        .size:           8
        .value_kind:     global_buffer
      - .address_space:  global
        .offset:         16
        .size:           8
        .value_kind:     global_buffer
      - .offset:         24
        .size:           4
        .value_kind:     by_value
      - .offset:         32
        .size:           8
        .value_kind:     by_value
      - .address_space:  global
        .offset:         40
        .size:           8
        .value_kind:     global_buffer
      - .offset:         48
        .size:           4
        .value_kind:     by_value
      - .offset:         56
        .size:           8
        .value_kind:     by_value
      - .address_space:  global
        .offset:         64
        .size:           8
        .value_kind:     global_buffer
      - .address_space:  global
        .offset:         72
        .size:           8
        .value_kind:     global_buffer
      - .offset:         80
        .size:           4
        .value_kind:     by_value
      - .offset:         88
        .size:           8
        .value_kind:     by_value
      - .offset:         96
        .size:           4
        .value_kind:     by_value
    .group_segment_fixed_size: 4096
    .kernarg_segment_align: 8
    .kernarg_segment_size: 100
    .language:       OpenCL C
    .language_version:
      - 2
      - 0
    .max_flat_workgroup_size: 256
    .name:           _ZL29rocblas_internal_gemmt_kernelIiLi16ELi32ELi8ELc67ELc84ELc85ELb0ELb0EdPKdPKS1_PKPdEviT_T9_T10_S7_lS9_S7_lS8_T11_S7_li
    .private_segment_fixed_size: 0
    .sgpr_count:     34
    .sgpr_spill_count: 0
    .symbol:         _ZL29rocblas_internal_gemmt_kernelIiLi16ELi32ELi8ELc67ELc84ELc85ELb0ELb0EdPKdPKS1_PKPdEviT_T9_T10_S7_lS9_S7_lS8_T11_S7_li.kd
    .uniform_work_group_size: 1
    .uses_dynamic_stack: false
    .vgpr_count:     52
    .vgpr_spill_count: 0
    .wavefront_size: 64
  - .agpr_count:     0
    .args:
      - .offset:         0
        .size:           4
        .value_kind:     by_value
      - .offset:         4
        .size:           4
        .value_kind:     by_value
      - .address_space:  global
        .offset:         8
        .size:           8
        .value_kind:     global_buffer
      - .address_space:  global
        .offset:         16
        .size:           8
        .value_kind:     global_buffer
      - .offset:         24
        .size:           4
        .value_kind:     by_value
      - .offset:         32
        .size:           8
        .value_kind:     by_value
      - .address_space:  global
        .offset:         40
        .size:           8
        .value_kind:     global_buffer
      - .offset:         48
        .size:           4
        .value_kind:     by_value
      - .offset:         56
        .size:           8
        .value_kind:     by_value
      - .address_space:  global
        .offset:         64
        .size:           8
        .value_kind:     global_buffer
      - .address_space:  global
        .offset:         72
        .size:           8
        .value_kind:     global_buffer
      - .offset:         80
        .size:           4
        .value_kind:     by_value
      - .offset:         88
        .size:           8
        .value_kind:     by_value
      - .offset:         96
        .size:           4
        .value_kind:     by_value
    .group_segment_fixed_size: 4096
    .kernarg_segment_align: 8
    .kernarg_segment_size: 100
    .language:       OpenCL C
    .language_version:
      - 2
      - 0
    .max_flat_workgroup_size: 256
    .name:           _ZL29rocblas_internal_gemmt_kernelIiLi16ELi32ELi8ELc67ELc67ELc85ELb0ELb0EdPKdPKS1_PKPdEviT_T9_T10_S7_lS9_S7_lS8_T11_S7_li
    .private_segment_fixed_size: 0
    .sgpr_count:     34
    .sgpr_spill_count: 0
    .symbol:         _ZL29rocblas_internal_gemmt_kernelIiLi16ELi32ELi8ELc67ELc67ELc85ELb0ELb0EdPKdPKS1_PKPdEviT_T9_T10_S7_lS9_S7_lS8_T11_S7_li.kd
    .uniform_work_group_size: 1
    .uses_dynamic_stack: false
    .vgpr_count:     52
    .vgpr_spill_count: 0
    .wavefront_size: 64
  - .agpr_count:     0
    .args:
      - .offset:         0
        .size:           4
        .value_kind:     by_value
      - .offset:         4
        .size:           4
        .value_kind:     by_value
      - .address_space:  global
        .offset:         8
        .size:           8
        .value_kind:     global_buffer
      - .address_space:  global
        .offset:         16
        .size:           8
        .value_kind:     global_buffer
      - .offset:         24
        .size:           4
        .value_kind:     by_value
      - .offset:         32
        .size:           8
        .value_kind:     by_value
      - .address_space:  global
        .offset:         40
        .size:           8
        .value_kind:     global_buffer
      - .offset:         48
        .size:           4
        .value_kind:     by_value
      - .offset:         56
        .size:           8
        .value_kind:     by_value
      - .address_space:  global
        .offset:         64
        .size:           8
        .value_kind:     global_buffer
      - .address_space:  global
        .offset:         72
        .size:           8
        .value_kind:     global_buffer
      - .offset:         80
        .size:           4
        .value_kind:     by_value
      - .offset:         88
        .size:           8
        .value_kind:     by_value
      - .offset:         96
        .size:           4
        .value_kind:     by_value
    .group_segment_fixed_size: 4096
    .kernarg_segment_align: 8
    .kernarg_segment_size: 100
    .language:       OpenCL C
    .language_version:
      - 2
      - 0
    .max_flat_workgroup_size: 256
    .name:           _ZL29rocblas_internal_gemmt_kernelIiLi16ELi32ELi8ELc78ELc78ELc76ELb0ELb0EdPKdPKS1_PKPdEviT_T9_T10_S7_lS9_S7_lS8_T11_S7_li
    .private_segment_fixed_size: 0
    .sgpr_count:     34
    .sgpr_spill_count: 0
    .symbol:         _ZL29rocblas_internal_gemmt_kernelIiLi16ELi32ELi8ELc78ELc78ELc76ELb0ELb0EdPKdPKS1_PKPdEviT_T9_T10_S7_lS9_S7_lS8_T11_S7_li.kd
    .uniform_work_group_size: 1
    .uses_dynamic_stack: false
    .vgpr_count:     52
    .vgpr_spill_count: 0
    .wavefront_size: 64
  - .agpr_count:     0
    .args:
      - .offset:         0
        .size:           4
        .value_kind:     by_value
      - .offset:         4
        .size:           4
        .value_kind:     by_value
      - .address_space:  global
        .offset:         8
        .size:           8
        .value_kind:     global_buffer
      - .address_space:  global
        .offset:         16
        .size:           8
        .value_kind:     global_buffer
      - .offset:         24
        .size:           4
        .value_kind:     by_value
      - .offset:         32
        .size:           8
        .value_kind:     by_value
      - .address_space:  global
        .offset:         40
        .size:           8
        .value_kind:     global_buffer
      - .offset:         48
        .size:           4
        .value_kind:     by_value
      - .offset:         56
        .size:           8
        .value_kind:     by_value
      - .address_space:  global
        .offset:         64
        .size:           8
        .value_kind:     global_buffer
      - .address_space:  global
        .offset:         72
        .size:           8
        .value_kind:     global_buffer
      - .offset:         80
        .size:           4
        .value_kind:     by_value
      - .offset:         88
        .size:           8
        .value_kind:     by_value
      - .offset:         96
        .size:           4
        .value_kind:     by_value
    .group_segment_fixed_size: 4096
    .kernarg_segment_align: 8
    .kernarg_segment_size: 100
    .language:       OpenCL C
    .language_version:
      - 2
      - 0
    .max_flat_workgroup_size: 256
    .name:           _ZL29rocblas_internal_gemmt_kernelIiLi16ELi32ELi8ELc78ELc84ELc76ELb0ELb0EdPKdPKS1_PKPdEviT_T9_T10_S7_lS9_S7_lS8_T11_S7_li
    .private_segment_fixed_size: 0
    .sgpr_count:     36
    .sgpr_spill_count: 0
    .symbol:         _ZL29rocblas_internal_gemmt_kernelIiLi16ELi32ELi8ELc78ELc84ELc76ELb0ELb0EdPKdPKS1_PKPdEviT_T9_T10_S7_lS9_S7_lS8_T11_S7_li.kd
    .uniform_work_group_size: 1
    .uses_dynamic_stack: false
    .vgpr_count:     52
    .vgpr_spill_count: 0
    .wavefront_size: 64
  - .agpr_count:     0
    .args:
      - .offset:         0
        .size:           4
        .value_kind:     by_value
      - .offset:         4
        .size:           4
        .value_kind:     by_value
      - .address_space:  global
        .offset:         8
        .size:           8
        .value_kind:     global_buffer
      - .address_space:  global
        .offset:         16
        .size:           8
        .value_kind:     global_buffer
      - .offset:         24
        .size:           4
        .value_kind:     by_value
      - .offset:         32
        .size:           8
        .value_kind:     by_value
      - .address_space:  global
        .offset:         40
        .size:           8
        .value_kind:     global_buffer
      - .offset:         48
        .size:           4
        .value_kind:     by_value
      - .offset:         56
        .size:           8
        .value_kind:     by_value
      - .address_space:  global
        .offset:         64
        .size:           8
        .value_kind:     global_buffer
      - .address_space:  global
        .offset:         72
        .size:           8
        .value_kind:     global_buffer
      - .offset:         80
        .size:           4
        .value_kind:     by_value
      - .offset:         88
        .size:           8
        .value_kind:     by_value
      - .offset:         96
        .size:           4
        .value_kind:     by_value
    .group_segment_fixed_size: 4096
    .kernarg_segment_align: 8
    .kernarg_segment_size: 100
    .language:       OpenCL C
    .language_version:
      - 2
      - 0
    .max_flat_workgroup_size: 256
    .name:           _ZL29rocblas_internal_gemmt_kernelIiLi16ELi32ELi8ELc78ELc67ELc76ELb0ELb0EdPKdPKS1_PKPdEviT_T9_T10_S7_lS9_S7_lS8_T11_S7_li
    .private_segment_fixed_size: 0
    .sgpr_count:     36
    .sgpr_spill_count: 0
    .symbol:         _ZL29rocblas_internal_gemmt_kernelIiLi16ELi32ELi8ELc78ELc67ELc76ELb0ELb0EdPKdPKS1_PKPdEviT_T9_T10_S7_lS9_S7_lS8_T11_S7_li.kd
    .uniform_work_group_size: 1
    .uses_dynamic_stack: false
    .vgpr_count:     52
    .vgpr_spill_count: 0
    .wavefront_size: 64
  - .agpr_count:     0
    .args:
      - .offset:         0
        .size:           4
        .value_kind:     by_value
      - .offset:         4
        .size:           4
        .value_kind:     by_value
      - .address_space:  global
        .offset:         8
        .size:           8
        .value_kind:     global_buffer
      - .address_space:  global
        .offset:         16
        .size:           8
        .value_kind:     global_buffer
      - .offset:         24
        .size:           4
        .value_kind:     by_value
      - .offset:         32
        .size:           8
        .value_kind:     by_value
      - .address_space:  global
        .offset:         40
        .size:           8
        .value_kind:     global_buffer
      - .offset:         48
        .size:           4
        .value_kind:     by_value
      - .offset:         56
        .size:           8
        .value_kind:     by_value
      - .address_space:  global
        .offset:         64
        .size:           8
        .value_kind:     global_buffer
      - .address_space:  global
        .offset:         72
        .size:           8
        .value_kind:     global_buffer
      - .offset:         80
        .size:           4
        .value_kind:     by_value
      - .offset:         88
        .size:           8
        .value_kind:     by_value
      - .offset:         96
        .size:           4
        .value_kind:     by_value
    .group_segment_fixed_size: 4096
    .kernarg_segment_align: 8
    .kernarg_segment_size: 100
    .language:       OpenCL C
    .language_version:
      - 2
      - 0
    .max_flat_workgroup_size: 256
    .name:           _ZL29rocblas_internal_gemmt_kernelIiLi16ELi32ELi8ELc84ELc78ELc76ELb0ELb0EdPKdPKS1_PKPdEviT_T9_T10_S7_lS9_S7_lS8_T11_S7_li
    .private_segment_fixed_size: 0
    .sgpr_count:     35
    .sgpr_spill_count: 0
    .symbol:         _ZL29rocblas_internal_gemmt_kernelIiLi16ELi32ELi8ELc84ELc78ELc76ELb0ELb0EdPKdPKS1_PKPdEviT_T9_T10_S7_lS9_S7_lS8_T11_S7_li.kd
    .uniform_work_group_size: 1
    .uses_dynamic_stack: false
    .vgpr_count:     52
    .vgpr_spill_count: 0
    .wavefront_size: 64
  - .agpr_count:     0
    .args:
      - .offset:         0
        .size:           4
        .value_kind:     by_value
      - .offset:         4
        .size:           4
        .value_kind:     by_value
      - .address_space:  global
        .offset:         8
        .size:           8
        .value_kind:     global_buffer
      - .address_space:  global
        .offset:         16
        .size:           8
        .value_kind:     global_buffer
      - .offset:         24
        .size:           4
        .value_kind:     by_value
      - .offset:         32
        .size:           8
        .value_kind:     by_value
      - .address_space:  global
        .offset:         40
        .size:           8
        .value_kind:     global_buffer
      - .offset:         48
        .size:           4
        .value_kind:     by_value
      - .offset:         56
        .size:           8
        .value_kind:     by_value
      - .address_space:  global
        .offset:         64
        .size:           8
        .value_kind:     global_buffer
      - .address_space:  global
        .offset:         72
        .size:           8
        .value_kind:     global_buffer
      - .offset:         80
        .size:           4
        .value_kind:     by_value
      - .offset:         88
        .size:           8
        .value_kind:     by_value
      - .offset:         96
        .size:           4
        .value_kind:     by_value
    .group_segment_fixed_size: 4096
    .kernarg_segment_align: 8
    .kernarg_segment_size: 100
    .language:       OpenCL C
    .language_version:
      - 2
      - 0
    .max_flat_workgroup_size: 256
    .name:           _ZL29rocblas_internal_gemmt_kernelIiLi16ELi32ELi8ELc84ELc84ELc76ELb0ELb0EdPKdPKS1_PKPdEviT_T9_T10_S7_lS9_S7_lS8_T11_S7_li
    .private_segment_fixed_size: 0
    .sgpr_count:     34
    .sgpr_spill_count: 0
    .symbol:         _ZL29rocblas_internal_gemmt_kernelIiLi16ELi32ELi8ELc84ELc84ELc76ELb0ELb0EdPKdPKS1_PKPdEviT_T9_T10_S7_lS9_S7_lS8_T11_S7_li.kd
    .uniform_work_group_size: 1
    .uses_dynamic_stack: false
    .vgpr_count:     52
    .vgpr_spill_count: 0
    .wavefront_size: 64
  - .agpr_count:     0
    .args:
      - .offset:         0
        .size:           4
        .value_kind:     by_value
      - .offset:         4
        .size:           4
        .value_kind:     by_value
      - .address_space:  global
        .offset:         8
        .size:           8
        .value_kind:     global_buffer
      - .address_space:  global
        .offset:         16
        .size:           8
        .value_kind:     global_buffer
      - .offset:         24
        .size:           4
        .value_kind:     by_value
      - .offset:         32
        .size:           8
        .value_kind:     by_value
      - .address_space:  global
        .offset:         40
        .size:           8
        .value_kind:     global_buffer
      - .offset:         48
        .size:           4
        .value_kind:     by_value
      - .offset:         56
        .size:           8
        .value_kind:     by_value
      - .address_space:  global
        .offset:         64
        .size:           8
        .value_kind:     global_buffer
      - .address_space:  global
        .offset:         72
        .size:           8
        .value_kind:     global_buffer
      - .offset:         80
        .size:           4
        .value_kind:     by_value
      - .offset:         88
        .size:           8
        .value_kind:     by_value
      - .offset:         96
        .size:           4
        .value_kind:     by_value
    .group_segment_fixed_size: 4096
    .kernarg_segment_align: 8
    .kernarg_segment_size: 100
    .language:       OpenCL C
    .language_version:
      - 2
      - 0
    .max_flat_workgroup_size: 256
    .name:           _ZL29rocblas_internal_gemmt_kernelIiLi16ELi32ELi8ELc84ELc67ELc76ELb0ELb0EdPKdPKS1_PKPdEviT_T9_T10_S7_lS9_S7_lS8_T11_S7_li
    .private_segment_fixed_size: 0
    .sgpr_count:     34
    .sgpr_spill_count: 0
    .symbol:         _ZL29rocblas_internal_gemmt_kernelIiLi16ELi32ELi8ELc84ELc67ELc76ELb0ELb0EdPKdPKS1_PKPdEviT_T9_T10_S7_lS9_S7_lS8_T11_S7_li.kd
    .uniform_work_group_size: 1
    .uses_dynamic_stack: false
    .vgpr_count:     52
    .vgpr_spill_count: 0
    .wavefront_size: 64
  - .agpr_count:     0
    .args:
      - .offset:         0
        .size:           4
        .value_kind:     by_value
      - .offset:         4
        .size:           4
        .value_kind:     by_value
      - .address_space:  global
        .offset:         8
        .size:           8
        .value_kind:     global_buffer
      - .address_space:  global
        .offset:         16
        .size:           8
        .value_kind:     global_buffer
      - .offset:         24
        .size:           4
        .value_kind:     by_value
      - .offset:         32
        .size:           8
        .value_kind:     by_value
      - .address_space:  global
        .offset:         40
        .size:           8
        .value_kind:     global_buffer
      - .offset:         48
        .size:           4
        .value_kind:     by_value
      - .offset:         56
        .size:           8
        .value_kind:     by_value
      - .address_space:  global
        .offset:         64
        .size:           8
        .value_kind:     global_buffer
      - .address_space:  global
        .offset:         72
        .size:           8
        .value_kind:     global_buffer
      - .offset:         80
        .size:           4
        .value_kind:     by_value
      - .offset:         88
        .size:           8
        .value_kind:     by_value
      - .offset:         96
        .size:           4
        .value_kind:     by_value
    .group_segment_fixed_size: 4096
    .kernarg_segment_align: 8
    .kernarg_segment_size: 100
    .language:       OpenCL C
    .language_version:
      - 2
      - 0
    .max_flat_workgroup_size: 256
    .name:           _ZL29rocblas_internal_gemmt_kernelIiLi16ELi32ELi8ELc67ELc78ELc76ELb0ELb0EdPKdPKS1_PKPdEviT_T9_T10_S7_lS9_S7_lS8_T11_S7_li
    .private_segment_fixed_size: 0
    .sgpr_count:     35
    .sgpr_spill_count: 0
    .symbol:         _ZL29rocblas_internal_gemmt_kernelIiLi16ELi32ELi8ELc67ELc78ELc76ELb0ELb0EdPKdPKS1_PKPdEviT_T9_T10_S7_lS9_S7_lS8_T11_S7_li.kd
    .uniform_work_group_size: 1
    .uses_dynamic_stack: false
    .vgpr_count:     52
    .vgpr_spill_count: 0
    .wavefront_size: 64
  - .agpr_count:     0
    .args:
      - .offset:         0
        .size:           4
        .value_kind:     by_value
      - .offset:         4
        .size:           4
        .value_kind:     by_value
      - .address_space:  global
        .offset:         8
        .size:           8
        .value_kind:     global_buffer
      - .address_space:  global
        .offset:         16
        .size:           8
        .value_kind:     global_buffer
      - .offset:         24
        .size:           4
        .value_kind:     by_value
      - .offset:         32
        .size:           8
        .value_kind:     by_value
      - .address_space:  global
        .offset:         40
        .size:           8
        .value_kind:     global_buffer
      - .offset:         48
        .size:           4
        .value_kind:     by_value
      - .offset:         56
        .size:           8
        .value_kind:     by_value
      - .address_space:  global
        .offset:         64
        .size:           8
        .value_kind:     global_buffer
      - .address_space:  global
        .offset:         72
        .size:           8
        .value_kind:     global_buffer
      - .offset:         80
        .size:           4
        .value_kind:     by_value
      - .offset:         88
        .size:           8
        .value_kind:     by_value
      - .offset:         96
        .size:           4
        .value_kind:     by_value
    .group_segment_fixed_size: 4096
    .kernarg_segment_align: 8
    .kernarg_segment_size: 100
    .language:       OpenCL C
    .language_version:
      - 2
      - 0
    .max_flat_workgroup_size: 256
    .name:           _ZL29rocblas_internal_gemmt_kernelIiLi16ELi32ELi8ELc67ELc84ELc76ELb0ELb0EdPKdPKS1_PKPdEviT_T9_T10_S7_lS9_S7_lS8_T11_S7_li
    .private_segment_fixed_size: 0
    .sgpr_count:     34
    .sgpr_spill_count: 0
    .symbol:         _ZL29rocblas_internal_gemmt_kernelIiLi16ELi32ELi8ELc67ELc84ELc76ELb0ELb0EdPKdPKS1_PKPdEviT_T9_T10_S7_lS9_S7_lS8_T11_S7_li.kd
    .uniform_work_group_size: 1
    .uses_dynamic_stack: false
    .vgpr_count:     52
    .vgpr_spill_count: 0
    .wavefront_size: 64
  - .agpr_count:     0
    .args:
      - .offset:         0
        .size:           4
        .value_kind:     by_value
      - .offset:         4
        .size:           4
        .value_kind:     by_value
      - .address_space:  global
        .offset:         8
        .size:           8
        .value_kind:     global_buffer
      - .address_space:  global
        .offset:         16
        .size:           8
        .value_kind:     global_buffer
      - .offset:         24
        .size:           4
        .value_kind:     by_value
      - .offset:         32
        .size:           8
        .value_kind:     by_value
      - .address_space:  global
        .offset:         40
        .size:           8
        .value_kind:     global_buffer
      - .offset:         48
        .size:           4
        .value_kind:     by_value
      - .offset:         56
        .size:           8
        .value_kind:     by_value
      - .address_space:  global
        .offset:         64
        .size:           8
        .value_kind:     global_buffer
      - .address_space:  global
        .offset:         72
        .size:           8
        .value_kind:     global_buffer
      - .offset:         80
        .size:           4
        .value_kind:     by_value
      - .offset:         88
        .size:           8
        .value_kind:     by_value
      - .offset:         96
        .size:           4
        .value_kind:     by_value
    .group_segment_fixed_size: 4096
    .kernarg_segment_align: 8
    .kernarg_segment_size: 100
    .language:       OpenCL C
    .language_version:
      - 2
      - 0
    .max_flat_workgroup_size: 256
    .name:           _ZL29rocblas_internal_gemmt_kernelIiLi16ELi32ELi8ELc67ELc67ELc76ELb0ELb0EdPKdPKS1_PKPdEviT_T9_T10_S7_lS9_S7_lS8_T11_S7_li
    .private_segment_fixed_size: 0
    .sgpr_count:     34
    .sgpr_spill_count: 0
    .symbol:         _ZL29rocblas_internal_gemmt_kernelIiLi16ELi32ELi8ELc67ELc67ELc76ELb0ELb0EdPKdPKS1_PKPdEviT_T9_T10_S7_lS9_S7_lS8_T11_S7_li.kd
    .uniform_work_group_size: 1
    .uses_dynamic_stack: false
    .vgpr_count:     52
    .vgpr_spill_count: 0
    .wavefront_size: 64
  - .agpr_count:     0
    .args:
      - .offset:         0
        .size:           4
        .value_kind:     by_value
      - .offset:         4
        .size:           4
        .value_kind:     by_value
      - .offset:         8
        .size:           8
        .value_kind:     by_value
      - .address_space:  global
        .offset:         16
        .size:           8
        .value_kind:     global_buffer
      - .offset:         24
        .size:           4
        .value_kind:     by_value
      - .offset:         32
        .size:           8
        .value_kind:     by_value
      - .address_space:  global
        .offset:         40
        .size:           8
        .value_kind:     global_buffer
      - .offset:         48
        .size:           4
        .value_kind:     by_value
      - .offset:         56
        .size:           8
        .value_kind:     by_value
      - .offset:         64
        .size:           8
        .value_kind:     by_value
      - .address_space:  global
        .offset:         72
        .size:           8
        .value_kind:     global_buffer
      - .offset:         80
        .size:           4
        .value_kind:     by_value
      - .offset:         88
        .size:           8
        .value_kind:     by_value
      - .offset:         96
        .size:           4
        .value_kind:     by_value
    .group_segment_fixed_size: 4096
    .kernarg_segment_align: 8
    .kernarg_segment_size: 100
    .language:       OpenCL C
    .language_version:
      - 2
      - 0
    .max_flat_workgroup_size: 256
    .name:           _ZL29rocblas_internal_gemmt_kernelIiLi16ELi32ELi8ELc78ELc78ELc85ELb0ELb0EddPKPKdPKPdEviT_T9_T10_S7_lS9_S7_lS8_T11_S7_li
    .private_segment_fixed_size: 0
    .sgpr_count:     34
    .sgpr_spill_count: 0
    .symbol:         _ZL29rocblas_internal_gemmt_kernelIiLi16ELi32ELi8ELc78ELc78ELc85ELb0ELb0EddPKPKdPKPdEviT_T9_T10_S7_lS9_S7_lS8_T11_S7_li.kd
    .uniform_work_group_size: 1
    .uses_dynamic_stack: false
    .vgpr_count:     52
    .vgpr_spill_count: 0
    .wavefront_size: 64
  - .agpr_count:     0
    .args:
      - .offset:         0
        .size:           4
        .value_kind:     by_value
      - .offset:         4
        .size:           4
        .value_kind:     by_value
      - .offset:         8
        .size:           8
        .value_kind:     by_value
      - .address_space:  global
        .offset:         16
        .size:           8
        .value_kind:     global_buffer
      - .offset:         24
        .size:           4
        .value_kind:     by_value
      - .offset:         32
        .size:           8
        .value_kind:     by_value
      - .address_space:  global
        .offset:         40
        .size:           8
        .value_kind:     global_buffer
      - .offset:         48
        .size:           4
        .value_kind:     by_value
      - .offset:         56
        .size:           8
        .value_kind:     by_value
      - .offset:         64
        .size:           8
        .value_kind:     by_value
      - .address_space:  global
        .offset:         72
        .size:           8
        .value_kind:     global_buffer
      - .offset:         80
        .size:           4
        .value_kind:     by_value
      - .offset:         88
        .size:           8
        .value_kind:     by_value
      - .offset:         96
        .size:           4
        .value_kind:     by_value
    .group_segment_fixed_size: 4096
    .kernarg_segment_align: 8
    .kernarg_segment_size: 100
    .language:       OpenCL C
    .language_version:
      - 2
      - 0
    .max_flat_workgroup_size: 256
    .name:           _ZL29rocblas_internal_gemmt_kernelIiLi16ELi32ELi8ELc78ELc84ELc85ELb0ELb0EddPKPKdPKPdEviT_T9_T10_S7_lS9_S7_lS8_T11_S7_li
    .private_segment_fixed_size: 0
    .sgpr_count:     36
    .sgpr_spill_count: 0
    .symbol:         _ZL29rocblas_internal_gemmt_kernelIiLi16ELi32ELi8ELc78ELc84ELc85ELb0ELb0EddPKPKdPKPdEviT_T9_T10_S7_lS9_S7_lS8_T11_S7_li.kd
    .uniform_work_group_size: 1
    .uses_dynamic_stack: false
    .vgpr_count:     52
    .vgpr_spill_count: 0
    .wavefront_size: 64
  - .agpr_count:     0
    .args:
      - .offset:         0
        .size:           4
        .value_kind:     by_value
      - .offset:         4
        .size:           4
        .value_kind:     by_value
      - .offset:         8
        .size:           8
        .value_kind:     by_value
      - .address_space:  global
        .offset:         16
        .size:           8
        .value_kind:     global_buffer
      - .offset:         24
        .size:           4
        .value_kind:     by_value
      - .offset:         32
        .size:           8
        .value_kind:     by_value
      - .address_space:  global
        .offset:         40
        .size:           8
        .value_kind:     global_buffer
      - .offset:         48
        .size:           4
        .value_kind:     by_value
      - .offset:         56
        .size:           8
        .value_kind:     by_value
      - .offset:         64
        .size:           8
        .value_kind:     by_value
      - .address_space:  global
        .offset:         72
        .size:           8
        .value_kind:     global_buffer
      - .offset:         80
        .size:           4
        .value_kind:     by_value
      - .offset:         88
        .size:           8
        .value_kind:     by_value
      - .offset:         96
        .size:           4
        .value_kind:     by_value
    .group_segment_fixed_size: 4096
    .kernarg_segment_align: 8
    .kernarg_segment_size: 100
    .language:       OpenCL C
    .language_version:
      - 2
      - 0
    .max_flat_workgroup_size: 256
    .name:           _ZL29rocblas_internal_gemmt_kernelIiLi16ELi32ELi8ELc78ELc67ELc85ELb0ELb0EddPKPKdPKPdEviT_T9_T10_S7_lS9_S7_lS8_T11_S7_li
    .private_segment_fixed_size: 0
    .sgpr_count:     36
    .sgpr_spill_count: 0
    .symbol:         _ZL29rocblas_internal_gemmt_kernelIiLi16ELi32ELi8ELc78ELc67ELc85ELb0ELb0EddPKPKdPKPdEviT_T9_T10_S7_lS9_S7_lS8_T11_S7_li.kd
    .uniform_work_group_size: 1
    .uses_dynamic_stack: false
    .vgpr_count:     52
    .vgpr_spill_count: 0
    .wavefront_size: 64
  - .agpr_count:     0
    .args:
      - .offset:         0
        .size:           4
        .value_kind:     by_value
      - .offset:         4
        .size:           4
        .value_kind:     by_value
      - .offset:         8
        .size:           8
        .value_kind:     by_value
      - .address_space:  global
        .offset:         16
        .size:           8
        .value_kind:     global_buffer
      - .offset:         24
        .size:           4
        .value_kind:     by_value
      - .offset:         32
        .size:           8
        .value_kind:     by_value
      - .address_space:  global
        .offset:         40
        .size:           8
        .value_kind:     global_buffer
      - .offset:         48
        .size:           4
        .value_kind:     by_value
      - .offset:         56
        .size:           8
        .value_kind:     by_value
      - .offset:         64
        .size:           8
        .value_kind:     by_value
      - .address_space:  global
        .offset:         72
        .size:           8
        .value_kind:     global_buffer
      - .offset:         80
        .size:           4
        .value_kind:     by_value
      - .offset:         88
        .size:           8
        .value_kind:     by_value
      - .offset:         96
        .size:           4
        .value_kind:     by_value
    .group_segment_fixed_size: 4096
    .kernarg_segment_align: 8
    .kernarg_segment_size: 100
    .language:       OpenCL C
    .language_version:
      - 2
      - 0
    .max_flat_workgroup_size: 256
    .name:           _ZL29rocblas_internal_gemmt_kernelIiLi16ELi32ELi8ELc84ELc78ELc85ELb0ELb0EddPKPKdPKPdEviT_T9_T10_S7_lS9_S7_lS8_T11_S7_li
    .private_segment_fixed_size: 0
    .sgpr_count:     35
    .sgpr_spill_count: 0
    .symbol:         _ZL29rocblas_internal_gemmt_kernelIiLi16ELi32ELi8ELc84ELc78ELc85ELb0ELb0EddPKPKdPKPdEviT_T9_T10_S7_lS9_S7_lS8_T11_S7_li.kd
    .uniform_work_group_size: 1
    .uses_dynamic_stack: false
    .vgpr_count:     52
    .vgpr_spill_count: 0
    .wavefront_size: 64
  - .agpr_count:     0
    .args:
      - .offset:         0
        .size:           4
        .value_kind:     by_value
      - .offset:         4
        .size:           4
        .value_kind:     by_value
      - .offset:         8
        .size:           8
        .value_kind:     by_value
      - .address_space:  global
        .offset:         16
        .size:           8
        .value_kind:     global_buffer
      - .offset:         24
        .size:           4
        .value_kind:     by_value
      - .offset:         32
        .size:           8
        .value_kind:     by_value
      - .address_space:  global
        .offset:         40
        .size:           8
        .value_kind:     global_buffer
      - .offset:         48
        .size:           4
        .value_kind:     by_value
      - .offset:         56
        .size:           8
        .value_kind:     by_value
      - .offset:         64
        .size:           8
        .value_kind:     by_value
      - .address_space:  global
        .offset:         72
        .size:           8
        .value_kind:     global_buffer
      - .offset:         80
        .size:           4
        .value_kind:     by_value
      - .offset:         88
        .size:           8
        .value_kind:     by_value
      - .offset:         96
        .size:           4
        .value_kind:     by_value
    .group_segment_fixed_size: 4096
    .kernarg_segment_align: 8
    .kernarg_segment_size: 100
    .language:       OpenCL C
    .language_version:
      - 2
      - 0
    .max_flat_workgroup_size: 256
    .name:           _ZL29rocblas_internal_gemmt_kernelIiLi16ELi32ELi8ELc84ELc84ELc85ELb0ELb0EddPKPKdPKPdEviT_T9_T10_S7_lS9_S7_lS8_T11_S7_li
    .private_segment_fixed_size: 0
    .sgpr_count:     34
    .sgpr_spill_count: 0
    .symbol:         _ZL29rocblas_internal_gemmt_kernelIiLi16ELi32ELi8ELc84ELc84ELc85ELb0ELb0EddPKPKdPKPdEviT_T9_T10_S7_lS9_S7_lS8_T11_S7_li.kd
    .uniform_work_group_size: 1
    .uses_dynamic_stack: false
    .vgpr_count:     52
    .vgpr_spill_count: 0
    .wavefront_size: 64
  - .agpr_count:     0
    .args:
      - .offset:         0
        .size:           4
        .value_kind:     by_value
      - .offset:         4
        .size:           4
        .value_kind:     by_value
      - .offset:         8
        .size:           8
        .value_kind:     by_value
      - .address_space:  global
        .offset:         16
        .size:           8
        .value_kind:     global_buffer
      - .offset:         24
        .size:           4
        .value_kind:     by_value
      - .offset:         32
        .size:           8
        .value_kind:     by_value
      - .address_space:  global
        .offset:         40
        .size:           8
        .value_kind:     global_buffer
      - .offset:         48
        .size:           4
        .value_kind:     by_value
      - .offset:         56
        .size:           8
        .value_kind:     by_value
      - .offset:         64
        .size:           8
        .value_kind:     by_value
      - .address_space:  global
        .offset:         72
        .size:           8
        .value_kind:     global_buffer
      - .offset:         80
        .size:           4
        .value_kind:     by_value
      - .offset:         88
        .size:           8
        .value_kind:     by_value
      - .offset:         96
        .size:           4
        .value_kind:     by_value
    .group_segment_fixed_size: 4096
    .kernarg_segment_align: 8
    .kernarg_segment_size: 100
    .language:       OpenCL C
    .language_version:
      - 2
      - 0
    .max_flat_workgroup_size: 256
    .name:           _ZL29rocblas_internal_gemmt_kernelIiLi16ELi32ELi8ELc84ELc67ELc85ELb0ELb0EddPKPKdPKPdEviT_T9_T10_S7_lS9_S7_lS8_T11_S7_li
    .private_segment_fixed_size: 0
    .sgpr_count:     34
    .sgpr_spill_count: 0
    .symbol:         _ZL29rocblas_internal_gemmt_kernelIiLi16ELi32ELi8ELc84ELc67ELc85ELb0ELb0EddPKPKdPKPdEviT_T9_T10_S7_lS9_S7_lS8_T11_S7_li.kd
    .uniform_work_group_size: 1
    .uses_dynamic_stack: false
    .vgpr_count:     52
    .vgpr_spill_count: 0
    .wavefront_size: 64
  - .agpr_count:     0
    .args:
      - .offset:         0
        .size:           4
        .value_kind:     by_value
      - .offset:         4
        .size:           4
        .value_kind:     by_value
      - .offset:         8
        .size:           8
        .value_kind:     by_value
      - .address_space:  global
        .offset:         16
        .size:           8
        .value_kind:     global_buffer
      - .offset:         24
        .size:           4
        .value_kind:     by_value
      - .offset:         32
        .size:           8
        .value_kind:     by_value
      - .address_space:  global
        .offset:         40
        .size:           8
        .value_kind:     global_buffer
      - .offset:         48
        .size:           4
        .value_kind:     by_value
      - .offset:         56
        .size:           8
        .value_kind:     by_value
      - .offset:         64
        .size:           8
        .value_kind:     by_value
      - .address_space:  global
        .offset:         72
        .size:           8
        .value_kind:     global_buffer
      - .offset:         80
        .size:           4
        .value_kind:     by_value
      - .offset:         88
        .size:           8
        .value_kind:     by_value
      - .offset:         96
        .size:           4
        .value_kind:     by_value
    .group_segment_fixed_size: 4096
    .kernarg_segment_align: 8
    .kernarg_segment_size: 100
    .language:       OpenCL C
    .language_version:
      - 2
      - 0
    .max_flat_workgroup_size: 256
    .name:           _ZL29rocblas_internal_gemmt_kernelIiLi16ELi32ELi8ELc67ELc78ELc85ELb0ELb0EddPKPKdPKPdEviT_T9_T10_S7_lS9_S7_lS8_T11_S7_li
    .private_segment_fixed_size: 0
    .sgpr_count:     35
    .sgpr_spill_count: 0
    .symbol:         _ZL29rocblas_internal_gemmt_kernelIiLi16ELi32ELi8ELc67ELc78ELc85ELb0ELb0EddPKPKdPKPdEviT_T9_T10_S7_lS9_S7_lS8_T11_S7_li.kd
    .uniform_work_group_size: 1
    .uses_dynamic_stack: false
    .vgpr_count:     52
    .vgpr_spill_count: 0
    .wavefront_size: 64
  - .agpr_count:     0
    .args:
      - .offset:         0
        .size:           4
        .value_kind:     by_value
      - .offset:         4
        .size:           4
        .value_kind:     by_value
      - .offset:         8
        .size:           8
        .value_kind:     by_value
      - .address_space:  global
        .offset:         16
        .size:           8
        .value_kind:     global_buffer
      - .offset:         24
        .size:           4
        .value_kind:     by_value
      - .offset:         32
        .size:           8
        .value_kind:     by_value
      - .address_space:  global
        .offset:         40
        .size:           8
        .value_kind:     global_buffer
      - .offset:         48
        .size:           4
        .value_kind:     by_value
      - .offset:         56
        .size:           8
        .value_kind:     by_value
      - .offset:         64
        .size:           8
        .value_kind:     by_value
      - .address_space:  global
        .offset:         72
        .size:           8
        .value_kind:     global_buffer
      - .offset:         80
        .size:           4
        .value_kind:     by_value
      - .offset:         88
        .size:           8
        .value_kind:     by_value
      - .offset:         96
        .size:           4
        .value_kind:     by_value
    .group_segment_fixed_size: 4096
    .kernarg_segment_align: 8
    .kernarg_segment_size: 100
    .language:       OpenCL C
    .language_version:
      - 2
      - 0
    .max_flat_workgroup_size: 256
    .name:           _ZL29rocblas_internal_gemmt_kernelIiLi16ELi32ELi8ELc67ELc84ELc85ELb0ELb0EddPKPKdPKPdEviT_T9_T10_S7_lS9_S7_lS8_T11_S7_li
    .private_segment_fixed_size: 0
    .sgpr_count:     34
    .sgpr_spill_count: 0
    .symbol:         _ZL29rocblas_internal_gemmt_kernelIiLi16ELi32ELi8ELc67ELc84ELc85ELb0ELb0EddPKPKdPKPdEviT_T9_T10_S7_lS9_S7_lS8_T11_S7_li.kd
    .uniform_work_group_size: 1
    .uses_dynamic_stack: false
    .vgpr_count:     52
    .vgpr_spill_count: 0
    .wavefront_size: 64
  - .agpr_count:     0
    .args:
      - .offset:         0
        .size:           4
        .value_kind:     by_value
      - .offset:         4
        .size:           4
        .value_kind:     by_value
      - .offset:         8
        .size:           8
        .value_kind:     by_value
      - .address_space:  global
        .offset:         16
        .size:           8
        .value_kind:     global_buffer
      - .offset:         24
        .size:           4
        .value_kind:     by_value
      - .offset:         32
        .size:           8
        .value_kind:     by_value
      - .address_space:  global
        .offset:         40
        .size:           8
        .value_kind:     global_buffer
      - .offset:         48
        .size:           4
        .value_kind:     by_value
      - .offset:         56
        .size:           8
        .value_kind:     by_value
      - .offset:         64
        .size:           8
        .value_kind:     by_value
      - .address_space:  global
        .offset:         72
        .size:           8
        .value_kind:     global_buffer
      - .offset:         80
        .size:           4
        .value_kind:     by_value
      - .offset:         88
        .size:           8
        .value_kind:     by_value
      - .offset:         96
        .size:           4
        .value_kind:     by_value
    .group_segment_fixed_size: 4096
    .kernarg_segment_align: 8
    .kernarg_segment_size: 100
    .language:       OpenCL C
    .language_version:
      - 2
      - 0
    .max_flat_workgroup_size: 256
    .name:           _ZL29rocblas_internal_gemmt_kernelIiLi16ELi32ELi8ELc67ELc67ELc85ELb0ELb0EddPKPKdPKPdEviT_T9_T10_S7_lS9_S7_lS8_T11_S7_li
    .private_segment_fixed_size: 0
    .sgpr_count:     34
    .sgpr_spill_count: 0
    .symbol:         _ZL29rocblas_internal_gemmt_kernelIiLi16ELi32ELi8ELc67ELc67ELc85ELb0ELb0EddPKPKdPKPdEviT_T9_T10_S7_lS9_S7_lS8_T11_S7_li.kd
    .uniform_work_group_size: 1
    .uses_dynamic_stack: false
    .vgpr_count:     52
    .vgpr_spill_count: 0
    .wavefront_size: 64
  - .agpr_count:     0
    .args:
      - .offset:         0
        .size:           4
        .value_kind:     by_value
      - .offset:         4
        .size:           4
        .value_kind:     by_value
      - .offset:         8
        .size:           8
        .value_kind:     by_value
      - .address_space:  global
        .offset:         16
        .size:           8
        .value_kind:     global_buffer
      - .offset:         24
        .size:           4
        .value_kind:     by_value
      - .offset:         32
        .size:           8
        .value_kind:     by_value
      - .address_space:  global
        .offset:         40
        .size:           8
        .value_kind:     global_buffer
      - .offset:         48
        .size:           4
        .value_kind:     by_value
      - .offset:         56
        .size:           8
        .value_kind:     by_value
      - .offset:         64
        .size:           8
        .value_kind:     by_value
      - .address_space:  global
        .offset:         72
        .size:           8
        .value_kind:     global_buffer
      - .offset:         80
        .size:           4
        .value_kind:     by_value
      - .offset:         88
        .size:           8
        .value_kind:     by_value
      - .offset:         96
        .size:           4
        .value_kind:     by_value
    .group_segment_fixed_size: 4096
    .kernarg_segment_align: 8
    .kernarg_segment_size: 100
    .language:       OpenCL C
    .language_version:
      - 2
      - 0
    .max_flat_workgroup_size: 256
    .name:           _ZL29rocblas_internal_gemmt_kernelIiLi16ELi32ELi8ELc78ELc78ELc76ELb0ELb0EddPKPKdPKPdEviT_T9_T10_S7_lS9_S7_lS8_T11_S7_li
    .private_segment_fixed_size: 0
    .sgpr_count:     34
    .sgpr_spill_count: 0
    .symbol:         _ZL29rocblas_internal_gemmt_kernelIiLi16ELi32ELi8ELc78ELc78ELc76ELb0ELb0EddPKPKdPKPdEviT_T9_T10_S7_lS9_S7_lS8_T11_S7_li.kd
    .uniform_work_group_size: 1
    .uses_dynamic_stack: false
    .vgpr_count:     52
    .vgpr_spill_count: 0
    .wavefront_size: 64
  - .agpr_count:     0
    .args:
      - .offset:         0
        .size:           4
        .value_kind:     by_value
      - .offset:         4
        .size:           4
        .value_kind:     by_value
      - .offset:         8
        .size:           8
        .value_kind:     by_value
      - .address_space:  global
        .offset:         16
        .size:           8
        .value_kind:     global_buffer
      - .offset:         24
        .size:           4
        .value_kind:     by_value
      - .offset:         32
        .size:           8
        .value_kind:     by_value
      - .address_space:  global
        .offset:         40
        .size:           8
        .value_kind:     global_buffer
      - .offset:         48
        .size:           4
        .value_kind:     by_value
      - .offset:         56
        .size:           8
        .value_kind:     by_value
      - .offset:         64
        .size:           8
        .value_kind:     by_value
      - .address_space:  global
        .offset:         72
        .size:           8
        .value_kind:     global_buffer
      - .offset:         80
        .size:           4
        .value_kind:     by_value
      - .offset:         88
        .size:           8
        .value_kind:     by_value
      - .offset:         96
        .size:           4
        .value_kind:     by_value
    .group_segment_fixed_size: 4096
    .kernarg_segment_align: 8
    .kernarg_segment_size: 100
    .language:       OpenCL C
    .language_version:
      - 2
      - 0
    .max_flat_workgroup_size: 256
    .name:           _ZL29rocblas_internal_gemmt_kernelIiLi16ELi32ELi8ELc78ELc84ELc76ELb0ELb0EddPKPKdPKPdEviT_T9_T10_S7_lS9_S7_lS8_T11_S7_li
    .private_segment_fixed_size: 0
    .sgpr_count:     36
    .sgpr_spill_count: 0
    .symbol:         _ZL29rocblas_internal_gemmt_kernelIiLi16ELi32ELi8ELc78ELc84ELc76ELb0ELb0EddPKPKdPKPdEviT_T9_T10_S7_lS9_S7_lS8_T11_S7_li.kd
    .uniform_work_group_size: 1
    .uses_dynamic_stack: false
    .vgpr_count:     52
    .vgpr_spill_count: 0
    .wavefront_size: 64
  - .agpr_count:     0
    .args:
      - .offset:         0
        .size:           4
        .value_kind:     by_value
      - .offset:         4
        .size:           4
        .value_kind:     by_value
      - .offset:         8
        .size:           8
        .value_kind:     by_value
      - .address_space:  global
        .offset:         16
        .size:           8
        .value_kind:     global_buffer
      - .offset:         24
        .size:           4
        .value_kind:     by_value
      - .offset:         32
        .size:           8
        .value_kind:     by_value
      - .address_space:  global
        .offset:         40
        .size:           8
        .value_kind:     global_buffer
      - .offset:         48
        .size:           4
        .value_kind:     by_value
      - .offset:         56
        .size:           8
        .value_kind:     by_value
      - .offset:         64
        .size:           8
        .value_kind:     by_value
      - .address_space:  global
        .offset:         72
        .size:           8
        .value_kind:     global_buffer
      - .offset:         80
        .size:           4
        .value_kind:     by_value
      - .offset:         88
        .size:           8
        .value_kind:     by_value
      - .offset:         96
        .size:           4
        .value_kind:     by_value
    .group_segment_fixed_size: 4096
    .kernarg_segment_align: 8
    .kernarg_segment_size: 100
    .language:       OpenCL C
    .language_version:
      - 2
      - 0
    .max_flat_workgroup_size: 256
    .name:           _ZL29rocblas_internal_gemmt_kernelIiLi16ELi32ELi8ELc78ELc67ELc76ELb0ELb0EddPKPKdPKPdEviT_T9_T10_S7_lS9_S7_lS8_T11_S7_li
    .private_segment_fixed_size: 0
    .sgpr_count:     36
    .sgpr_spill_count: 0
    .symbol:         _ZL29rocblas_internal_gemmt_kernelIiLi16ELi32ELi8ELc78ELc67ELc76ELb0ELb0EddPKPKdPKPdEviT_T9_T10_S7_lS9_S7_lS8_T11_S7_li.kd
    .uniform_work_group_size: 1
    .uses_dynamic_stack: false
    .vgpr_count:     52
    .vgpr_spill_count: 0
    .wavefront_size: 64
  - .agpr_count:     0
    .args:
      - .offset:         0
        .size:           4
        .value_kind:     by_value
      - .offset:         4
        .size:           4
        .value_kind:     by_value
      - .offset:         8
        .size:           8
        .value_kind:     by_value
      - .address_space:  global
        .offset:         16
        .size:           8
        .value_kind:     global_buffer
      - .offset:         24
        .size:           4
        .value_kind:     by_value
      - .offset:         32
        .size:           8
        .value_kind:     by_value
      - .address_space:  global
        .offset:         40
        .size:           8
        .value_kind:     global_buffer
      - .offset:         48
        .size:           4
        .value_kind:     by_value
      - .offset:         56
        .size:           8
        .value_kind:     by_value
      - .offset:         64
        .size:           8
        .value_kind:     by_value
      - .address_space:  global
        .offset:         72
        .size:           8
        .value_kind:     global_buffer
      - .offset:         80
        .size:           4
        .value_kind:     by_value
      - .offset:         88
        .size:           8
        .value_kind:     by_value
      - .offset:         96
        .size:           4
        .value_kind:     by_value
    .group_segment_fixed_size: 4096
    .kernarg_segment_align: 8
    .kernarg_segment_size: 100
    .language:       OpenCL C
    .language_version:
      - 2
      - 0
    .max_flat_workgroup_size: 256
    .name:           _ZL29rocblas_internal_gemmt_kernelIiLi16ELi32ELi8ELc84ELc78ELc76ELb0ELb0EddPKPKdPKPdEviT_T9_T10_S7_lS9_S7_lS8_T11_S7_li
    .private_segment_fixed_size: 0
    .sgpr_count:     35
    .sgpr_spill_count: 0
    .symbol:         _ZL29rocblas_internal_gemmt_kernelIiLi16ELi32ELi8ELc84ELc78ELc76ELb0ELb0EddPKPKdPKPdEviT_T9_T10_S7_lS9_S7_lS8_T11_S7_li.kd
    .uniform_work_group_size: 1
    .uses_dynamic_stack: false
    .vgpr_count:     52
    .vgpr_spill_count: 0
    .wavefront_size: 64
  - .agpr_count:     0
    .args:
      - .offset:         0
        .size:           4
        .value_kind:     by_value
      - .offset:         4
        .size:           4
        .value_kind:     by_value
      - .offset:         8
        .size:           8
        .value_kind:     by_value
      - .address_space:  global
        .offset:         16
        .size:           8
        .value_kind:     global_buffer
      - .offset:         24
        .size:           4
        .value_kind:     by_value
      - .offset:         32
        .size:           8
        .value_kind:     by_value
      - .address_space:  global
        .offset:         40
        .size:           8
        .value_kind:     global_buffer
      - .offset:         48
        .size:           4
        .value_kind:     by_value
      - .offset:         56
        .size:           8
        .value_kind:     by_value
      - .offset:         64
        .size:           8
        .value_kind:     by_value
      - .address_space:  global
        .offset:         72
        .size:           8
        .value_kind:     global_buffer
      - .offset:         80
        .size:           4
        .value_kind:     by_value
      - .offset:         88
        .size:           8
        .value_kind:     by_value
      - .offset:         96
        .size:           4
        .value_kind:     by_value
    .group_segment_fixed_size: 4096
    .kernarg_segment_align: 8
    .kernarg_segment_size: 100
    .language:       OpenCL C
    .language_version:
      - 2
      - 0
    .max_flat_workgroup_size: 256
    .name:           _ZL29rocblas_internal_gemmt_kernelIiLi16ELi32ELi8ELc84ELc84ELc76ELb0ELb0EddPKPKdPKPdEviT_T9_T10_S7_lS9_S7_lS8_T11_S7_li
    .private_segment_fixed_size: 0
    .sgpr_count:     34
    .sgpr_spill_count: 0
    .symbol:         _ZL29rocblas_internal_gemmt_kernelIiLi16ELi32ELi8ELc84ELc84ELc76ELb0ELb0EddPKPKdPKPdEviT_T9_T10_S7_lS9_S7_lS8_T11_S7_li.kd
    .uniform_work_group_size: 1
    .uses_dynamic_stack: false
    .vgpr_count:     52
    .vgpr_spill_count: 0
    .wavefront_size: 64
  - .agpr_count:     0
    .args:
      - .offset:         0
        .size:           4
        .value_kind:     by_value
      - .offset:         4
        .size:           4
        .value_kind:     by_value
      - .offset:         8
        .size:           8
        .value_kind:     by_value
      - .address_space:  global
        .offset:         16
        .size:           8
        .value_kind:     global_buffer
      - .offset:         24
        .size:           4
        .value_kind:     by_value
      - .offset:         32
        .size:           8
        .value_kind:     by_value
      - .address_space:  global
        .offset:         40
        .size:           8
        .value_kind:     global_buffer
      - .offset:         48
        .size:           4
        .value_kind:     by_value
      - .offset:         56
        .size:           8
        .value_kind:     by_value
      - .offset:         64
        .size:           8
        .value_kind:     by_value
      - .address_space:  global
        .offset:         72
        .size:           8
        .value_kind:     global_buffer
      - .offset:         80
        .size:           4
        .value_kind:     by_value
      - .offset:         88
        .size:           8
        .value_kind:     by_value
      - .offset:         96
        .size:           4
        .value_kind:     by_value
    .group_segment_fixed_size: 4096
    .kernarg_segment_align: 8
    .kernarg_segment_size: 100
    .language:       OpenCL C
    .language_version:
      - 2
      - 0
    .max_flat_workgroup_size: 256
    .name:           _ZL29rocblas_internal_gemmt_kernelIiLi16ELi32ELi8ELc84ELc67ELc76ELb0ELb0EddPKPKdPKPdEviT_T9_T10_S7_lS9_S7_lS8_T11_S7_li
    .private_segment_fixed_size: 0
    .sgpr_count:     34
    .sgpr_spill_count: 0
    .symbol:         _ZL29rocblas_internal_gemmt_kernelIiLi16ELi32ELi8ELc84ELc67ELc76ELb0ELb0EddPKPKdPKPdEviT_T9_T10_S7_lS9_S7_lS8_T11_S7_li.kd
    .uniform_work_group_size: 1
    .uses_dynamic_stack: false
    .vgpr_count:     52
    .vgpr_spill_count: 0
    .wavefront_size: 64
  - .agpr_count:     0
    .args:
      - .offset:         0
        .size:           4
        .value_kind:     by_value
      - .offset:         4
        .size:           4
        .value_kind:     by_value
      - .offset:         8
        .size:           8
        .value_kind:     by_value
      - .address_space:  global
        .offset:         16
        .size:           8
        .value_kind:     global_buffer
      - .offset:         24
        .size:           4
        .value_kind:     by_value
      - .offset:         32
        .size:           8
        .value_kind:     by_value
      - .address_space:  global
        .offset:         40
        .size:           8
        .value_kind:     global_buffer
      - .offset:         48
        .size:           4
        .value_kind:     by_value
      - .offset:         56
        .size:           8
        .value_kind:     by_value
      - .offset:         64
        .size:           8
        .value_kind:     by_value
      - .address_space:  global
        .offset:         72
        .size:           8
        .value_kind:     global_buffer
      - .offset:         80
        .size:           4
        .value_kind:     by_value
      - .offset:         88
        .size:           8
        .value_kind:     by_value
      - .offset:         96
        .size:           4
        .value_kind:     by_value
    .group_segment_fixed_size: 4096
    .kernarg_segment_align: 8
    .kernarg_segment_size: 100
    .language:       OpenCL C
    .language_version:
      - 2
      - 0
    .max_flat_workgroup_size: 256
    .name:           _ZL29rocblas_internal_gemmt_kernelIiLi16ELi32ELi8ELc67ELc78ELc76ELb0ELb0EddPKPKdPKPdEviT_T9_T10_S7_lS9_S7_lS8_T11_S7_li
    .private_segment_fixed_size: 0
    .sgpr_count:     35
    .sgpr_spill_count: 0
    .symbol:         _ZL29rocblas_internal_gemmt_kernelIiLi16ELi32ELi8ELc67ELc78ELc76ELb0ELb0EddPKPKdPKPdEviT_T9_T10_S7_lS9_S7_lS8_T11_S7_li.kd
    .uniform_work_group_size: 1
    .uses_dynamic_stack: false
    .vgpr_count:     52
    .vgpr_spill_count: 0
    .wavefront_size: 64
  - .agpr_count:     0
    .args:
      - .offset:         0
        .size:           4
        .value_kind:     by_value
      - .offset:         4
        .size:           4
        .value_kind:     by_value
      - .offset:         8
        .size:           8
        .value_kind:     by_value
      - .address_space:  global
        .offset:         16
        .size:           8
        .value_kind:     global_buffer
      - .offset:         24
        .size:           4
        .value_kind:     by_value
      - .offset:         32
        .size:           8
        .value_kind:     by_value
      - .address_space:  global
        .offset:         40
        .size:           8
        .value_kind:     global_buffer
      - .offset:         48
        .size:           4
        .value_kind:     by_value
      - .offset:         56
        .size:           8
        .value_kind:     by_value
      - .offset:         64
        .size:           8
        .value_kind:     by_value
      - .address_space:  global
        .offset:         72
        .size:           8
        .value_kind:     global_buffer
      - .offset:         80
        .size:           4
        .value_kind:     by_value
      - .offset:         88
        .size:           8
        .value_kind:     by_value
      - .offset:         96
        .size:           4
        .value_kind:     by_value
    .group_segment_fixed_size: 4096
    .kernarg_segment_align: 8
    .kernarg_segment_size: 100
    .language:       OpenCL C
    .language_version:
      - 2
      - 0
    .max_flat_workgroup_size: 256
    .name:           _ZL29rocblas_internal_gemmt_kernelIiLi16ELi32ELi8ELc67ELc84ELc76ELb0ELb0EddPKPKdPKPdEviT_T9_T10_S7_lS9_S7_lS8_T11_S7_li
    .private_segment_fixed_size: 0
    .sgpr_count:     34
    .sgpr_spill_count: 0
    .symbol:         _ZL29rocblas_internal_gemmt_kernelIiLi16ELi32ELi8ELc67ELc84ELc76ELb0ELb0EddPKPKdPKPdEviT_T9_T10_S7_lS9_S7_lS8_T11_S7_li.kd
    .uniform_work_group_size: 1
    .uses_dynamic_stack: false
    .vgpr_count:     52
    .vgpr_spill_count: 0
    .wavefront_size: 64
  - .agpr_count:     0
    .args:
      - .offset:         0
        .size:           4
        .value_kind:     by_value
      - .offset:         4
        .size:           4
        .value_kind:     by_value
      - .offset:         8
        .size:           8
        .value_kind:     by_value
      - .address_space:  global
        .offset:         16
        .size:           8
        .value_kind:     global_buffer
      - .offset:         24
        .size:           4
        .value_kind:     by_value
      - .offset:         32
        .size:           8
        .value_kind:     by_value
      - .address_space:  global
        .offset:         40
        .size:           8
        .value_kind:     global_buffer
      - .offset:         48
        .size:           4
        .value_kind:     by_value
      - .offset:         56
        .size:           8
        .value_kind:     by_value
      - .offset:         64
        .size:           8
        .value_kind:     by_value
      - .address_space:  global
        .offset:         72
        .size:           8
        .value_kind:     global_buffer
      - .offset:         80
        .size:           4
        .value_kind:     by_value
      - .offset:         88
        .size:           8
        .value_kind:     by_value
      - .offset:         96
        .size:           4
        .value_kind:     by_value
    .group_segment_fixed_size: 4096
    .kernarg_segment_align: 8
    .kernarg_segment_size: 100
    .language:       OpenCL C
    .language_version:
      - 2
      - 0
    .max_flat_workgroup_size: 256
    .name:           _ZL29rocblas_internal_gemmt_kernelIiLi16ELi32ELi8ELc67ELc67ELc76ELb0ELb0EddPKPKdPKPdEviT_T9_T10_S7_lS9_S7_lS8_T11_S7_li
    .private_segment_fixed_size: 0
    .sgpr_count:     34
    .sgpr_spill_count: 0
    .symbol:         _ZL29rocblas_internal_gemmt_kernelIiLi16ELi32ELi8ELc67ELc67ELc76ELb0ELb0EddPKPKdPKPdEviT_T9_T10_S7_lS9_S7_lS8_T11_S7_li.kd
    .uniform_work_group_size: 1
    .uses_dynamic_stack: false
    .vgpr_count:     52
    .vgpr_spill_count: 0
    .wavefront_size: 64
  - .agpr_count:     0
    .args:
      - .offset:         0
        .size:           4
        .value_kind:     by_value
      - .offset:         4
        .size:           4
        .value_kind:     by_value
      - .address_space:  global
        .offset:         8
        .size:           8
        .value_kind:     global_buffer
      - .address_space:  global
        .offset:         16
        .size:           8
        .value_kind:     global_buffer
      - .offset:         24
        .size:           4
        .value_kind:     by_value
      - .offset:         32
        .size:           8
        .value_kind:     by_value
      - .address_space:  global
        .offset:         40
        .size:           8
        .value_kind:     global_buffer
      - .offset:         48
        .size:           4
        .value_kind:     by_value
      - .offset:         56
        .size:           8
        .value_kind:     by_value
      - .address_space:  global
        .offset:         64
        .size:           8
        .value_kind:     global_buffer
      - .address_space:  global
        .offset:         72
        .size:           8
        .value_kind:     global_buffer
      - .offset:         80
        .size:           4
        .value_kind:     by_value
      - .offset:         88
        .size:           8
        .value_kind:     by_value
      - .offset:         96
        .size:           4
        .value_kind:     by_value
    .group_segment_fixed_size: 4096
    .kernarg_segment_align: 8
    .kernarg_segment_size: 100
    .language:       OpenCL C
    .language_version:
      - 2
      - 0
    .max_flat_workgroup_size: 256
    .name:           _ZL29rocblas_internal_gemmt_kernelIiLi16ELi32ELi8ELc78ELc78ELc85ELb0ELb0E19rocblas_complex_numIfEPKS1_PKS3_PKPS1_EviT_T9_T10_S9_lSB_S9_lSA_T11_S9_li
    .private_segment_fixed_size: 0
    .sgpr_count:     36
    .sgpr_spill_count: 0
    .symbol:         _ZL29rocblas_internal_gemmt_kernelIiLi16ELi32ELi8ELc78ELc78ELc85ELb0ELb0E19rocblas_complex_numIfEPKS1_PKS3_PKPS1_EviT_T9_T10_S9_lSB_S9_lSA_T11_S9_li.kd
    .uniform_work_group_size: 1
    .uses_dynamic_stack: false
    .vgpr_count:     52
    .vgpr_spill_count: 0
    .wavefront_size: 64
  - .agpr_count:     0
    .args:
      - .offset:         0
        .size:           4
        .value_kind:     by_value
      - .offset:         4
        .size:           4
        .value_kind:     by_value
      - .address_space:  global
        .offset:         8
        .size:           8
        .value_kind:     global_buffer
      - .address_space:  global
        .offset:         16
        .size:           8
        .value_kind:     global_buffer
      - .offset:         24
        .size:           4
        .value_kind:     by_value
      - .offset:         32
        .size:           8
        .value_kind:     by_value
      - .address_space:  global
        .offset:         40
        .size:           8
        .value_kind:     global_buffer
      - .offset:         48
        .size:           4
        .value_kind:     by_value
      - .offset:         56
        .size:           8
        .value_kind:     by_value
      - .address_space:  global
        .offset:         64
        .size:           8
        .value_kind:     global_buffer
      - .address_space:  global
        .offset:         72
        .size:           8
        .value_kind:     global_buffer
      - .offset:         80
        .size:           4
        .value_kind:     by_value
      - .offset:         88
        .size:           8
        .value_kind:     by_value
      - .offset:         96
        .size:           4
        .value_kind:     by_value
    .group_segment_fixed_size: 4096
    .kernarg_segment_align: 8
    .kernarg_segment_size: 100
    .language:       OpenCL C
    .language_version:
      - 2
      - 0
    .max_flat_workgroup_size: 256
    .name:           _ZL29rocblas_internal_gemmt_kernelIiLi16ELi32ELi8ELc78ELc84ELc85ELb0ELb0E19rocblas_complex_numIfEPKS1_PKS3_PKPS1_EviT_T9_T10_S9_lSB_S9_lSA_T11_S9_li
    .private_segment_fixed_size: 0
    .sgpr_count:     38
    .sgpr_spill_count: 0
    .symbol:         _ZL29rocblas_internal_gemmt_kernelIiLi16ELi32ELi8ELc78ELc84ELc85ELb0ELb0E19rocblas_complex_numIfEPKS1_PKS3_PKPS1_EviT_T9_T10_S9_lSB_S9_lSA_T11_S9_li.kd
    .uniform_work_group_size: 1
    .uses_dynamic_stack: false
    .vgpr_count:     52
    .vgpr_spill_count: 0
    .wavefront_size: 64
  - .agpr_count:     0
    .args:
      - .offset:         0
        .size:           4
        .value_kind:     by_value
      - .offset:         4
        .size:           4
        .value_kind:     by_value
      - .address_space:  global
        .offset:         8
        .size:           8
        .value_kind:     global_buffer
      - .address_space:  global
        .offset:         16
        .size:           8
        .value_kind:     global_buffer
      - .offset:         24
        .size:           4
        .value_kind:     by_value
      - .offset:         32
        .size:           8
        .value_kind:     by_value
      - .address_space:  global
        .offset:         40
        .size:           8
        .value_kind:     global_buffer
      - .offset:         48
        .size:           4
        .value_kind:     by_value
      - .offset:         56
        .size:           8
        .value_kind:     by_value
      - .address_space:  global
        .offset:         64
        .size:           8
        .value_kind:     global_buffer
      - .address_space:  global
        .offset:         72
        .size:           8
        .value_kind:     global_buffer
      - .offset:         80
        .size:           4
        .value_kind:     by_value
      - .offset:         88
        .size:           8
        .value_kind:     by_value
      - .offset:         96
        .size:           4
        .value_kind:     by_value
    .group_segment_fixed_size: 4096
    .kernarg_segment_align: 8
    .kernarg_segment_size: 100
    .language:       OpenCL C
    .language_version:
      - 2
      - 0
    .max_flat_workgroup_size: 256
    .name:           _ZL29rocblas_internal_gemmt_kernelIiLi16ELi32ELi8ELc78ELc67ELc85ELb0ELb1E19rocblas_complex_numIfEPKS1_PKS3_PKPS1_EviT_T9_T10_S9_lSB_S9_lSA_T11_S9_li
    .private_segment_fixed_size: 0
    .sgpr_count:     38
    .sgpr_spill_count: 0
    .symbol:         _ZL29rocblas_internal_gemmt_kernelIiLi16ELi32ELi8ELc78ELc67ELc85ELb0ELb1E19rocblas_complex_numIfEPKS1_PKS3_PKPS1_EviT_T9_T10_S9_lSB_S9_lSA_T11_S9_li.kd
    .uniform_work_group_size: 1
    .uses_dynamic_stack: false
    .vgpr_count:     54
    .vgpr_spill_count: 0
    .wavefront_size: 64
  - .agpr_count:     0
    .args:
      - .offset:         0
        .size:           4
        .value_kind:     by_value
      - .offset:         4
        .size:           4
        .value_kind:     by_value
      - .address_space:  global
        .offset:         8
        .size:           8
        .value_kind:     global_buffer
      - .address_space:  global
        .offset:         16
        .size:           8
        .value_kind:     global_buffer
      - .offset:         24
        .size:           4
        .value_kind:     by_value
      - .offset:         32
        .size:           8
        .value_kind:     by_value
      - .address_space:  global
        .offset:         40
        .size:           8
        .value_kind:     global_buffer
      - .offset:         48
        .size:           4
        .value_kind:     by_value
      - .offset:         56
        .size:           8
        .value_kind:     by_value
      - .address_space:  global
        .offset:         64
        .size:           8
        .value_kind:     global_buffer
      - .address_space:  global
        .offset:         72
        .size:           8
        .value_kind:     global_buffer
      - .offset:         80
        .size:           4
        .value_kind:     by_value
      - .offset:         88
        .size:           8
        .value_kind:     by_value
      - .offset:         96
        .size:           4
        .value_kind:     by_value
    .group_segment_fixed_size: 4096
    .kernarg_segment_align: 8
    .kernarg_segment_size: 100
    .language:       OpenCL C
    .language_version:
      - 2
      - 0
    .max_flat_workgroup_size: 256
    .name:           _ZL29rocblas_internal_gemmt_kernelIiLi16ELi32ELi8ELc84ELc78ELc85ELb0ELb0E19rocblas_complex_numIfEPKS1_PKS3_PKPS1_EviT_T9_T10_S9_lSB_S9_lSA_T11_S9_li
    .private_segment_fixed_size: 0
    .sgpr_count:     35
    .sgpr_spill_count: 0
    .symbol:         _ZL29rocblas_internal_gemmt_kernelIiLi16ELi32ELi8ELc84ELc78ELc85ELb0ELb0E19rocblas_complex_numIfEPKS1_PKS3_PKPS1_EviT_T9_T10_S9_lSB_S9_lSA_T11_S9_li.kd
    .uniform_work_group_size: 1
    .uses_dynamic_stack: false
    .vgpr_count:     52
    .vgpr_spill_count: 0
    .wavefront_size: 64
  - .agpr_count:     0
    .args:
      - .offset:         0
        .size:           4
        .value_kind:     by_value
      - .offset:         4
        .size:           4
        .value_kind:     by_value
      - .address_space:  global
        .offset:         8
        .size:           8
        .value_kind:     global_buffer
      - .address_space:  global
        .offset:         16
        .size:           8
        .value_kind:     global_buffer
      - .offset:         24
        .size:           4
        .value_kind:     by_value
      - .offset:         32
        .size:           8
        .value_kind:     by_value
      - .address_space:  global
        .offset:         40
        .size:           8
        .value_kind:     global_buffer
      - .offset:         48
        .size:           4
        .value_kind:     by_value
      - .offset:         56
        .size:           8
        .value_kind:     by_value
      - .address_space:  global
        .offset:         64
        .size:           8
        .value_kind:     global_buffer
      - .address_space:  global
        .offset:         72
        .size:           8
        .value_kind:     global_buffer
      - .offset:         80
        .size:           4
        .value_kind:     by_value
      - .offset:         88
        .size:           8
        .value_kind:     by_value
      - .offset:         96
        .size:           4
        .value_kind:     by_value
    .group_segment_fixed_size: 4096
    .kernarg_segment_align: 8
    .kernarg_segment_size: 100
    .language:       OpenCL C
    .language_version:
      - 2
      - 0
    .max_flat_workgroup_size: 256
    .name:           _ZL29rocblas_internal_gemmt_kernelIiLi16ELi32ELi8ELc84ELc84ELc85ELb0ELb0E19rocblas_complex_numIfEPKS1_PKS3_PKPS1_EviT_T9_T10_S9_lSB_S9_lSA_T11_S9_li
    .private_segment_fixed_size: 0
    .sgpr_count:     36
    .sgpr_spill_count: 0
    .symbol:         _ZL29rocblas_internal_gemmt_kernelIiLi16ELi32ELi8ELc84ELc84ELc85ELb0ELb0E19rocblas_complex_numIfEPKS1_PKS3_PKPS1_EviT_T9_T10_S9_lSB_S9_lSA_T11_S9_li.kd
    .uniform_work_group_size: 1
    .uses_dynamic_stack: false
    .vgpr_count:     52
    .vgpr_spill_count: 0
    .wavefront_size: 64
  - .agpr_count:     0
    .args:
      - .offset:         0
        .size:           4
        .value_kind:     by_value
      - .offset:         4
        .size:           4
        .value_kind:     by_value
      - .address_space:  global
        .offset:         8
        .size:           8
        .value_kind:     global_buffer
      - .address_space:  global
        .offset:         16
        .size:           8
        .value_kind:     global_buffer
      - .offset:         24
        .size:           4
        .value_kind:     by_value
      - .offset:         32
        .size:           8
        .value_kind:     by_value
      - .address_space:  global
        .offset:         40
        .size:           8
        .value_kind:     global_buffer
      - .offset:         48
        .size:           4
        .value_kind:     by_value
      - .offset:         56
        .size:           8
        .value_kind:     by_value
      - .address_space:  global
        .offset:         64
        .size:           8
        .value_kind:     global_buffer
      - .address_space:  global
        .offset:         72
        .size:           8
        .value_kind:     global_buffer
      - .offset:         80
        .size:           4
        .value_kind:     by_value
      - .offset:         88
        .size:           8
        .value_kind:     by_value
      - .offset:         96
        .size:           4
        .value_kind:     by_value
    .group_segment_fixed_size: 4096
    .kernarg_segment_align: 8
    .kernarg_segment_size: 100
    .language:       OpenCL C
    .language_version:
      - 2
      - 0
    .max_flat_workgroup_size: 256
    .name:           _ZL29rocblas_internal_gemmt_kernelIiLi16ELi32ELi8ELc84ELc67ELc85ELb0ELb1E19rocblas_complex_numIfEPKS1_PKS3_PKPS1_EviT_T9_T10_S9_lSB_S9_lSA_T11_S9_li
    .private_segment_fixed_size: 0
    .sgpr_count:     36
    .sgpr_spill_count: 0
    .symbol:         _ZL29rocblas_internal_gemmt_kernelIiLi16ELi32ELi8ELc84ELc67ELc85ELb0ELb1E19rocblas_complex_numIfEPKS1_PKS3_PKPS1_EviT_T9_T10_S9_lSB_S9_lSA_T11_S9_li.kd
    .uniform_work_group_size: 1
    .uses_dynamic_stack: false
    .vgpr_count:     54
    .vgpr_spill_count: 0
    .wavefront_size: 64
  - .agpr_count:     0
    .args:
      - .offset:         0
        .size:           4
        .value_kind:     by_value
      - .offset:         4
        .size:           4
        .value_kind:     by_value
      - .address_space:  global
        .offset:         8
        .size:           8
        .value_kind:     global_buffer
      - .address_space:  global
        .offset:         16
        .size:           8
        .value_kind:     global_buffer
      - .offset:         24
        .size:           4
        .value_kind:     by_value
      - .offset:         32
        .size:           8
        .value_kind:     by_value
      - .address_space:  global
        .offset:         40
        .size:           8
        .value_kind:     global_buffer
      - .offset:         48
        .size:           4
        .value_kind:     by_value
      - .offset:         56
        .size:           8
        .value_kind:     by_value
      - .address_space:  global
        .offset:         64
        .size:           8
        .value_kind:     global_buffer
      - .address_space:  global
        .offset:         72
        .size:           8
        .value_kind:     global_buffer
      - .offset:         80
        .size:           4
        .value_kind:     by_value
      - .offset:         88
        .size:           8
        .value_kind:     by_value
      - .offset:         96
        .size:           4
        .value_kind:     by_value
    .group_segment_fixed_size: 4096
    .kernarg_segment_align: 8
    .kernarg_segment_size: 100
    .language:       OpenCL C
    .language_version:
      - 2
      - 0
    .max_flat_workgroup_size: 256
    .name:           _ZL29rocblas_internal_gemmt_kernelIiLi16ELi32ELi8ELc67ELc78ELc85ELb1ELb0E19rocblas_complex_numIfEPKS1_PKS3_PKPS1_EviT_T9_T10_S9_lSB_S9_lSA_T11_S9_li
    .private_segment_fixed_size: 0
    .sgpr_count:     35
    .sgpr_spill_count: 0
    .symbol:         _ZL29rocblas_internal_gemmt_kernelIiLi16ELi32ELi8ELc67ELc78ELc85ELb1ELb0E19rocblas_complex_numIfEPKS1_PKS3_PKPS1_EviT_T9_T10_S9_lSB_S9_lSA_T11_S9_li.kd
    .uniform_work_group_size: 1
    .uses_dynamic_stack: false
    .vgpr_count:     54
    .vgpr_spill_count: 0
    .wavefront_size: 64
  - .agpr_count:     0
    .args:
      - .offset:         0
        .size:           4
        .value_kind:     by_value
      - .offset:         4
        .size:           4
        .value_kind:     by_value
      - .address_space:  global
        .offset:         8
        .size:           8
        .value_kind:     global_buffer
      - .address_space:  global
        .offset:         16
        .size:           8
        .value_kind:     global_buffer
      - .offset:         24
        .size:           4
        .value_kind:     by_value
      - .offset:         32
        .size:           8
        .value_kind:     by_value
      - .address_space:  global
        .offset:         40
        .size:           8
        .value_kind:     global_buffer
      - .offset:         48
        .size:           4
        .value_kind:     by_value
      - .offset:         56
        .size:           8
        .value_kind:     by_value
      - .address_space:  global
        .offset:         64
        .size:           8
        .value_kind:     global_buffer
      - .address_space:  global
        .offset:         72
        .size:           8
        .value_kind:     global_buffer
      - .offset:         80
        .size:           4
        .value_kind:     by_value
      - .offset:         88
        .size:           8
        .value_kind:     by_value
      - .offset:         96
        .size:           4
        .value_kind:     by_value
    .group_segment_fixed_size: 4096
    .kernarg_segment_align: 8
    .kernarg_segment_size: 100
    .language:       OpenCL C
    .language_version:
      - 2
      - 0
    .max_flat_workgroup_size: 256
    .name:           _ZL29rocblas_internal_gemmt_kernelIiLi16ELi32ELi8ELc67ELc84ELc85ELb1ELb0E19rocblas_complex_numIfEPKS1_PKS3_PKPS1_EviT_T9_T10_S9_lSB_S9_lSA_T11_S9_li
    .private_segment_fixed_size: 0
    .sgpr_count:     36
    .sgpr_spill_count: 0
    .symbol:         _ZL29rocblas_internal_gemmt_kernelIiLi16ELi32ELi8ELc67ELc84ELc85ELb1ELb0E19rocblas_complex_numIfEPKS1_PKS3_PKPS1_EviT_T9_T10_S9_lSB_S9_lSA_T11_S9_li.kd
    .uniform_work_group_size: 1
    .uses_dynamic_stack: false
    .vgpr_count:     54
    .vgpr_spill_count: 0
    .wavefront_size: 64
  - .agpr_count:     0
    .args:
      - .offset:         0
        .size:           4
        .value_kind:     by_value
      - .offset:         4
        .size:           4
        .value_kind:     by_value
      - .address_space:  global
        .offset:         8
        .size:           8
        .value_kind:     global_buffer
      - .address_space:  global
        .offset:         16
        .size:           8
        .value_kind:     global_buffer
      - .offset:         24
        .size:           4
        .value_kind:     by_value
      - .offset:         32
        .size:           8
        .value_kind:     by_value
      - .address_space:  global
        .offset:         40
        .size:           8
        .value_kind:     global_buffer
      - .offset:         48
        .size:           4
        .value_kind:     by_value
      - .offset:         56
        .size:           8
        .value_kind:     by_value
      - .address_space:  global
        .offset:         64
        .size:           8
        .value_kind:     global_buffer
      - .address_space:  global
        .offset:         72
        .size:           8
        .value_kind:     global_buffer
      - .offset:         80
        .size:           4
        .value_kind:     by_value
      - .offset:         88
        .size:           8
        .value_kind:     by_value
      - .offset:         96
        .size:           4
        .value_kind:     by_value
    .group_segment_fixed_size: 4096
    .kernarg_segment_align: 8
    .kernarg_segment_size: 100
    .language:       OpenCL C
    .language_version:
      - 2
      - 0
    .max_flat_workgroup_size: 256
    .name:           _ZL29rocblas_internal_gemmt_kernelIiLi16ELi32ELi8ELc67ELc67ELc85ELb1ELb1E19rocblas_complex_numIfEPKS1_PKS3_PKPS1_EviT_T9_T10_S9_lSB_S9_lSA_T11_S9_li
    .private_segment_fixed_size: 0
    .sgpr_count:     36
    .sgpr_spill_count: 0
    .symbol:         _ZL29rocblas_internal_gemmt_kernelIiLi16ELi32ELi8ELc67ELc67ELc85ELb1ELb1E19rocblas_complex_numIfEPKS1_PKS3_PKPS1_EviT_T9_T10_S9_lSB_S9_lSA_T11_S9_li.kd
    .uniform_work_group_size: 1
    .uses_dynamic_stack: false
    .vgpr_count:     54
    .vgpr_spill_count: 0
    .wavefront_size: 64
  - .agpr_count:     0
    .args:
      - .offset:         0
        .size:           4
        .value_kind:     by_value
      - .offset:         4
        .size:           4
        .value_kind:     by_value
      - .address_space:  global
        .offset:         8
        .size:           8
        .value_kind:     global_buffer
      - .address_space:  global
        .offset:         16
        .size:           8
        .value_kind:     global_buffer
      - .offset:         24
        .size:           4
        .value_kind:     by_value
      - .offset:         32
        .size:           8
        .value_kind:     by_value
      - .address_space:  global
        .offset:         40
        .size:           8
        .value_kind:     global_buffer
      - .offset:         48
        .size:           4
        .value_kind:     by_value
      - .offset:         56
        .size:           8
        .value_kind:     by_value
      - .address_space:  global
        .offset:         64
        .size:           8
        .value_kind:     global_buffer
      - .address_space:  global
        .offset:         72
        .size:           8
        .value_kind:     global_buffer
      - .offset:         80
        .size:           4
        .value_kind:     by_value
      - .offset:         88
        .size:           8
        .value_kind:     by_value
      - .offset:         96
        .size:           4
        .value_kind:     by_value
    .group_segment_fixed_size: 4096
    .kernarg_segment_align: 8
    .kernarg_segment_size: 100
    .language:       OpenCL C
    .language_version:
      - 2
      - 0
    .max_flat_workgroup_size: 256
    .name:           _ZL29rocblas_internal_gemmt_kernelIiLi16ELi32ELi8ELc78ELc78ELc76ELb0ELb0E19rocblas_complex_numIfEPKS1_PKS3_PKPS1_EviT_T9_T10_S9_lSB_S9_lSA_T11_S9_li
    .private_segment_fixed_size: 0
    .sgpr_count:     36
    .sgpr_spill_count: 0
    .symbol:         _ZL29rocblas_internal_gemmt_kernelIiLi16ELi32ELi8ELc78ELc78ELc76ELb0ELb0E19rocblas_complex_numIfEPKS1_PKS3_PKPS1_EviT_T9_T10_S9_lSB_S9_lSA_T11_S9_li.kd
    .uniform_work_group_size: 1
    .uses_dynamic_stack: false
    .vgpr_count:     52
    .vgpr_spill_count: 0
    .wavefront_size: 64
  - .agpr_count:     0
    .args:
      - .offset:         0
        .size:           4
        .value_kind:     by_value
      - .offset:         4
        .size:           4
        .value_kind:     by_value
      - .address_space:  global
        .offset:         8
        .size:           8
        .value_kind:     global_buffer
      - .address_space:  global
        .offset:         16
        .size:           8
        .value_kind:     global_buffer
      - .offset:         24
        .size:           4
        .value_kind:     by_value
      - .offset:         32
        .size:           8
        .value_kind:     by_value
      - .address_space:  global
        .offset:         40
        .size:           8
        .value_kind:     global_buffer
      - .offset:         48
        .size:           4
        .value_kind:     by_value
      - .offset:         56
        .size:           8
        .value_kind:     by_value
      - .address_space:  global
        .offset:         64
        .size:           8
        .value_kind:     global_buffer
      - .address_space:  global
        .offset:         72
        .size:           8
        .value_kind:     global_buffer
      - .offset:         80
        .size:           4
        .value_kind:     by_value
      - .offset:         88
        .size:           8
        .value_kind:     by_value
      - .offset:         96
        .size:           4
        .value_kind:     by_value
    .group_segment_fixed_size: 4096
    .kernarg_segment_align: 8
    .kernarg_segment_size: 100
    .language:       OpenCL C
    .language_version:
      - 2
      - 0
    .max_flat_workgroup_size: 256
    .name:           _ZL29rocblas_internal_gemmt_kernelIiLi16ELi32ELi8ELc78ELc84ELc76ELb0ELb0E19rocblas_complex_numIfEPKS1_PKS3_PKPS1_EviT_T9_T10_S9_lSB_S9_lSA_T11_S9_li
    .private_segment_fixed_size: 0
    .sgpr_count:     38
    .sgpr_spill_count: 0
    .symbol:         _ZL29rocblas_internal_gemmt_kernelIiLi16ELi32ELi8ELc78ELc84ELc76ELb0ELb0E19rocblas_complex_numIfEPKS1_PKS3_PKPS1_EviT_T9_T10_S9_lSB_S9_lSA_T11_S9_li.kd
    .uniform_work_group_size: 1
    .uses_dynamic_stack: false
    .vgpr_count:     52
    .vgpr_spill_count: 0
    .wavefront_size: 64
  - .agpr_count:     0
    .args:
      - .offset:         0
        .size:           4
        .value_kind:     by_value
      - .offset:         4
        .size:           4
        .value_kind:     by_value
      - .address_space:  global
        .offset:         8
        .size:           8
        .value_kind:     global_buffer
      - .address_space:  global
        .offset:         16
        .size:           8
        .value_kind:     global_buffer
      - .offset:         24
        .size:           4
        .value_kind:     by_value
      - .offset:         32
        .size:           8
        .value_kind:     by_value
      - .address_space:  global
        .offset:         40
        .size:           8
        .value_kind:     global_buffer
      - .offset:         48
        .size:           4
        .value_kind:     by_value
      - .offset:         56
        .size:           8
        .value_kind:     by_value
      - .address_space:  global
        .offset:         64
        .size:           8
        .value_kind:     global_buffer
      - .address_space:  global
        .offset:         72
        .size:           8
        .value_kind:     global_buffer
      - .offset:         80
        .size:           4
        .value_kind:     by_value
      - .offset:         88
        .size:           8
        .value_kind:     by_value
      - .offset:         96
        .size:           4
        .value_kind:     by_value
    .group_segment_fixed_size: 4096
    .kernarg_segment_align: 8
    .kernarg_segment_size: 100
    .language:       OpenCL C
    .language_version:
      - 2
      - 0
    .max_flat_workgroup_size: 256
    .name:           _ZL29rocblas_internal_gemmt_kernelIiLi16ELi32ELi8ELc78ELc67ELc76ELb0ELb1E19rocblas_complex_numIfEPKS1_PKS3_PKPS1_EviT_T9_T10_S9_lSB_S9_lSA_T11_S9_li
    .private_segment_fixed_size: 0
    .sgpr_count:     38
    .sgpr_spill_count: 0
    .symbol:         _ZL29rocblas_internal_gemmt_kernelIiLi16ELi32ELi8ELc78ELc67ELc76ELb0ELb1E19rocblas_complex_numIfEPKS1_PKS3_PKPS1_EviT_T9_T10_S9_lSB_S9_lSA_T11_S9_li.kd
    .uniform_work_group_size: 1
    .uses_dynamic_stack: false
    .vgpr_count:     54
    .vgpr_spill_count: 0
    .wavefront_size: 64
  - .agpr_count:     0
    .args:
      - .offset:         0
        .size:           4
        .value_kind:     by_value
      - .offset:         4
        .size:           4
        .value_kind:     by_value
      - .address_space:  global
        .offset:         8
        .size:           8
        .value_kind:     global_buffer
      - .address_space:  global
        .offset:         16
        .size:           8
        .value_kind:     global_buffer
      - .offset:         24
        .size:           4
        .value_kind:     by_value
      - .offset:         32
        .size:           8
        .value_kind:     by_value
      - .address_space:  global
        .offset:         40
        .size:           8
        .value_kind:     global_buffer
      - .offset:         48
        .size:           4
        .value_kind:     by_value
      - .offset:         56
        .size:           8
        .value_kind:     by_value
      - .address_space:  global
        .offset:         64
        .size:           8
        .value_kind:     global_buffer
      - .address_space:  global
        .offset:         72
        .size:           8
        .value_kind:     global_buffer
      - .offset:         80
        .size:           4
        .value_kind:     by_value
      - .offset:         88
        .size:           8
        .value_kind:     by_value
      - .offset:         96
        .size:           4
        .value_kind:     by_value
    .group_segment_fixed_size: 4096
    .kernarg_segment_align: 8
    .kernarg_segment_size: 100
    .language:       OpenCL C
    .language_version:
      - 2
      - 0
    .max_flat_workgroup_size: 256
    .name:           _ZL29rocblas_internal_gemmt_kernelIiLi16ELi32ELi8ELc84ELc78ELc76ELb0ELb0E19rocblas_complex_numIfEPKS1_PKS3_PKPS1_EviT_T9_T10_S9_lSB_S9_lSA_T11_S9_li
    .private_segment_fixed_size: 0
    .sgpr_count:     35
    .sgpr_spill_count: 0
    .symbol:         _ZL29rocblas_internal_gemmt_kernelIiLi16ELi32ELi8ELc84ELc78ELc76ELb0ELb0E19rocblas_complex_numIfEPKS1_PKS3_PKPS1_EviT_T9_T10_S9_lSB_S9_lSA_T11_S9_li.kd
    .uniform_work_group_size: 1
    .uses_dynamic_stack: false
    .vgpr_count:     52
    .vgpr_spill_count: 0
    .wavefront_size: 64
  - .agpr_count:     0
    .args:
      - .offset:         0
        .size:           4
        .value_kind:     by_value
      - .offset:         4
        .size:           4
        .value_kind:     by_value
      - .address_space:  global
        .offset:         8
        .size:           8
        .value_kind:     global_buffer
      - .address_space:  global
        .offset:         16
        .size:           8
        .value_kind:     global_buffer
      - .offset:         24
        .size:           4
        .value_kind:     by_value
      - .offset:         32
        .size:           8
        .value_kind:     by_value
      - .address_space:  global
        .offset:         40
        .size:           8
        .value_kind:     global_buffer
      - .offset:         48
        .size:           4
        .value_kind:     by_value
      - .offset:         56
        .size:           8
        .value_kind:     by_value
      - .address_space:  global
        .offset:         64
        .size:           8
        .value_kind:     global_buffer
      - .address_space:  global
        .offset:         72
        .size:           8
        .value_kind:     global_buffer
      - .offset:         80
        .size:           4
        .value_kind:     by_value
      - .offset:         88
        .size:           8
        .value_kind:     by_value
      - .offset:         96
        .size:           4
        .value_kind:     by_value
    .group_segment_fixed_size: 4096
    .kernarg_segment_align: 8
    .kernarg_segment_size: 100
    .language:       OpenCL C
    .language_version:
      - 2
      - 0
    .max_flat_workgroup_size: 256
    .name:           _ZL29rocblas_internal_gemmt_kernelIiLi16ELi32ELi8ELc84ELc84ELc76ELb0ELb0E19rocblas_complex_numIfEPKS1_PKS3_PKPS1_EviT_T9_T10_S9_lSB_S9_lSA_T11_S9_li
    .private_segment_fixed_size: 0
    .sgpr_count:     36
    .sgpr_spill_count: 0
    .symbol:         _ZL29rocblas_internal_gemmt_kernelIiLi16ELi32ELi8ELc84ELc84ELc76ELb0ELb0E19rocblas_complex_numIfEPKS1_PKS3_PKPS1_EviT_T9_T10_S9_lSB_S9_lSA_T11_S9_li.kd
    .uniform_work_group_size: 1
    .uses_dynamic_stack: false
    .vgpr_count:     52
    .vgpr_spill_count: 0
    .wavefront_size: 64
  - .agpr_count:     0
    .args:
      - .offset:         0
        .size:           4
        .value_kind:     by_value
      - .offset:         4
        .size:           4
        .value_kind:     by_value
      - .address_space:  global
        .offset:         8
        .size:           8
        .value_kind:     global_buffer
      - .address_space:  global
        .offset:         16
        .size:           8
        .value_kind:     global_buffer
      - .offset:         24
        .size:           4
        .value_kind:     by_value
      - .offset:         32
        .size:           8
        .value_kind:     by_value
      - .address_space:  global
        .offset:         40
        .size:           8
        .value_kind:     global_buffer
      - .offset:         48
        .size:           4
        .value_kind:     by_value
      - .offset:         56
        .size:           8
        .value_kind:     by_value
      - .address_space:  global
        .offset:         64
        .size:           8
        .value_kind:     global_buffer
      - .address_space:  global
        .offset:         72
        .size:           8
        .value_kind:     global_buffer
      - .offset:         80
        .size:           4
        .value_kind:     by_value
      - .offset:         88
        .size:           8
        .value_kind:     by_value
      - .offset:         96
        .size:           4
        .value_kind:     by_value
    .group_segment_fixed_size: 4096
    .kernarg_segment_align: 8
    .kernarg_segment_size: 100
    .language:       OpenCL C
    .language_version:
      - 2
      - 0
    .max_flat_workgroup_size: 256
    .name:           _ZL29rocblas_internal_gemmt_kernelIiLi16ELi32ELi8ELc84ELc67ELc76ELb0ELb1E19rocblas_complex_numIfEPKS1_PKS3_PKPS1_EviT_T9_T10_S9_lSB_S9_lSA_T11_S9_li
    .private_segment_fixed_size: 0
    .sgpr_count:     36
    .sgpr_spill_count: 0
    .symbol:         _ZL29rocblas_internal_gemmt_kernelIiLi16ELi32ELi8ELc84ELc67ELc76ELb0ELb1E19rocblas_complex_numIfEPKS1_PKS3_PKPS1_EviT_T9_T10_S9_lSB_S9_lSA_T11_S9_li.kd
    .uniform_work_group_size: 1
    .uses_dynamic_stack: false
    .vgpr_count:     54
    .vgpr_spill_count: 0
    .wavefront_size: 64
  - .agpr_count:     0
    .args:
      - .offset:         0
        .size:           4
        .value_kind:     by_value
      - .offset:         4
        .size:           4
        .value_kind:     by_value
      - .address_space:  global
        .offset:         8
        .size:           8
        .value_kind:     global_buffer
      - .address_space:  global
        .offset:         16
        .size:           8
        .value_kind:     global_buffer
      - .offset:         24
        .size:           4
        .value_kind:     by_value
      - .offset:         32
        .size:           8
        .value_kind:     by_value
      - .address_space:  global
        .offset:         40
        .size:           8
        .value_kind:     global_buffer
      - .offset:         48
        .size:           4
        .value_kind:     by_value
      - .offset:         56
        .size:           8
        .value_kind:     by_value
      - .address_space:  global
        .offset:         64
        .size:           8
        .value_kind:     global_buffer
      - .address_space:  global
        .offset:         72
        .size:           8
        .value_kind:     global_buffer
      - .offset:         80
        .size:           4
        .value_kind:     by_value
      - .offset:         88
        .size:           8
        .value_kind:     by_value
      - .offset:         96
        .size:           4
        .value_kind:     by_value
    .group_segment_fixed_size: 4096
    .kernarg_segment_align: 8
    .kernarg_segment_size: 100
    .language:       OpenCL C
    .language_version:
      - 2
      - 0
    .max_flat_workgroup_size: 256
    .name:           _ZL29rocblas_internal_gemmt_kernelIiLi16ELi32ELi8ELc67ELc78ELc76ELb1ELb0E19rocblas_complex_numIfEPKS1_PKS3_PKPS1_EviT_T9_T10_S9_lSB_S9_lSA_T11_S9_li
    .private_segment_fixed_size: 0
    .sgpr_count:     35
    .sgpr_spill_count: 0
    .symbol:         _ZL29rocblas_internal_gemmt_kernelIiLi16ELi32ELi8ELc67ELc78ELc76ELb1ELb0E19rocblas_complex_numIfEPKS1_PKS3_PKPS1_EviT_T9_T10_S9_lSB_S9_lSA_T11_S9_li.kd
    .uniform_work_group_size: 1
    .uses_dynamic_stack: false
    .vgpr_count:     54
    .vgpr_spill_count: 0
    .wavefront_size: 64
  - .agpr_count:     0
    .args:
      - .offset:         0
        .size:           4
        .value_kind:     by_value
      - .offset:         4
        .size:           4
        .value_kind:     by_value
      - .address_space:  global
        .offset:         8
        .size:           8
        .value_kind:     global_buffer
      - .address_space:  global
        .offset:         16
        .size:           8
        .value_kind:     global_buffer
      - .offset:         24
        .size:           4
        .value_kind:     by_value
      - .offset:         32
        .size:           8
        .value_kind:     by_value
      - .address_space:  global
        .offset:         40
        .size:           8
        .value_kind:     global_buffer
      - .offset:         48
        .size:           4
        .value_kind:     by_value
      - .offset:         56
        .size:           8
        .value_kind:     by_value
      - .address_space:  global
        .offset:         64
        .size:           8
        .value_kind:     global_buffer
      - .address_space:  global
        .offset:         72
        .size:           8
        .value_kind:     global_buffer
      - .offset:         80
        .size:           4
        .value_kind:     by_value
      - .offset:         88
        .size:           8
        .value_kind:     by_value
      - .offset:         96
        .size:           4
        .value_kind:     by_value
    .group_segment_fixed_size: 4096
    .kernarg_segment_align: 8
    .kernarg_segment_size: 100
    .language:       OpenCL C
    .language_version:
      - 2
      - 0
    .max_flat_workgroup_size: 256
    .name:           _ZL29rocblas_internal_gemmt_kernelIiLi16ELi32ELi8ELc67ELc84ELc76ELb1ELb0E19rocblas_complex_numIfEPKS1_PKS3_PKPS1_EviT_T9_T10_S9_lSB_S9_lSA_T11_S9_li
    .private_segment_fixed_size: 0
    .sgpr_count:     36
    .sgpr_spill_count: 0
    .symbol:         _ZL29rocblas_internal_gemmt_kernelIiLi16ELi32ELi8ELc67ELc84ELc76ELb1ELb0E19rocblas_complex_numIfEPKS1_PKS3_PKPS1_EviT_T9_T10_S9_lSB_S9_lSA_T11_S9_li.kd
    .uniform_work_group_size: 1
    .uses_dynamic_stack: false
    .vgpr_count:     54
    .vgpr_spill_count: 0
    .wavefront_size: 64
  - .agpr_count:     0
    .args:
      - .offset:         0
        .size:           4
        .value_kind:     by_value
      - .offset:         4
        .size:           4
        .value_kind:     by_value
      - .address_space:  global
        .offset:         8
        .size:           8
        .value_kind:     global_buffer
      - .address_space:  global
        .offset:         16
        .size:           8
        .value_kind:     global_buffer
      - .offset:         24
        .size:           4
        .value_kind:     by_value
      - .offset:         32
        .size:           8
        .value_kind:     by_value
      - .address_space:  global
        .offset:         40
        .size:           8
        .value_kind:     global_buffer
      - .offset:         48
        .size:           4
        .value_kind:     by_value
      - .offset:         56
        .size:           8
        .value_kind:     by_value
      - .address_space:  global
        .offset:         64
        .size:           8
        .value_kind:     global_buffer
      - .address_space:  global
        .offset:         72
        .size:           8
        .value_kind:     global_buffer
      - .offset:         80
        .size:           4
        .value_kind:     by_value
      - .offset:         88
        .size:           8
        .value_kind:     by_value
      - .offset:         96
        .size:           4
        .value_kind:     by_value
    .group_segment_fixed_size: 4096
    .kernarg_segment_align: 8
    .kernarg_segment_size: 100
    .language:       OpenCL C
    .language_version:
      - 2
      - 0
    .max_flat_workgroup_size: 256
    .name:           _ZL29rocblas_internal_gemmt_kernelIiLi16ELi32ELi8ELc67ELc67ELc76ELb1ELb1E19rocblas_complex_numIfEPKS1_PKS3_PKPS1_EviT_T9_T10_S9_lSB_S9_lSA_T11_S9_li
    .private_segment_fixed_size: 0
    .sgpr_count:     36
    .sgpr_spill_count: 0
    .symbol:         _ZL29rocblas_internal_gemmt_kernelIiLi16ELi32ELi8ELc67ELc67ELc76ELb1ELb1E19rocblas_complex_numIfEPKS1_PKS3_PKPS1_EviT_T9_T10_S9_lSB_S9_lSA_T11_S9_li.kd
    .uniform_work_group_size: 1
    .uses_dynamic_stack: false
    .vgpr_count:     54
    .vgpr_spill_count: 0
    .wavefront_size: 64
  - .agpr_count:     0
    .args:
      - .offset:         0
        .size:           4
        .value_kind:     by_value
      - .offset:         4
        .size:           4
        .value_kind:     by_value
      - .offset:         8
        .size:           8
        .value_kind:     by_value
      - .address_space:  global
        .offset:         16
        .size:           8
        .value_kind:     global_buffer
      - .offset:         24
        .size:           4
        .value_kind:     by_value
      - .offset:         32
        .size:           8
        .value_kind:     by_value
      - .address_space:  global
        .offset:         40
        .size:           8
        .value_kind:     global_buffer
      - .offset:         48
        .size:           4
        .value_kind:     by_value
      - .offset:         56
        .size:           8
        .value_kind:     by_value
      - .offset:         64
        .size:           8
        .value_kind:     by_value
      - .address_space:  global
        .offset:         72
        .size:           8
        .value_kind:     global_buffer
      - .offset:         80
        .size:           4
        .value_kind:     by_value
      - .offset:         88
        .size:           8
        .value_kind:     by_value
      - .offset:         96
        .size:           4
        .value_kind:     by_value
    .group_segment_fixed_size: 4096
    .kernarg_segment_align: 8
    .kernarg_segment_size: 100
    .language:       OpenCL C
    .language_version:
      - 2
      - 0
    .max_flat_workgroup_size: 256
    .name:           _ZL29rocblas_internal_gemmt_kernelIiLi16ELi32ELi8ELc78ELc78ELc85ELb0ELb0E19rocblas_complex_numIfES1_PKPKS1_PKPS1_EviT_T9_T10_S9_lSB_S9_lSA_T11_S9_li
    .private_segment_fixed_size: 0
    .sgpr_count:     36
    .sgpr_spill_count: 0
    .symbol:         _ZL29rocblas_internal_gemmt_kernelIiLi16ELi32ELi8ELc78ELc78ELc85ELb0ELb0E19rocblas_complex_numIfES1_PKPKS1_PKPS1_EviT_T9_T10_S9_lSB_S9_lSA_T11_S9_li.kd
    .uniform_work_group_size: 1
    .uses_dynamic_stack: false
    .vgpr_count:     52
    .vgpr_spill_count: 0
    .wavefront_size: 64
  - .agpr_count:     0
    .args:
      - .offset:         0
        .size:           4
        .value_kind:     by_value
      - .offset:         4
        .size:           4
        .value_kind:     by_value
      - .offset:         8
        .size:           8
        .value_kind:     by_value
      - .address_space:  global
        .offset:         16
        .size:           8
        .value_kind:     global_buffer
      - .offset:         24
        .size:           4
        .value_kind:     by_value
      - .offset:         32
        .size:           8
        .value_kind:     by_value
      - .address_space:  global
        .offset:         40
        .size:           8
        .value_kind:     global_buffer
      - .offset:         48
        .size:           4
        .value_kind:     by_value
      - .offset:         56
        .size:           8
        .value_kind:     by_value
      - .offset:         64
        .size:           8
        .value_kind:     by_value
      - .address_space:  global
        .offset:         72
        .size:           8
        .value_kind:     global_buffer
      - .offset:         80
        .size:           4
        .value_kind:     by_value
      - .offset:         88
        .size:           8
        .value_kind:     by_value
      - .offset:         96
        .size:           4
        .value_kind:     by_value
    .group_segment_fixed_size: 4096
    .kernarg_segment_align: 8
    .kernarg_segment_size: 100
    .language:       OpenCL C
    .language_version:
      - 2
      - 0
    .max_flat_workgroup_size: 256
    .name:           _ZL29rocblas_internal_gemmt_kernelIiLi16ELi32ELi8ELc78ELc84ELc85ELb0ELb0E19rocblas_complex_numIfES1_PKPKS1_PKPS1_EviT_T9_T10_S9_lSB_S9_lSA_T11_S9_li
    .private_segment_fixed_size: 0
    .sgpr_count:     38
    .sgpr_spill_count: 0
    .symbol:         _ZL29rocblas_internal_gemmt_kernelIiLi16ELi32ELi8ELc78ELc84ELc85ELb0ELb0E19rocblas_complex_numIfES1_PKPKS1_PKPS1_EviT_T9_T10_S9_lSB_S9_lSA_T11_S9_li.kd
    .uniform_work_group_size: 1
    .uses_dynamic_stack: false
    .vgpr_count:     52
    .vgpr_spill_count: 0
    .wavefront_size: 64
  - .agpr_count:     0
    .args:
      - .offset:         0
        .size:           4
        .value_kind:     by_value
      - .offset:         4
        .size:           4
        .value_kind:     by_value
      - .offset:         8
        .size:           8
        .value_kind:     by_value
      - .address_space:  global
        .offset:         16
        .size:           8
        .value_kind:     global_buffer
      - .offset:         24
        .size:           4
        .value_kind:     by_value
      - .offset:         32
        .size:           8
        .value_kind:     by_value
      - .address_space:  global
        .offset:         40
        .size:           8
        .value_kind:     global_buffer
      - .offset:         48
        .size:           4
        .value_kind:     by_value
      - .offset:         56
        .size:           8
        .value_kind:     by_value
      - .offset:         64
        .size:           8
        .value_kind:     by_value
      - .address_space:  global
        .offset:         72
        .size:           8
        .value_kind:     global_buffer
      - .offset:         80
        .size:           4
        .value_kind:     by_value
      - .offset:         88
        .size:           8
        .value_kind:     by_value
      - .offset:         96
        .size:           4
        .value_kind:     by_value
    .group_segment_fixed_size: 4096
    .kernarg_segment_align: 8
    .kernarg_segment_size: 100
    .language:       OpenCL C
    .language_version:
      - 2
      - 0
    .max_flat_workgroup_size: 256
    .name:           _ZL29rocblas_internal_gemmt_kernelIiLi16ELi32ELi8ELc78ELc67ELc85ELb0ELb1E19rocblas_complex_numIfES1_PKPKS1_PKPS1_EviT_T9_T10_S9_lSB_S9_lSA_T11_S9_li
    .private_segment_fixed_size: 0
    .sgpr_count:     38
    .sgpr_spill_count: 0
    .symbol:         _ZL29rocblas_internal_gemmt_kernelIiLi16ELi32ELi8ELc78ELc67ELc85ELb0ELb1E19rocblas_complex_numIfES1_PKPKS1_PKPS1_EviT_T9_T10_S9_lSB_S9_lSA_T11_S9_li.kd
    .uniform_work_group_size: 1
    .uses_dynamic_stack: false
    .vgpr_count:     54
    .vgpr_spill_count: 0
    .wavefront_size: 64
  - .agpr_count:     0
    .args:
      - .offset:         0
        .size:           4
        .value_kind:     by_value
      - .offset:         4
        .size:           4
        .value_kind:     by_value
      - .offset:         8
        .size:           8
        .value_kind:     by_value
      - .address_space:  global
        .offset:         16
        .size:           8
        .value_kind:     global_buffer
      - .offset:         24
        .size:           4
        .value_kind:     by_value
      - .offset:         32
        .size:           8
        .value_kind:     by_value
      - .address_space:  global
        .offset:         40
        .size:           8
        .value_kind:     global_buffer
      - .offset:         48
        .size:           4
        .value_kind:     by_value
      - .offset:         56
        .size:           8
        .value_kind:     by_value
      - .offset:         64
        .size:           8
        .value_kind:     by_value
      - .address_space:  global
        .offset:         72
        .size:           8
        .value_kind:     global_buffer
      - .offset:         80
        .size:           4
        .value_kind:     by_value
      - .offset:         88
        .size:           8
        .value_kind:     by_value
      - .offset:         96
        .size:           4
        .value_kind:     by_value
    .group_segment_fixed_size: 4096
    .kernarg_segment_align: 8
    .kernarg_segment_size: 100
    .language:       OpenCL C
    .language_version:
      - 2
      - 0
    .max_flat_workgroup_size: 256
    .name:           _ZL29rocblas_internal_gemmt_kernelIiLi16ELi32ELi8ELc84ELc78ELc85ELb0ELb0E19rocblas_complex_numIfES1_PKPKS1_PKPS1_EviT_T9_T10_S9_lSB_S9_lSA_T11_S9_li
    .private_segment_fixed_size: 0
    .sgpr_count:     35
    .sgpr_spill_count: 0
    .symbol:         _ZL29rocblas_internal_gemmt_kernelIiLi16ELi32ELi8ELc84ELc78ELc85ELb0ELb0E19rocblas_complex_numIfES1_PKPKS1_PKPS1_EviT_T9_T10_S9_lSB_S9_lSA_T11_S9_li.kd
    .uniform_work_group_size: 1
    .uses_dynamic_stack: false
    .vgpr_count:     52
    .vgpr_spill_count: 0
    .wavefront_size: 64
  - .agpr_count:     0
    .args:
      - .offset:         0
        .size:           4
        .value_kind:     by_value
      - .offset:         4
        .size:           4
        .value_kind:     by_value
      - .offset:         8
        .size:           8
        .value_kind:     by_value
      - .address_space:  global
        .offset:         16
        .size:           8
        .value_kind:     global_buffer
      - .offset:         24
        .size:           4
        .value_kind:     by_value
      - .offset:         32
        .size:           8
        .value_kind:     by_value
      - .address_space:  global
        .offset:         40
        .size:           8
        .value_kind:     global_buffer
      - .offset:         48
        .size:           4
        .value_kind:     by_value
      - .offset:         56
        .size:           8
        .value_kind:     by_value
      - .offset:         64
        .size:           8
        .value_kind:     by_value
      - .address_space:  global
        .offset:         72
        .size:           8
        .value_kind:     global_buffer
      - .offset:         80
        .size:           4
        .value_kind:     by_value
      - .offset:         88
        .size:           8
        .value_kind:     by_value
      - .offset:         96
        .size:           4
        .value_kind:     by_value
    .group_segment_fixed_size: 4096
    .kernarg_segment_align: 8
    .kernarg_segment_size: 100
    .language:       OpenCL C
    .language_version:
      - 2
      - 0
    .max_flat_workgroup_size: 256
    .name:           _ZL29rocblas_internal_gemmt_kernelIiLi16ELi32ELi8ELc84ELc84ELc85ELb0ELb0E19rocblas_complex_numIfES1_PKPKS1_PKPS1_EviT_T9_T10_S9_lSB_S9_lSA_T11_S9_li
    .private_segment_fixed_size: 0
    .sgpr_count:     36
    .sgpr_spill_count: 0
    .symbol:         _ZL29rocblas_internal_gemmt_kernelIiLi16ELi32ELi8ELc84ELc84ELc85ELb0ELb0E19rocblas_complex_numIfES1_PKPKS1_PKPS1_EviT_T9_T10_S9_lSB_S9_lSA_T11_S9_li.kd
    .uniform_work_group_size: 1
    .uses_dynamic_stack: false
    .vgpr_count:     52
    .vgpr_spill_count: 0
    .wavefront_size: 64
  - .agpr_count:     0
    .args:
      - .offset:         0
        .size:           4
        .value_kind:     by_value
      - .offset:         4
        .size:           4
        .value_kind:     by_value
      - .offset:         8
        .size:           8
        .value_kind:     by_value
      - .address_space:  global
        .offset:         16
        .size:           8
        .value_kind:     global_buffer
      - .offset:         24
        .size:           4
        .value_kind:     by_value
      - .offset:         32
        .size:           8
        .value_kind:     by_value
      - .address_space:  global
        .offset:         40
        .size:           8
        .value_kind:     global_buffer
      - .offset:         48
        .size:           4
        .value_kind:     by_value
      - .offset:         56
        .size:           8
        .value_kind:     by_value
      - .offset:         64
        .size:           8
        .value_kind:     by_value
      - .address_space:  global
        .offset:         72
        .size:           8
        .value_kind:     global_buffer
      - .offset:         80
        .size:           4
        .value_kind:     by_value
      - .offset:         88
        .size:           8
        .value_kind:     by_value
      - .offset:         96
        .size:           4
        .value_kind:     by_value
    .group_segment_fixed_size: 4096
    .kernarg_segment_align: 8
    .kernarg_segment_size: 100
    .language:       OpenCL C
    .language_version:
      - 2
      - 0
    .max_flat_workgroup_size: 256
    .name:           _ZL29rocblas_internal_gemmt_kernelIiLi16ELi32ELi8ELc84ELc67ELc85ELb0ELb1E19rocblas_complex_numIfES1_PKPKS1_PKPS1_EviT_T9_T10_S9_lSB_S9_lSA_T11_S9_li
    .private_segment_fixed_size: 0
    .sgpr_count:     36
    .sgpr_spill_count: 0
    .symbol:         _ZL29rocblas_internal_gemmt_kernelIiLi16ELi32ELi8ELc84ELc67ELc85ELb0ELb1E19rocblas_complex_numIfES1_PKPKS1_PKPS1_EviT_T9_T10_S9_lSB_S9_lSA_T11_S9_li.kd
    .uniform_work_group_size: 1
    .uses_dynamic_stack: false
    .vgpr_count:     54
    .vgpr_spill_count: 0
    .wavefront_size: 64
  - .agpr_count:     0
    .args:
      - .offset:         0
        .size:           4
        .value_kind:     by_value
      - .offset:         4
        .size:           4
        .value_kind:     by_value
      - .offset:         8
        .size:           8
        .value_kind:     by_value
      - .address_space:  global
        .offset:         16
        .size:           8
        .value_kind:     global_buffer
      - .offset:         24
        .size:           4
        .value_kind:     by_value
      - .offset:         32
        .size:           8
        .value_kind:     by_value
      - .address_space:  global
        .offset:         40
        .size:           8
        .value_kind:     global_buffer
      - .offset:         48
        .size:           4
        .value_kind:     by_value
      - .offset:         56
        .size:           8
        .value_kind:     by_value
      - .offset:         64
        .size:           8
        .value_kind:     by_value
      - .address_space:  global
        .offset:         72
        .size:           8
        .value_kind:     global_buffer
      - .offset:         80
        .size:           4
        .value_kind:     by_value
      - .offset:         88
        .size:           8
        .value_kind:     by_value
      - .offset:         96
        .size:           4
        .value_kind:     by_value
    .group_segment_fixed_size: 4096
    .kernarg_segment_align: 8
    .kernarg_segment_size: 100
    .language:       OpenCL C
    .language_version:
      - 2
      - 0
    .max_flat_workgroup_size: 256
    .name:           _ZL29rocblas_internal_gemmt_kernelIiLi16ELi32ELi8ELc67ELc78ELc85ELb1ELb0E19rocblas_complex_numIfES1_PKPKS1_PKPS1_EviT_T9_T10_S9_lSB_S9_lSA_T11_S9_li
    .private_segment_fixed_size: 0
    .sgpr_count:     35
    .sgpr_spill_count: 0
    .symbol:         _ZL29rocblas_internal_gemmt_kernelIiLi16ELi32ELi8ELc67ELc78ELc85ELb1ELb0E19rocblas_complex_numIfES1_PKPKS1_PKPS1_EviT_T9_T10_S9_lSB_S9_lSA_T11_S9_li.kd
    .uniform_work_group_size: 1
    .uses_dynamic_stack: false
    .vgpr_count:     54
    .vgpr_spill_count: 0
    .wavefront_size: 64
  - .agpr_count:     0
    .args:
      - .offset:         0
        .size:           4
        .value_kind:     by_value
      - .offset:         4
        .size:           4
        .value_kind:     by_value
      - .offset:         8
        .size:           8
        .value_kind:     by_value
      - .address_space:  global
        .offset:         16
        .size:           8
        .value_kind:     global_buffer
      - .offset:         24
        .size:           4
        .value_kind:     by_value
      - .offset:         32
        .size:           8
        .value_kind:     by_value
      - .address_space:  global
        .offset:         40
        .size:           8
        .value_kind:     global_buffer
      - .offset:         48
        .size:           4
        .value_kind:     by_value
      - .offset:         56
        .size:           8
        .value_kind:     by_value
      - .offset:         64
        .size:           8
        .value_kind:     by_value
      - .address_space:  global
        .offset:         72
        .size:           8
        .value_kind:     global_buffer
      - .offset:         80
        .size:           4
        .value_kind:     by_value
      - .offset:         88
        .size:           8
        .value_kind:     by_value
      - .offset:         96
        .size:           4
        .value_kind:     by_value
    .group_segment_fixed_size: 4096
    .kernarg_segment_align: 8
    .kernarg_segment_size: 100
    .language:       OpenCL C
    .language_version:
      - 2
      - 0
    .max_flat_workgroup_size: 256
    .name:           _ZL29rocblas_internal_gemmt_kernelIiLi16ELi32ELi8ELc67ELc84ELc85ELb1ELb0E19rocblas_complex_numIfES1_PKPKS1_PKPS1_EviT_T9_T10_S9_lSB_S9_lSA_T11_S9_li
    .private_segment_fixed_size: 0
    .sgpr_count:     36
    .sgpr_spill_count: 0
    .symbol:         _ZL29rocblas_internal_gemmt_kernelIiLi16ELi32ELi8ELc67ELc84ELc85ELb1ELb0E19rocblas_complex_numIfES1_PKPKS1_PKPS1_EviT_T9_T10_S9_lSB_S9_lSA_T11_S9_li.kd
    .uniform_work_group_size: 1
    .uses_dynamic_stack: false
    .vgpr_count:     54
    .vgpr_spill_count: 0
    .wavefront_size: 64
  - .agpr_count:     0
    .args:
      - .offset:         0
        .size:           4
        .value_kind:     by_value
      - .offset:         4
        .size:           4
        .value_kind:     by_value
      - .offset:         8
        .size:           8
        .value_kind:     by_value
      - .address_space:  global
        .offset:         16
        .size:           8
        .value_kind:     global_buffer
      - .offset:         24
        .size:           4
        .value_kind:     by_value
      - .offset:         32
        .size:           8
        .value_kind:     by_value
      - .address_space:  global
        .offset:         40
        .size:           8
        .value_kind:     global_buffer
      - .offset:         48
        .size:           4
        .value_kind:     by_value
      - .offset:         56
        .size:           8
        .value_kind:     by_value
      - .offset:         64
        .size:           8
        .value_kind:     by_value
      - .address_space:  global
        .offset:         72
        .size:           8
        .value_kind:     global_buffer
      - .offset:         80
        .size:           4
        .value_kind:     by_value
      - .offset:         88
        .size:           8
        .value_kind:     by_value
      - .offset:         96
        .size:           4
        .value_kind:     by_value
    .group_segment_fixed_size: 4096
    .kernarg_segment_align: 8
    .kernarg_segment_size: 100
    .language:       OpenCL C
    .language_version:
      - 2
      - 0
    .max_flat_workgroup_size: 256
    .name:           _ZL29rocblas_internal_gemmt_kernelIiLi16ELi32ELi8ELc67ELc67ELc85ELb1ELb1E19rocblas_complex_numIfES1_PKPKS1_PKPS1_EviT_T9_T10_S9_lSB_S9_lSA_T11_S9_li
    .private_segment_fixed_size: 0
    .sgpr_count:     36
    .sgpr_spill_count: 0
    .symbol:         _ZL29rocblas_internal_gemmt_kernelIiLi16ELi32ELi8ELc67ELc67ELc85ELb1ELb1E19rocblas_complex_numIfES1_PKPKS1_PKPS1_EviT_T9_T10_S9_lSB_S9_lSA_T11_S9_li.kd
    .uniform_work_group_size: 1
    .uses_dynamic_stack: false
    .vgpr_count:     54
    .vgpr_spill_count: 0
    .wavefront_size: 64
  - .agpr_count:     0
    .args:
      - .offset:         0
        .size:           4
        .value_kind:     by_value
      - .offset:         4
        .size:           4
        .value_kind:     by_value
      - .offset:         8
        .size:           8
        .value_kind:     by_value
      - .address_space:  global
        .offset:         16
        .size:           8
        .value_kind:     global_buffer
      - .offset:         24
        .size:           4
        .value_kind:     by_value
      - .offset:         32
        .size:           8
        .value_kind:     by_value
      - .address_space:  global
        .offset:         40
        .size:           8
        .value_kind:     global_buffer
      - .offset:         48
        .size:           4
        .value_kind:     by_value
      - .offset:         56
        .size:           8
        .value_kind:     by_value
      - .offset:         64
        .size:           8
        .value_kind:     by_value
      - .address_space:  global
        .offset:         72
        .size:           8
        .value_kind:     global_buffer
      - .offset:         80
        .size:           4
        .value_kind:     by_value
      - .offset:         88
        .size:           8
        .value_kind:     by_value
      - .offset:         96
        .size:           4
        .value_kind:     by_value
    .group_segment_fixed_size: 4096
    .kernarg_segment_align: 8
    .kernarg_segment_size: 100
    .language:       OpenCL C
    .language_version:
      - 2
      - 0
    .max_flat_workgroup_size: 256
    .name:           _ZL29rocblas_internal_gemmt_kernelIiLi16ELi32ELi8ELc78ELc78ELc76ELb0ELb0E19rocblas_complex_numIfES1_PKPKS1_PKPS1_EviT_T9_T10_S9_lSB_S9_lSA_T11_S9_li
    .private_segment_fixed_size: 0
    .sgpr_count:     36
    .sgpr_spill_count: 0
    .symbol:         _ZL29rocblas_internal_gemmt_kernelIiLi16ELi32ELi8ELc78ELc78ELc76ELb0ELb0E19rocblas_complex_numIfES1_PKPKS1_PKPS1_EviT_T9_T10_S9_lSB_S9_lSA_T11_S9_li.kd
    .uniform_work_group_size: 1
    .uses_dynamic_stack: false
    .vgpr_count:     52
    .vgpr_spill_count: 0
    .wavefront_size: 64
  - .agpr_count:     0
    .args:
      - .offset:         0
        .size:           4
        .value_kind:     by_value
      - .offset:         4
        .size:           4
        .value_kind:     by_value
      - .offset:         8
        .size:           8
        .value_kind:     by_value
      - .address_space:  global
        .offset:         16
        .size:           8
        .value_kind:     global_buffer
      - .offset:         24
        .size:           4
        .value_kind:     by_value
      - .offset:         32
        .size:           8
        .value_kind:     by_value
      - .address_space:  global
        .offset:         40
        .size:           8
        .value_kind:     global_buffer
      - .offset:         48
        .size:           4
        .value_kind:     by_value
      - .offset:         56
        .size:           8
        .value_kind:     by_value
      - .offset:         64
        .size:           8
        .value_kind:     by_value
      - .address_space:  global
        .offset:         72
        .size:           8
        .value_kind:     global_buffer
      - .offset:         80
        .size:           4
        .value_kind:     by_value
      - .offset:         88
        .size:           8
        .value_kind:     by_value
      - .offset:         96
        .size:           4
        .value_kind:     by_value
    .group_segment_fixed_size: 4096
    .kernarg_segment_align: 8
    .kernarg_segment_size: 100
    .language:       OpenCL C
    .language_version:
      - 2
      - 0
    .max_flat_workgroup_size: 256
    .name:           _ZL29rocblas_internal_gemmt_kernelIiLi16ELi32ELi8ELc78ELc84ELc76ELb0ELb0E19rocblas_complex_numIfES1_PKPKS1_PKPS1_EviT_T9_T10_S9_lSB_S9_lSA_T11_S9_li
    .private_segment_fixed_size: 0
    .sgpr_count:     38
    .sgpr_spill_count: 0
    .symbol:         _ZL29rocblas_internal_gemmt_kernelIiLi16ELi32ELi8ELc78ELc84ELc76ELb0ELb0E19rocblas_complex_numIfES1_PKPKS1_PKPS1_EviT_T9_T10_S9_lSB_S9_lSA_T11_S9_li.kd
    .uniform_work_group_size: 1
    .uses_dynamic_stack: false
    .vgpr_count:     52
    .vgpr_spill_count: 0
    .wavefront_size: 64
  - .agpr_count:     0
    .args:
      - .offset:         0
        .size:           4
        .value_kind:     by_value
      - .offset:         4
        .size:           4
        .value_kind:     by_value
      - .offset:         8
        .size:           8
        .value_kind:     by_value
      - .address_space:  global
        .offset:         16
        .size:           8
        .value_kind:     global_buffer
      - .offset:         24
        .size:           4
        .value_kind:     by_value
      - .offset:         32
        .size:           8
        .value_kind:     by_value
      - .address_space:  global
        .offset:         40
        .size:           8
        .value_kind:     global_buffer
      - .offset:         48
        .size:           4
        .value_kind:     by_value
      - .offset:         56
        .size:           8
        .value_kind:     by_value
      - .offset:         64
        .size:           8
        .value_kind:     by_value
      - .address_space:  global
        .offset:         72
        .size:           8
        .value_kind:     global_buffer
      - .offset:         80
        .size:           4
        .value_kind:     by_value
      - .offset:         88
        .size:           8
        .value_kind:     by_value
      - .offset:         96
        .size:           4
        .value_kind:     by_value
    .group_segment_fixed_size: 4096
    .kernarg_segment_align: 8
    .kernarg_segment_size: 100
    .language:       OpenCL C
    .language_version:
      - 2
      - 0
    .max_flat_workgroup_size: 256
    .name:           _ZL29rocblas_internal_gemmt_kernelIiLi16ELi32ELi8ELc78ELc67ELc76ELb0ELb1E19rocblas_complex_numIfES1_PKPKS1_PKPS1_EviT_T9_T10_S9_lSB_S9_lSA_T11_S9_li
    .private_segment_fixed_size: 0
    .sgpr_count:     38
    .sgpr_spill_count: 0
    .symbol:         _ZL29rocblas_internal_gemmt_kernelIiLi16ELi32ELi8ELc78ELc67ELc76ELb0ELb1E19rocblas_complex_numIfES1_PKPKS1_PKPS1_EviT_T9_T10_S9_lSB_S9_lSA_T11_S9_li.kd
    .uniform_work_group_size: 1
    .uses_dynamic_stack: false
    .vgpr_count:     54
    .vgpr_spill_count: 0
    .wavefront_size: 64
  - .agpr_count:     0
    .args:
      - .offset:         0
        .size:           4
        .value_kind:     by_value
      - .offset:         4
        .size:           4
        .value_kind:     by_value
      - .offset:         8
        .size:           8
        .value_kind:     by_value
      - .address_space:  global
        .offset:         16
        .size:           8
        .value_kind:     global_buffer
      - .offset:         24
        .size:           4
        .value_kind:     by_value
      - .offset:         32
        .size:           8
        .value_kind:     by_value
      - .address_space:  global
        .offset:         40
        .size:           8
        .value_kind:     global_buffer
      - .offset:         48
        .size:           4
        .value_kind:     by_value
      - .offset:         56
        .size:           8
        .value_kind:     by_value
      - .offset:         64
        .size:           8
        .value_kind:     by_value
      - .address_space:  global
        .offset:         72
        .size:           8
        .value_kind:     global_buffer
      - .offset:         80
        .size:           4
        .value_kind:     by_value
      - .offset:         88
        .size:           8
        .value_kind:     by_value
      - .offset:         96
        .size:           4
        .value_kind:     by_value
    .group_segment_fixed_size: 4096
    .kernarg_segment_align: 8
    .kernarg_segment_size: 100
    .language:       OpenCL C
    .language_version:
      - 2
      - 0
    .max_flat_workgroup_size: 256
    .name:           _ZL29rocblas_internal_gemmt_kernelIiLi16ELi32ELi8ELc84ELc78ELc76ELb0ELb0E19rocblas_complex_numIfES1_PKPKS1_PKPS1_EviT_T9_T10_S9_lSB_S9_lSA_T11_S9_li
    .private_segment_fixed_size: 0
    .sgpr_count:     35
    .sgpr_spill_count: 0
    .symbol:         _ZL29rocblas_internal_gemmt_kernelIiLi16ELi32ELi8ELc84ELc78ELc76ELb0ELb0E19rocblas_complex_numIfES1_PKPKS1_PKPS1_EviT_T9_T10_S9_lSB_S9_lSA_T11_S9_li.kd
    .uniform_work_group_size: 1
    .uses_dynamic_stack: false
    .vgpr_count:     52
    .vgpr_spill_count: 0
    .wavefront_size: 64
  - .agpr_count:     0
    .args:
      - .offset:         0
        .size:           4
        .value_kind:     by_value
      - .offset:         4
        .size:           4
        .value_kind:     by_value
      - .offset:         8
        .size:           8
        .value_kind:     by_value
      - .address_space:  global
        .offset:         16
        .size:           8
        .value_kind:     global_buffer
      - .offset:         24
        .size:           4
        .value_kind:     by_value
      - .offset:         32
        .size:           8
        .value_kind:     by_value
      - .address_space:  global
        .offset:         40
        .size:           8
        .value_kind:     global_buffer
      - .offset:         48
        .size:           4
        .value_kind:     by_value
      - .offset:         56
        .size:           8
        .value_kind:     by_value
      - .offset:         64
        .size:           8
        .value_kind:     by_value
      - .address_space:  global
        .offset:         72
        .size:           8
        .value_kind:     global_buffer
      - .offset:         80
        .size:           4
        .value_kind:     by_value
      - .offset:         88
        .size:           8
        .value_kind:     by_value
      - .offset:         96
        .size:           4
        .value_kind:     by_value
    .group_segment_fixed_size: 4096
    .kernarg_segment_align: 8
    .kernarg_segment_size: 100
    .language:       OpenCL C
    .language_version:
      - 2
      - 0
    .max_flat_workgroup_size: 256
    .name:           _ZL29rocblas_internal_gemmt_kernelIiLi16ELi32ELi8ELc84ELc84ELc76ELb0ELb0E19rocblas_complex_numIfES1_PKPKS1_PKPS1_EviT_T9_T10_S9_lSB_S9_lSA_T11_S9_li
    .private_segment_fixed_size: 0
    .sgpr_count:     36
    .sgpr_spill_count: 0
    .symbol:         _ZL29rocblas_internal_gemmt_kernelIiLi16ELi32ELi8ELc84ELc84ELc76ELb0ELb0E19rocblas_complex_numIfES1_PKPKS1_PKPS1_EviT_T9_T10_S9_lSB_S9_lSA_T11_S9_li.kd
    .uniform_work_group_size: 1
    .uses_dynamic_stack: false
    .vgpr_count:     52
    .vgpr_spill_count: 0
    .wavefront_size: 64
  - .agpr_count:     0
    .args:
      - .offset:         0
        .size:           4
        .value_kind:     by_value
      - .offset:         4
        .size:           4
        .value_kind:     by_value
      - .offset:         8
        .size:           8
        .value_kind:     by_value
      - .address_space:  global
        .offset:         16
        .size:           8
        .value_kind:     global_buffer
      - .offset:         24
        .size:           4
        .value_kind:     by_value
      - .offset:         32
        .size:           8
        .value_kind:     by_value
      - .address_space:  global
        .offset:         40
        .size:           8
        .value_kind:     global_buffer
      - .offset:         48
        .size:           4
        .value_kind:     by_value
      - .offset:         56
        .size:           8
        .value_kind:     by_value
      - .offset:         64
        .size:           8
        .value_kind:     by_value
      - .address_space:  global
        .offset:         72
        .size:           8
        .value_kind:     global_buffer
      - .offset:         80
        .size:           4
        .value_kind:     by_value
      - .offset:         88
        .size:           8
        .value_kind:     by_value
      - .offset:         96
        .size:           4
        .value_kind:     by_value
    .group_segment_fixed_size: 4096
    .kernarg_segment_align: 8
    .kernarg_segment_size: 100
    .language:       OpenCL C
    .language_version:
      - 2
      - 0
    .max_flat_workgroup_size: 256
    .name:           _ZL29rocblas_internal_gemmt_kernelIiLi16ELi32ELi8ELc84ELc67ELc76ELb0ELb1E19rocblas_complex_numIfES1_PKPKS1_PKPS1_EviT_T9_T10_S9_lSB_S9_lSA_T11_S9_li
    .private_segment_fixed_size: 0
    .sgpr_count:     36
    .sgpr_spill_count: 0
    .symbol:         _ZL29rocblas_internal_gemmt_kernelIiLi16ELi32ELi8ELc84ELc67ELc76ELb0ELb1E19rocblas_complex_numIfES1_PKPKS1_PKPS1_EviT_T9_T10_S9_lSB_S9_lSA_T11_S9_li.kd
    .uniform_work_group_size: 1
    .uses_dynamic_stack: false
    .vgpr_count:     54
    .vgpr_spill_count: 0
    .wavefront_size: 64
  - .agpr_count:     0
    .args:
      - .offset:         0
        .size:           4
        .value_kind:     by_value
      - .offset:         4
        .size:           4
        .value_kind:     by_value
      - .offset:         8
        .size:           8
        .value_kind:     by_value
      - .address_space:  global
        .offset:         16
        .size:           8
        .value_kind:     global_buffer
      - .offset:         24
        .size:           4
        .value_kind:     by_value
      - .offset:         32
        .size:           8
        .value_kind:     by_value
      - .address_space:  global
        .offset:         40
        .size:           8
        .value_kind:     global_buffer
      - .offset:         48
        .size:           4
        .value_kind:     by_value
      - .offset:         56
        .size:           8
        .value_kind:     by_value
      - .offset:         64
        .size:           8
        .value_kind:     by_value
      - .address_space:  global
        .offset:         72
        .size:           8
        .value_kind:     global_buffer
      - .offset:         80
        .size:           4
        .value_kind:     by_value
      - .offset:         88
        .size:           8
        .value_kind:     by_value
      - .offset:         96
        .size:           4
        .value_kind:     by_value
    .group_segment_fixed_size: 4096
    .kernarg_segment_align: 8
    .kernarg_segment_size: 100
    .language:       OpenCL C
    .language_version:
      - 2
      - 0
    .max_flat_workgroup_size: 256
    .name:           _ZL29rocblas_internal_gemmt_kernelIiLi16ELi32ELi8ELc67ELc78ELc76ELb1ELb0E19rocblas_complex_numIfES1_PKPKS1_PKPS1_EviT_T9_T10_S9_lSB_S9_lSA_T11_S9_li
    .private_segment_fixed_size: 0
    .sgpr_count:     35
    .sgpr_spill_count: 0
    .symbol:         _ZL29rocblas_internal_gemmt_kernelIiLi16ELi32ELi8ELc67ELc78ELc76ELb1ELb0E19rocblas_complex_numIfES1_PKPKS1_PKPS1_EviT_T9_T10_S9_lSB_S9_lSA_T11_S9_li.kd
    .uniform_work_group_size: 1
    .uses_dynamic_stack: false
    .vgpr_count:     54
    .vgpr_spill_count: 0
    .wavefront_size: 64
  - .agpr_count:     0
    .args:
      - .offset:         0
        .size:           4
        .value_kind:     by_value
      - .offset:         4
        .size:           4
        .value_kind:     by_value
      - .offset:         8
        .size:           8
        .value_kind:     by_value
      - .address_space:  global
        .offset:         16
        .size:           8
        .value_kind:     global_buffer
      - .offset:         24
        .size:           4
        .value_kind:     by_value
      - .offset:         32
        .size:           8
        .value_kind:     by_value
      - .address_space:  global
        .offset:         40
        .size:           8
        .value_kind:     global_buffer
      - .offset:         48
        .size:           4
        .value_kind:     by_value
      - .offset:         56
        .size:           8
        .value_kind:     by_value
      - .offset:         64
        .size:           8
        .value_kind:     by_value
      - .address_space:  global
        .offset:         72
        .size:           8
        .value_kind:     global_buffer
      - .offset:         80
        .size:           4
        .value_kind:     by_value
      - .offset:         88
        .size:           8
        .value_kind:     by_value
      - .offset:         96
        .size:           4
        .value_kind:     by_value
    .group_segment_fixed_size: 4096
    .kernarg_segment_align: 8
    .kernarg_segment_size: 100
    .language:       OpenCL C
    .language_version:
      - 2
      - 0
    .max_flat_workgroup_size: 256
    .name:           _ZL29rocblas_internal_gemmt_kernelIiLi16ELi32ELi8ELc67ELc84ELc76ELb1ELb0E19rocblas_complex_numIfES1_PKPKS1_PKPS1_EviT_T9_T10_S9_lSB_S9_lSA_T11_S9_li
    .private_segment_fixed_size: 0
    .sgpr_count:     36
    .sgpr_spill_count: 0
    .symbol:         _ZL29rocblas_internal_gemmt_kernelIiLi16ELi32ELi8ELc67ELc84ELc76ELb1ELb0E19rocblas_complex_numIfES1_PKPKS1_PKPS1_EviT_T9_T10_S9_lSB_S9_lSA_T11_S9_li.kd
    .uniform_work_group_size: 1
    .uses_dynamic_stack: false
    .vgpr_count:     54
    .vgpr_spill_count: 0
    .wavefront_size: 64
  - .agpr_count:     0
    .args:
      - .offset:         0
        .size:           4
        .value_kind:     by_value
      - .offset:         4
        .size:           4
        .value_kind:     by_value
      - .offset:         8
        .size:           8
        .value_kind:     by_value
      - .address_space:  global
        .offset:         16
        .size:           8
        .value_kind:     global_buffer
      - .offset:         24
        .size:           4
        .value_kind:     by_value
      - .offset:         32
        .size:           8
        .value_kind:     by_value
      - .address_space:  global
        .offset:         40
        .size:           8
        .value_kind:     global_buffer
      - .offset:         48
        .size:           4
        .value_kind:     by_value
      - .offset:         56
        .size:           8
        .value_kind:     by_value
      - .offset:         64
        .size:           8
        .value_kind:     by_value
      - .address_space:  global
        .offset:         72
        .size:           8
        .value_kind:     global_buffer
      - .offset:         80
        .size:           4
        .value_kind:     by_value
      - .offset:         88
        .size:           8
        .value_kind:     by_value
      - .offset:         96
        .size:           4
        .value_kind:     by_value
    .group_segment_fixed_size: 4096
    .kernarg_segment_align: 8
    .kernarg_segment_size: 100
    .language:       OpenCL C
    .language_version:
      - 2
      - 0
    .max_flat_workgroup_size: 256
    .name:           _ZL29rocblas_internal_gemmt_kernelIiLi16ELi32ELi8ELc67ELc67ELc76ELb1ELb1E19rocblas_complex_numIfES1_PKPKS1_PKPS1_EviT_T9_T10_S9_lSB_S9_lSA_T11_S9_li
    .private_segment_fixed_size: 0
    .sgpr_count:     36
    .sgpr_spill_count: 0
    .symbol:         _ZL29rocblas_internal_gemmt_kernelIiLi16ELi32ELi8ELc67ELc67ELc76ELb1ELb1E19rocblas_complex_numIfES1_PKPKS1_PKPS1_EviT_T9_T10_S9_lSB_S9_lSA_T11_S9_li.kd
    .uniform_work_group_size: 1
    .uses_dynamic_stack: false
    .vgpr_count:     54
    .vgpr_spill_count: 0
    .wavefront_size: 64
  - .agpr_count:     0
    .args:
      - .offset:         0
        .size:           4
        .value_kind:     by_value
      - .offset:         4
        .size:           4
        .value_kind:     by_value
      - .address_space:  global
        .offset:         8
        .size:           8
        .value_kind:     global_buffer
      - .address_space:  global
        .offset:         16
        .size:           8
        .value_kind:     global_buffer
      - .offset:         24
        .size:           4
        .value_kind:     by_value
      - .offset:         32
        .size:           8
        .value_kind:     by_value
      - .address_space:  global
        .offset:         40
        .size:           8
        .value_kind:     global_buffer
      - .offset:         48
        .size:           4
        .value_kind:     by_value
      - .offset:         56
        .size:           8
        .value_kind:     by_value
      - .address_space:  global
        .offset:         64
        .size:           8
        .value_kind:     global_buffer
      - .address_space:  global
        .offset:         72
        .size:           8
        .value_kind:     global_buffer
      - .offset:         80
        .size:           4
        .value_kind:     by_value
      - .offset:         88
        .size:           8
        .value_kind:     by_value
      - .offset:         96
        .size:           4
        .value_kind:     by_value
    .group_segment_fixed_size: 8192
    .kernarg_segment_align: 8
    .kernarg_segment_size: 100
    .language:       OpenCL C
    .language_version:
      - 2
      - 0
    .max_flat_workgroup_size: 256
    .name:           _ZL29rocblas_internal_gemmt_kernelIiLi16ELi32ELi8ELc78ELc78ELc85ELb0ELb0E19rocblas_complex_numIdEPKS1_PKS3_PKPS1_EviT_T9_T10_S9_lSB_S9_lSA_T11_S9_li
    .private_segment_fixed_size: 0
    .sgpr_count:     46
    .sgpr_spill_count: 0
    .symbol:         _ZL29rocblas_internal_gemmt_kernelIiLi16ELi32ELi8ELc78ELc78ELc85ELb0ELb0E19rocblas_complex_numIdEPKS1_PKS3_PKPS1_EviT_T9_T10_S9_lSB_S9_lSA_T11_S9_li.kd
    .uniform_work_group_size: 1
    .uses_dynamic_stack: false
    .vgpr_count:     62
    .vgpr_spill_count: 0
    .wavefront_size: 64
  - .agpr_count:     0
    .args:
      - .offset:         0
        .size:           4
        .value_kind:     by_value
      - .offset:         4
        .size:           4
        .value_kind:     by_value
      - .address_space:  global
        .offset:         8
        .size:           8
        .value_kind:     global_buffer
      - .address_space:  global
        .offset:         16
        .size:           8
        .value_kind:     global_buffer
      - .offset:         24
        .size:           4
        .value_kind:     by_value
      - .offset:         32
        .size:           8
        .value_kind:     by_value
      - .address_space:  global
        .offset:         40
        .size:           8
        .value_kind:     global_buffer
      - .offset:         48
        .size:           4
        .value_kind:     by_value
      - .offset:         56
        .size:           8
        .value_kind:     by_value
      - .address_space:  global
        .offset:         64
        .size:           8
        .value_kind:     global_buffer
      - .address_space:  global
        .offset:         72
        .size:           8
        .value_kind:     global_buffer
      - .offset:         80
        .size:           4
        .value_kind:     by_value
      - .offset:         88
        .size:           8
        .value_kind:     by_value
      - .offset:         96
        .size:           4
        .value_kind:     by_value
    .group_segment_fixed_size: 8192
    .kernarg_segment_align: 8
    .kernarg_segment_size: 100
    .language:       OpenCL C
    .language_version:
      - 2
      - 0
    .max_flat_workgroup_size: 256
    .name:           _ZL29rocblas_internal_gemmt_kernelIiLi16ELi32ELi8ELc78ELc84ELc85ELb0ELb0E19rocblas_complex_numIdEPKS1_PKS3_PKPS1_EviT_T9_T10_S9_lSB_S9_lSA_T11_S9_li
    .private_segment_fixed_size: 0
    .sgpr_count:     46
    .sgpr_spill_count: 0
    .symbol:         _ZL29rocblas_internal_gemmt_kernelIiLi16ELi32ELi8ELc78ELc84ELc85ELb0ELb0E19rocblas_complex_numIdEPKS1_PKS3_PKPS1_EviT_T9_T10_S9_lSB_S9_lSA_T11_S9_li.kd
    .uniform_work_group_size: 1
    .uses_dynamic_stack: false
    .vgpr_count:     62
    .vgpr_spill_count: 0
    .wavefront_size: 64
  - .agpr_count:     0
    .args:
      - .offset:         0
        .size:           4
        .value_kind:     by_value
      - .offset:         4
        .size:           4
        .value_kind:     by_value
      - .address_space:  global
        .offset:         8
        .size:           8
        .value_kind:     global_buffer
      - .address_space:  global
        .offset:         16
        .size:           8
        .value_kind:     global_buffer
      - .offset:         24
        .size:           4
        .value_kind:     by_value
      - .offset:         32
        .size:           8
        .value_kind:     by_value
      - .address_space:  global
        .offset:         40
        .size:           8
        .value_kind:     global_buffer
      - .offset:         48
        .size:           4
        .value_kind:     by_value
      - .offset:         56
        .size:           8
        .value_kind:     by_value
      - .address_space:  global
        .offset:         64
        .size:           8
        .value_kind:     global_buffer
      - .address_space:  global
        .offset:         72
        .size:           8
        .value_kind:     global_buffer
      - .offset:         80
        .size:           4
        .value_kind:     by_value
      - .offset:         88
        .size:           8
        .value_kind:     by_value
      - .offset:         96
        .size:           4
        .value_kind:     by_value
    .group_segment_fixed_size: 8192
    .kernarg_segment_align: 8
    .kernarg_segment_size: 100
    .language:       OpenCL C
    .language_version:
      - 2
      - 0
    .max_flat_workgroup_size: 256
    .name:           _ZL29rocblas_internal_gemmt_kernelIiLi16ELi32ELi8ELc78ELc67ELc85ELb0ELb1E19rocblas_complex_numIdEPKS1_PKS3_PKPS1_EviT_T9_T10_S9_lSB_S9_lSA_T11_S9_li
    .private_segment_fixed_size: 0
    .sgpr_count:     44
    .sgpr_spill_count: 0
    .symbol:         _ZL29rocblas_internal_gemmt_kernelIiLi16ELi32ELi8ELc78ELc67ELc85ELb0ELb1E19rocblas_complex_numIdEPKS1_PKS3_PKPS1_EviT_T9_T10_S9_lSB_S9_lSA_T11_S9_li.kd
    .uniform_work_group_size: 1
    .uses_dynamic_stack: false
    .vgpr_count:     62
    .vgpr_spill_count: 0
    .wavefront_size: 64
  - .agpr_count:     0
    .args:
      - .offset:         0
        .size:           4
        .value_kind:     by_value
      - .offset:         4
        .size:           4
        .value_kind:     by_value
      - .address_space:  global
        .offset:         8
        .size:           8
        .value_kind:     global_buffer
      - .address_space:  global
        .offset:         16
        .size:           8
        .value_kind:     global_buffer
      - .offset:         24
        .size:           4
        .value_kind:     by_value
      - .offset:         32
        .size:           8
        .value_kind:     by_value
      - .address_space:  global
        .offset:         40
        .size:           8
        .value_kind:     global_buffer
      - .offset:         48
        .size:           4
        .value_kind:     by_value
      - .offset:         56
        .size:           8
        .value_kind:     by_value
      - .address_space:  global
        .offset:         64
        .size:           8
        .value_kind:     global_buffer
      - .address_space:  global
        .offset:         72
        .size:           8
        .value_kind:     global_buffer
      - .offset:         80
        .size:           4
        .value_kind:     by_value
      - .offset:         88
        .size:           8
        .value_kind:     by_value
      - .offset:         96
        .size:           4
        .value_kind:     by_value
    .group_segment_fixed_size: 8192
    .kernarg_segment_align: 8
    .kernarg_segment_size: 100
    .language:       OpenCL C
    .language_version:
      - 2
      - 0
    .max_flat_workgroup_size: 256
    .name:           _ZL29rocblas_internal_gemmt_kernelIiLi16ELi32ELi8ELc84ELc78ELc85ELb0ELb0E19rocblas_complex_numIdEPKS1_PKS3_PKPS1_EviT_T9_T10_S9_lSB_S9_lSA_T11_S9_li
    .private_segment_fixed_size: 0
    .sgpr_count:     40
    .sgpr_spill_count: 0
    .symbol:         _ZL29rocblas_internal_gemmt_kernelIiLi16ELi32ELi8ELc84ELc78ELc85ELb0ELb0E19rocblas_complex_numIdEPKS1_PKS3_PKPS1_EviT_T9_T10_S9_lSB_S9_lSA_T11_S9_li.kd
    .uniform_work_group_size: 1
    .uses_dynamic_stack: false
    .vgpr_count:     62
    .vgpr_spill_count: 0
    .wavefront_size: 64
  - .agpr_count:     0
    .args:
      - .offset:         0
        .size:           4
        .value_kind:     by_value
      - .offset:         4
        .size:           4
        .value_kind:     by_value
      - .address_space:  global
        .offset:         8
        .size:           8
        .value_kind:     global_buffer
      - .address_space:  global
        .offset:         16
        .size:           8
        .value_kind:     global_buffer
      - .offset:         24
        .size:           4
        .value_kind:     by_value
      - .offset:         32
        .size:           8
        .value_kind:     by_value
      - .address_space:  global
        .offset:         40
        .size:           8
        .value_kind:     global_buffer
      - .offset:         48
        .size:           4
        .value_kind:     by_value
      - .offset:         56
        .size:           8
        .value_kind:     by_value
      - .address_space:  global
        .offset:         64
        .size:           8
        .value_kind:     global_buffer
      - .address_space:  global
        .offset:         72
        .size:           8
        .value_kind:     global_buffer
      - .offset:         80
        .size:           4
        .value_kind:     by_value
      - .offset:         88
        .size:           8
        .value_kind:     by_value
      - .offset:         96
        .size:           4
        .value_kind:     by_value
    .group_segment_fixed_size: 8192
    .kernarg_segment_align: 8
    .kernarg_segment_size: 100
    .language:       OpenCL C
    .language_version:
      - 2
      - 0
    .max_flat_workgroup_size: 256
    .name:           _ZL29rocblas_internal_gemmt_kernelIiLi16ELi32ELi8ELc84ELc84ELc85ELb0ELb0E19rocblas_complex_numIdEPKS1_PKS3_PKPS1_EviT_T9_T10_S9_lSB_S9_lSA_T11_S9_li
    .private_segment_fixed_size: 0
    .sgpr_count:     46
    .sgpr_spill_count: 0
    .symbol:         _ZL29rocblas_internal_gemmt_kernelIiLi16ELi32ELi8ELc84ELc84ELc85ELb0ELb0E19rocblas_complex_numIdEPKS1_PKS3_PKPS1_EviT_T9_T10_S9_lSB_S9_lSA_T11_S9_li.kd
    .uniform_work_group_size: 1
    .uses_dynamic_stack: false
    .vgpr_count:     62
    .vgpr_spill_count: 0
    .wavefront_size: 64
  - .agpr_count:     0
    .args:
      - .offset:         0
        .size:           4
        .value_kind:     by_value
      - .offset:         4
        .size:           4
        .value_kind:     by_value
      - .address_space:  global
        .offset:         8
        .size:           8
        .value_kind:     global_buffer
      - .address_space:  global
        .offset:         16
        .size:           8
        .value_kind:     global_buffer
      - .offset:         24
        .size:           4
        .value_kind:     by_value
      - .offset:         32
        .size:           8
        .value_kind:     by_value
      - .address_space:  global
        .offset:         40
        .size:           8
        .value_kind:     global_buffer
      - .offset:         48
        .size:           4
        .value_kind:     by_value
      - .offset:         56
        .size:           8
        .value_kind:     by_value
      - .address_space:  global
        .offset:         64
        .size:           8
        .value_kind:     global_buffer
      - .address_space:  global
        .offset:         72
        .size:           8
        .value_kind:     global_buffer
      - .offset:         80
        .size:           4
        .value_kind:     by_value
      - .offset:         88
        .size:           8
        .value_kind:     by_value
      - .offset:         96
        .size:           4
        .value_kind:     by_value
    .group_segment_fixed_size: 8192
    .kernarg_segment_align: 8
    .kernarg_segment_size: 100
    .language:       OpenCL C
    .language_version:
      - 2
      - 0
    .max_flat_workgroup_size: 256
    .name:           _ZL29rocblas_internal_gemmt_kernelIiLi16ELi32ELi8ELc84ELc67ELc85ELb0ELb1E19rocblas_complex_numIdEPKS1_PKS3_PKPS1_EviT_T9_T10_S9_lSB_S9_lSA_T11_S9_li
    .private_segment_fixed_size: 0
    .sgpr_count:     42
    .sgpr_spill_count: 0
    .symbol:         _ZL29rocblas_internal_gemmt_kernelIiLi16ELi32ELi8ELc84ELc67ELc85ELb0ELb1E19rocblas_complex_numIdEPKS1_PKS3_PKPS1_EviT_T9_T10_S9_lSB_S9_lSA_T11_S9_li.kd
    .uniform_work_group_size: 1
    .uses_dynamic_stack: false
    .vgpr_count:     62
    .vgpr_spill_count: 0
    .wavefront_size: 64
  - .agpr_count:     0
    .args:
      - .offset:         0
        .size:           4
        .value_kind:     by_value
      - .offset:         4
        .size:           4
        .value_kind:     by_value
      - .address_space:  global
        .offset:         8
        .size:           8
        .value_kind:     global_buffer
      - .address_space:  global
        .offset:         16
        .size:           8
        .value_kind:     global_buffer
      - .offset:         24
        .size:           4
        .value_kind:     by_value
      - .offset:         32
        .size:           8
        .value_kind:     by_value
      - .address_space:  global
        .offset:         40
        .size:           8
        .value_kind:     global_buffer
      - .offset:         48
        .size:           4
        .value_kind:     by_value
      - .offset:         56
        .size:           8
        .value_kind:     by_value
      - .address_space:  global
        .offset:         64
        .size:           8
        .value_kind:     global_buffer
      - .address_space:  global
        .offset:         72
        .size:           8
        .value_kind:     global_buffer
      - .offset:         80
        .size:           4
        .value_kind:     by_value
      - .offset:         88
        .size:           8
        .value_kind:     by_value
      - .offset:         96
        .size:           4
        .value_kind:     by_value
    .group_segment_fixed_size: 8192
    .kernarg_segment_align: 8
    .kernarg_segment_size: 100
    .language:       OpenCL C
    .language_version:
      - 2
      - 0
    .max_flat_workgroup_size: 256
    .name:           _ZL29rocblas_internal_gemmt_kernelIiLi16ELi32ELi8ELc67ELc78ELc85ELb1ELb0E19rocblas_complex_numIdEPKS1_PKS3_PKPS1_EviT_T9_T10_S9_lSB_S9_lSA_T11_S9_li
    .private_segment_fixed_size: 0
    .sgpr_count:     40
    .sgpr_spill_count: 0
    .symbol:         _ZL29rocblas_internal_gemmt_kernelIiLi16ELi32ELi8ELc67ELc78ELc85ELb1ELb0E19rocblas_complex_numIdEPKS1_PKS3_PKPS1_EviT_T9_T10_S9_lSB_S9_lSA_T11_S9_li.kd
    .uniform_work_group_size: 1
    .uses_dynamic_stack: false
    .vgpr_count:     62
    .vgpr_spill_count: 0
    .wavefront_size: 64
  - .agpr_count:     0
    .args:
      - .offset:         0
        .size:           4
        .value_kind:     by_value
      - .offset:         4
        .size:           4
        .value_kind:     by_value
      - .address_space:  global
        .offset:         8
        .size:           8
        .value_kind:     global_buffer
      - .address_space:  global
        .offset:         16
        .size:           8
        .value_kind:     global_buffer
      - .offset:         24
        .size:           4
        .value_kind:     by_value
      - .offset:         32
        .size:           8
        .value_kind:     by_value
      - .address_space:  global
        .offset:         40
        .size:           8
        .value_kind:     global_buffer
      - .offset:         48
        .size:           4
        .value_kind:     by_value
      - .offset:         56
        .size:           8
        .value_kind:     by_value
      - .address_space:  global
        .offset:         64
        .size:           8
        .value_kind:     global_buffer
      - .address_space:  global
        .offset:         72
        .size:           8
        .value_kind:     global_buffer
      - .offset:         80
        .size:           4
        .value_kind:     by_value
      - .offset:         88
        .size:           8
        .value_kind:     by_value
      - .offset:         96
        .size:           4
        .value_kind:     by_value
    .group_segment_fixed_size: 8192
    .kernarg_segment_align: 8
    .kernarg_segment_size: 100
    .language:       OpenCL C
    .language_version:
      - 2
      - 0
    .max_flat_workgroup_size: 256
    .name:           _ZL29rocblas_internal_gemmt_kernelIiLi16ELi32ELi8ELc67ELc84ELc85ELb1ELb0E19rocblas_complex_numIdEPKS1_PKS3_PKPS1_EviT_T9_T10_S9_lSB_S9_lSA_T11_S9_li
    .private_segment_fixed_size: 0
    .sgpr_count:     42
    .sgpr_spill_count: 0
    .symbol:         _ZL29rocblas_internal_gemmt_kernelIiLi16ELi32ELi8ELc67ELc84ELc85ELb1ELb0E19rocblas_complex_numIdEPKS1_PKS3_PKPS1_EviT_T9_T10_S9_lSB_S9_lSA_T11_S9_li.kd
    .uniform_work_group_size: 1
    .uses_dynamic_stack: false
    .vgpr_count:     62
    .vgpr_spill_count: 0
    .wavefront_size: 64
  - .agpr_count:     0
    .args:
      - .offset:         0
        .size:           4
        .value_kind:     by_value
      - .offset:         4
        .size:           4
        .value_kind:     by_value
      - .address_space:  global
        .offset:         8
        .size:           8
        .value_kind:     global_buffer
      - .address_space:  global
        .offset:         16
        .size:           8
        .value_kind:     global_buffer
      - .offset:         24
        .size:           4
        .value_kind:     by_value
      - .offset:         32
        .size:           8
        .value_kind:     by_value
      - .address_space:  global
        .offset:         40
        .size:           8
        .value_kind:     global_buffer
      - .offset:         48
        .size:           4
        .value_kind:     by_value
      - .offset:         56
        .size:           8
        .value_kind:     by_value
      - .address_space:  global
        .offset:         64
        .size:           8
        .value_kind:     global_buffer
      - .address_space:  global
        .offset:         72
        .size:           8
        .value_kind:     global_buffer
      - .offset:         80
        .size:           4
        .value_kind:     by_value
      - .offset:         88
        .size:           8
        .value_kind:     by_value
      - .offset:         96
        .size:           4
        .value_kind:     by_value
    .group_segment_fixed_size: 8192
    .kernarg_segment_align: 8
    .kernarg_segment_size: 100
    .language:       OpenCL C
    .language_version:
      - 2
      - 0
    .max_flat_workgroup_size: 256
    .name:           _ZL29rocblas_internal_gemmt_kernelIiLi16ELi32ELi8ELc67ELc67ELc85ELb1ELb1E19rocblas_complex_numIdEPKS1_PKS3_PKPS1_EviT_T9_T10_S9_lSB_S9_lSA_T11_S9_li
    .private_segment_fixed_size: 0
    .sgpr_count:     42
    .sgpr_spill_count: 0
    .symbol:         _ZL29rocblas_internal_gemmt_kernelIiLi16ELi32ELi8ELc67ELc67ELc85ELb1ELb1E19rocblas_complex_numIdEPKS1_PKS3_PKPS1_EviT_T9_T10_S9_lSB_S9_lSA_T11_S9_li.kd
    .uniform_work_group_size: 1
    .uses_dynamic_stack: false
    .vgpr_count:     58
    .vgpr_spill_count: 0
    .wavefront_size: 64
  - .agpr_count:     0
    .args:
      - .offset:         0
        .size:           4
        .value_kind:     by_value
      - .offset:         4
        .size:           4
        .value_kind:     by_value
      - .address_space:  global
        .offset:         8
        .size:           8
        .value_kind:     global_buffer
      - .address_space:  global
        .offset:         16
        .size:           8
        .value_kind:     global_buffer
      - .offset:         24
        .size:           4
        .value_kind:     by_value
      - .offset:         32
        .size:           8
        .value_kind:     by_value
      - .address_space:  global
        .offset:         40
        .size:           8
        .value_kind:     global_buffer
      - .offset:         48
        .size:           4
        .value_kind:     by_value
      - .offset:         56
        .size:           8
        .value_kind:     by_value
      - .address_space:  global
        .offset:         64
        .size:           8
        .value_kind:     global_buffer
      - .address_space:  global
        .offset:         72
        .size:           8
        .value_kind:     global_buffer
      - .offset:         80
        .size:           4
        .value_kind:     by_value
      - .offset:         88
        .size:           8
        .value_kind:     by_value
      - .offset:         96
        .size:           4
        .value_kind:     by_value
    .group_segment_fixed_size: 8192
    .kernarg_segment_align: 8
    .kernarg_segment_size: 100
    .language:       OpenCL C
    .language_version:
      - 2
      - 0
    .max_flat_workgroup_size: 256
    .name:           _ZL29rocblas_internal_gemmt_kernelIiLi16ELi32ELi8ELc78ELc78ELc76ELb0ELb0E19rocblas_complex_numIdEPKS1_PKS3_PKPS1_EviT_T9_T10_S9_lSB_S9_lSA_T11_S9_li
    .private_segment_fixed_size: 0
    .sgpr_count:     46
    .sgpr_spill_count: 0
    .symbol:         _ZL29rocblas_internal_gemmt_kernelIiLi16ELi32ELi8ELc78ELc78ELc76ELb0ELb0E19rocblas_complex_numIdEPKS1_PKS3_PKPS1_EviT_T9_T10_S9_lSB_S9_lSA_T11_S9_li.kd
    .uniform_work_group_size: 1
    .uses_dynamic_stack: false
    .vgpr_count:     62
    .vgpr_spill_count: 0
    .wavefront_size: 64
  - .agpr_count:     0
    .args:
      - .offset:         0
        .size:           4
        .value_kind:     by_value
      - .offset:         4
        .size:           4
        .value_kind:     by_value
      - .address_space:  global
        .offset:         8
        .size:           8
        .value_kind:     global_buffer
      - .address_space:  global
        .offset:         16
        .size:           8
        .value_kind:     global_buffer
      - .offset:         24
        .size:           4
        .value_kind:     by_value
      - .offset:         32
        .size:           8
        .value_kind:     by_value
      - .address_space:  global
        .offset:         40
        .size:           8
        .value_kind:     global_buffer
      - .offset:         48
        .size:           4
        .value_kind:     by_value
      - .offset:         56
        .size:           8
        .value_kind:     by_value
      - .address_space:  global
        .offset:         64
        .size:           8
        .value_kind:     global_buffer
      - .address_space:  global
        .offset:         72
        .size:           8
        .value_kind:     global_buffer
      - .offset:         80
        .size:           4
        .value_kind:     by_value
      - .offset:         88
        .size:           8
        .value_kind:     by_value
      - .offset:         96
        .size:           4
        .value_kind:     by_value
    .group_segment_fixed_size: 8192
    .kernarg_segment_align: 8
    .kernarg_segment_size: 100
    .language:       OpenCL C
    .language_version:
      - 2
      - 0
    .max_flat_workgroup_size: 256
    .name:           _ZL29rocblas_internal_gemmt_kernelIiLi16ELi32ELi8ELc78ELc84ELc76ELb0ELb0E19rocblas_complex_numIdEPKS1_PKS3_PKPS1_EviT_T9_T10_S9_lSB_S9_lSA_T11_S9_li
    .private_segment_fixed_size: 0
    .sgpr_count:     46
    .sgpr_spill_count: 0
    .symbol:         _ZL29rocblas_internal_gemmt_kernelIiLi16ELi32ELi8ELc78ELc84ELc76ELb0ELb0E19rocblas_complex_numIdEPKS1_PKS3_PKPS1_EviT_T9_T10_S9_lSB_S9_lSA_T11_S9_li.kd
    .uniform_work_group_size: 1
    .uses_dynamic_stack: false
    .vgpr_count:     62
    .vgpr_spill_count: 0
    .wavefront_size: 64
  - .agpr_count:     0
    .args:
      - .offset:         0
        .size:           4
        .value_kind:     by_value
      - .offset:         4
        .size:           4
        .value_kind:     by_value
      - .address_space:  global
        .offset:         8
        .size:           8
        .value_kind:     global_buffer
      - .address_space:  global
        .offset:         16
        .size:           8
        .value_kind:     global_buffer
      - .offset:         24
        .size:           4
        .value_kind:     by_value
      - .offset:         32
        .size:           8
        .value_kind:     by_value
      - .address_space:  global
        .offset:         40
        .size:           8
        .value_kind:     global_buffer
      - .offset:         48
        .size:           4
        .value_kind:     by_value
      - .offset:         56
        .size:           8
        .value_kind:     by_value
      - .address_space:  global
        .offset:         64
        .size:           8
        .value_kind:     global_buffer
      - .address_space:  global
        .offset:         72
        .size:           8
        .value_kind:     global_buffer
      - .offset:         80
        .size:           4
        .value_kind:     by_value
      - .offset:         88
        .size:           8
        .value_kind:     by_value
      - .offset:         96
        .size:           4
        .value_kind:     by_value
    .group_segment_fixed_size: 8192
    .kernarg_segment_align: 8
    .kernarg_segment_size: 100
    .language:       OpenCL C
    .language_version:
      - 2
      - 0
    .max_flat_workgroup_size: 256
    .name:           _ZL29rocblas_internal_gemmt_kernelIiLi16ELi32ELi8ELc78ELc67ELc76ELb0ELb1E19rocblas_complex_numIdEPKS1_PKS3_PKPS1_EviT_T9_T10_S9_lSB_S9_lSA_T11_S9_li
    .private_segment_fixed_size: 0
    .sgpr_count:     44
    .sgpr_spill_count: 0
    .symbol:         _ZL29rocblas_internal_gemmt_kernelIiLi16ELi32ELi8ELc78ELc67ELc76ELb0ELb1E19rocblas_complex_numIdEPKS1_PKS3_PKPS1_EviT_T9_T10_S9_lSB_S9_lSA_T11_S9_li.kd
    .uniform_work_group_size: 1
    .uses_dynamic_stack: false
    .vgpr_count:     62
    .vgpr_spill_count: 0
    .wavefront_size: 64
  - .agpr_count:     0
    .args:
      - .offset:         0
        .size:           4
        .value_kind:     by_value
      - .offset:         4
        .size:           4
        .value_kind:     by_value
      - .address_space:  global
        .offset:         8
        .size:           8
        .value_kind:     global_buffer
      - .address_space:  global
        .offset:         16
        .size:           8
        .value_kind:     global_buffer
      - .offset:         24
        .size:           4
        .value_kind:     by_value
      - .offset:         32
        .size:           8
        .value_kind:     by_value
      - .address_space:  global
        .offset:         40
        .size:           8
        .value_kind:     global_buffer
      - .offset:         48
        .size:           4
        .value_kind:     by_value
      - .offset:         56
        .size:           8
        .value_kind:     by_value
      - .address_space:  global
        .offset:         64
        .size:           8
        .value_kind:     global_buffer
      - .address_space:  global
        .offset:         72
        .size:           8
        .value_kind:     global_buffer
      - .offset:         80
        .size:           4
        .value_kind:     by_value
      - .offset:         88
        .size:           8
        .value_kind:     by_value
      - .offset:         96
        .size:           4
        .value_kind:     by_value
    .group_segment_fixed_size: 8192
    .kernarg_segment_align: 8
    .kernarg_segment_size: 100
    .language:       OpenCL C
    .language_version:
      - 2
      - 0
    .max_flat_workgroup_size: 256
    .name:           _ZL29rocblas_internal_gemmt_kernelIiLi16ELi32ELi8ELc84ELc78ELc76ELb0ELb0E19rocblas_complex_numIdEPKS1_PKS3_PKPS1_EviT_T9_T10_S9_lSB_S9_lSA_T11_S9_li
    .private_segment_fixed_size: 0
    .sgpr_count:     40
    .sgpr_spill_count: 0
    .symbol:         _ZL29rocblas_internal_gemmt_kernelIiLi16ELi32ELi8ELc84ELc78ELc76ELb0ELb0E19rocblas_complex_numIdEPKS1_PKS3_PKPS1_EviT_T9_T10_S9_lSB_S9_lSA_T11_S9_li.kd
    .uniform_work_group_size: 1
    .uses_dynamic_stack: false
    .vgpr_count:     62
    .vgpr_spill_count: 0
    .wavefront_size: 64
  - .agpr_count:     0
    .args:
      - .offset:         0
        .size:           4
        .value_kind:     by_value
      - .offset:         4
        .size:           4
        .value_kind:     by_value
      - .address_space:  global
        .offset:         8
        .size:           8
        .value_kind:     global_buffer
      - .address_space:  global
        .offset:         16
        .size:           8
        .value_kind:     global_buffer
      - .offset:         24
        .size:           4
        .value_kind:     by_value
      - .offset:         32
        .size:           8
        .value_kind:     by_value
      - .address_space:  global
        .offset:         40
        .size:           8
        .value_kind:     global_buffer
      - .offset:         48
        .size:           4
        .value_kind:     by_value
      - .offset:         56
        .size:           8
        .value_kind:     by_value
      - .address_space:  global
        .offset:         64
        .size:           8
        .value_kind:     global_buffer
      - .address_space:  global
        .offset:         72
        .size:           8
        .value_kind:     global_buffer
      - .offset:         80
        .size:           4
        .value_kind:     by_value
      - .offset:         88
        .size:           8
        .value_kind:     by_value
      - .offset:         96
        .size:           4
        .value_kind:     by_value
    .group_segment_fixed_size: 8192
    .kernarg_segment_align: 8
    .kernarg_segment_size: 100
    .language:       OpenCL C
    .language_version:
      - 2
      - 0
    .max_flat_workgroup_size: 256
    .name:           _ZL29rocblas_internal_gemmt_kernelIiLi16ELi32ELi8ELc84ELc84ELc76ELb0ELb0E19rocblas_complex_numIdEPKS1_PKS3_PKPS1_EviT_T9_T10_S9_lSB_S9_lSA_T11_S9_li
    .private_segment_fixed_size: 0
    .sgpr_count:     46
    .sgpr_spill_count: 0
    .symbol:         _ZL29rocblas_internal_gemmt_kernelIiLi16ELi32ELi8ELc84ELc84ELc76ELb0ELb0E19rocblas_complex_numIdEPKS1_PKS3_PKPS1_EviT_T9_T10_S9_lSB_S9_lSA_T11_S9_li.kd
    .uniform_work_group_size: 1
    .uses_dynamic_stack: false
    .vgpr_count:     62
    .vgpr_spill_count: 0
    .wavefront_size: 64
  - .agpr_count:     0
    .args:
      - .offset:         0
        .size:           4
        .value_kind:     by_value
      - .offset:         4
        .size:           4
        .value_kind:     by_value
      - .address_space:  global
        .offset:         8
        .size:           8
        .value_kind:     global_buffer
      - .address_space:  global
        .offset:         16
        .size:           8
        .value_kind:     global_buffer
      - .offset:         24
        .size:           4
        .value_kind:     by_value
      - .offset:         32
        .size:           8
        .value_kind:     by_value
      - .address_space:  global
        .offset:         40
        .size:           8
        .value_kind:     global_buffer
      - .offset:         48
        .size:           4
        .value_kind:     by_value
      - .offset:         56
        .size:           8
        .value_kind:     by_value
      - .address_space:  global
        .offset:         64
        .size:           8
        .value_kind:     global_buffer
      - .address_space:  global
        .offset:         72
        .size:           8
        .value_kind:     global_buffer
      - .offset:         80
        .size:           4
        .value_kind:     by_value
      - .offset:         88
        .size:           8
        .value_kind:     by_value
      - .offset:         96
        .size:           4
        .value_kind:     by_value
    .group_segment_fixed_size: 8192
    .kernarg_segment_align: 8
    .kernarg_segment_size: 100
    .language:       OpenCL C
    .language_version:
      - 2
      - 0
    .max_flat_workgroup_size: 256
    .name:           _ZL29rocblas_internal_gemmt_kernelIiLi16ELi32ELi8ELc84ELc67ELc76ELb0ELb1E19rocblas_complex_numIdEPKS1_PKS3_PKPS1_EviT_T9_T10_S9_lSB_S9_lSA_T11_S9_li
    .private_segment_fixed_size: 0
    .sgpr_count:     42
    .sgpr_spill_count: 0
    .symbol:         _ZL29rocblas_internal_gemmt_kernelIiLi16ELi32ELi8ELc84ELc67ELc76ELb0ELb1E19rocblas_complex_numIdEPKS1_PKS3_PKPS1_EviT_T9_T10_S9_lSB_S9_lSA_T11_S9_li.kd
    .uniform_work_group_size: 1
    .uses_dynamic_stack: false
    .vgpr_count:     62
    .vgpr_spill_count: 0
    .wavefront_size: 64
  - .agpr_count:     0
    .args:
      - .offset:         0
        .size:           4
        .value_kind:     by_value
      - .offset:         4
        .size:           4
        .value_kind:     by_value
      - .address_space:  global
        .offset:         8
        .size:           8
        .value_kind:     global_buffer
      - .address_space:  global
        .offset:         16
        .size:           8
        .value_kind:     global_buffer
      - .offset:         24
        .size:           4
        .value_kind:     by_value
      - .offset:         32
        .size:           8
        .value_kind:     by_value
      - .address_space:  global
        .offset:         40
        .size:           8
        .value_kind:     global_buffer
      - .offset:         48
        .size:           4
        .value_kind:     by_value
      - .offset:         56
        .size:           8
        .value_kind:     by_value
      - .address_space:  global
        .offset:         64
        .size:           8
        .value_kind:     global_buffer
      - .address_space:  global
        .offset:         72
        .size:           8
        .value_kind:     global_buffer
      - .offset:         80
        .size:           4
        .value_kind:     by_value
      - .offset:         88
        .size:           8
        .value_kind:     by_value
      - .offset:         96
        .size:           4
        .value_kind:     by_value
    .group_segment_fixed_size: 8192
    .kernarg_segment_align: 8
    .kernarg_segment_size: 100
    .language:       OpenCL C
    .language_version:
      - 2
      - 0
    .max_flat_workgroup_size: 256
    .name:           _ZL29rocblas_internal_gemmt_kernelIiLi16ELi32ELi8ELc67ELc78ELc76ELb1ELb0E19rocblas_complex_numIdEPKS1_PKS3_PKPS1_EviT_T9_T10_S9_lSB_S9_lSA_T11_S9_li
    .private_segment_fixed_size: 0
    .sgpr_count:     40
    .sgpr_spill_count: 0
    .symbol:         _ZL29rocblas_internal_gemmt_kernelIiLi16ELi32ELi8ELc67ELc78ELc76ELb1ELb0E19rocblas_complex_numIdEPKS1_PKS3_PKPS1_EviT_T9_T10_S9_lSB_S9_lSA_T11_S9_li.kd
    .uniform_work_group_size: 1
    .uses_dynamic_stack: false
    .vgpr_count:     62
    .vgpr_spill_count: 0
    .wavefront_size: 64
  - .agpr_count:     0
    .args:
      - .offset:         0
        .size:           4
        .value_kind:     by_value
      - .offset:         4
        .size:           4
        .value_kind:     by_value
      - .address_space:  global
        .offset:         8
        .size:           8
        .value_kind:     global_buffer
      - .address_space:  global
        .offset:         16
        .size:           8
        .value_kind:     global_buffer
      - .offset:         24
        .size:           4
        .value_kind:     by_value
      - .offset:         32
        .size:           8
        .value_kind:     by_value
      - .address_space:  global
        .offset:         40
        .size:           8
        .value_kind:     global_buffer
      - .offset:         48
        .size:           4
        .value_kind:     by_value
      - .offset:         56
        .size:           8
        .value_kind:     by_value
      - .address_space:  global
        .offset:         64
        .size:           8
        .value_kind:     global_buffer
      - .address_space:  global
        .offset:         72
        .size:           8
        .value_kind:     global_buffer
      - .offset:         80
        .size:           4
        .value_kind:     by_value
      - .offset:         88
        .size:           8
        .value_kind:     by_value
      - .offset:         96
        .size:           4
        .value_kind:     by_value
    .group_segment_fixed_size: 8192
    .kernarg_segment_align: 8
    .kernarg_segment_size: 100
    .language:       OpenCL C
    .language_version:
      - 2
      - 0
    .max_flat_workgroup_size: 256
    .name:           _ZL29rocblas_internal_gemmt_kernelIiLi16ELi32ELi8ELc67ELc84ELc76ELb1ELb0E19rocblas_complex_numIdEPKS1_PKS3_PKPS1_EviT_T9_T10_S9_lSB_S9_lSA_T11_S9_li
    .private_segment_fixed_size: 0
    .sgpr_count:     42
    .sgpr_spill_count: 0
    .symbol:         _ZL29rocblas_internal_gemmt_kernelIiLi16ELi32ELi8ELc67ELc84ELc76ELb1ELb0E19rocblas_complex_numIdEPKS1_PKS3_PKPS1_EviT_T9_T10_S9_lSB_S9_lSA_T11_S9_li.kd
    .uniform_work_group_size: 1
    .uses_dynamic_stack: false
    .vgpr_count:     62
    .vgpr_spill_count: 0
    .wavefront_size: 64
  - .agpr_count:     0
    .args:
      - .offset:         0
        .size:           4
        .value_kind:     by_value
      - .offset:         4
        .size:           4
        .value_kind:     by_value
      - .address_space:  global
        .offset:         8
        .size:           8
        .value_kind:     global_buffer
      - .address_space:  global
        .offset:         16
        .size:           8
        .value_kind:     global_buffer
      - .offset:         24
        .size:           4
        .value_kind:     by_value
      - .offset:         32
        .size:           8
        .value_kind:     by_value
      - .address_space:  global
        .offset:         40
        .size:           8
        .value_kind:     global_buffer
      - .offset:         48
        .size:           4
        .value_kind:     by_value
      - .offset:         56
        .size:           8
        .value_kind:     by_value
      - .address_space:  global
        .offset:         64
        .size:           8
        .value_kind:     global_buffer
      - .address_space:  global
        .offset:         72
        .size:           8
        .value_kind:     global_buffer
      - .offset:         80
        .size:           4
        .value_kind:     by_value
      - .offset:         88
        .size:           8
        .value_kind:     by_value
      - .offset:         96
        .size:           4
        .value_kind:     by_value
    .group_segment_fixed_size: 8192
    .kernarg_segment_align: 8
    .kernarg_segment_size: 100
    .language:       OpenCL C
    .language_version:
      - 2
      - 0
    .max_flat_workgroup_size: 256
    .name:           _ZL29rocblas_internal_gemmt_kernelIiLi16ELi32ELi8ELc67ELc67ELc76ELb1ELb1E19rocblas_complex_numIdEPKS1_PKS3_PKPS1_EviT_T9_T10_S9_lSB_S9_lSA_T11_S9_li
    .private_segment_fixed_size: 0
    .sgpr_count:     42
    .sgpr_spill_count: 0
    .symbol:         _ZL29rocblas_internal_gemmt_kernelIiLi16ELi32ELi8ELc67ELc67ELc76ELb1ELb1E19rocblas_complex_numIdEPKS1_PKS3_PKPS1_EviT_T9_T10_S9_lSB_S9_lSA_T11_S9_li.kd
    .uniform_work_group_size: 1
    .uses_dynamic_stack: false
    .vgpr_count:     58
    .vgpr_spill_count: 0
    .wavefront_size: 64
  - .agpr_count:     0
    .args:
      - .offset:         0
        .size:           4
        .value_kind:     by_value
      - .offset:         4
        .size:           4
        .value_kind:     by_value
      - .offset:         8
        .size:           16
        .value_kind:     by_value
      - .address_space:  global
        .offset:         24
        .size:           8
        .value_kind:     global_buffer
      - .offset:         32
        .size:           4
        .value_kind:     by_value
      - .offset:         40
        .size:           8
        .value_kind:     by_value
      - .address_space:  global
        .offset:         48
        .size:           8
        .value_kind:     global_buffer
      - .offset:         56
        .size:           4
        .value_kind:     by_value
      - .offset:         64
        .size:           8
        .value_kind:     by_value
      - .offset:         72
        .size:           16
        .value_kind:     by_value
      - .address_space:  global
        .offset:         88
        .size:           8
        .value_kind:     global_buffer
      - .offset:         96
        .size:           4
        .value_kind:     by_value
      - .offset:         104
        .size:           8
        .value_kind:     by_value
      - .offset:         112
        .size:           4
        .value_kind:     by_value
    .group_segment_fixed_size: 8192
    .kernarg_segment_align: 8
    .kernarg_segment_size: 116
    .language:       OpenCL C
    .language_version:
      - 2
      - 0
    .max_flat_workgroup_size: 256
    .name:           _ZL29rocblas_internal_gemmt_kernelIiLi16ELi32ELi8ELc78ELc78ELc85ELb0ELb0E19rocblas_complex_numIdES1_PKPKS1_PKPS1_EviT_T9_T10_S9_lSB_S9_lSA_T11_S9_li
    .private_segment_fixed_size: 0
    .sgpr_count:     42
    .sgpr_spill_count: 0
    .symbol:         _ZL29rocblas_internal_gemmt_kernelIiLi16ELi32ELi8ELc78ELc78ELc85ELb0ELb0E19rocblas_complex_numIdES1_PKPKS1_PKPS1_EviT_T9_T10_S9_lSB_S9_lSA_T11_S9_li.kd
    .uniform_work_group_size: 1
    .uses_dynamic_stack: false
    .vgpr_count:     62
    .vgpr_spill_count: 0
    .wavefront_size: 64
  - .agpr_count:     0
    .args:
      - .offset:         0
        .size:           4
        .value_kind:     by_value
      - .offset:         4
        .size:           4
        .value_kind:     by_value
      - .offset:         8
        .size:           16
        .value_kind:     by_value
      - .address_space:  global
        .offset:         24
        .size:           8
        .value_kind:     global_buffer
      - .offset:         32
        .size:           4
        .value_kind:     by_value
      - .offset:         40
        .size:           8
        .value_kind:     by_value
      - .address_space:  global
        .offset:         48
        .size:           8
        .value_kind:     global_buffer
      - .offset:         56
        .size:           4
        .value_kind:     by_value
      - .offset:         64
        .size:           8
        .value_kind:     by_value
      - .offset:         72
        .size:           16
        .value_kind:     by_value
      - .address_space:  global
        .offset:         88
        .size:           8
        .value_kind:     global_buffer
      - .offset:         96
        .size:           4
        .value_kind:     by_value
      - .offset:         104
        .size:           8
        .value_kind:     by_value
      - .offset:         112
        .size:           4
        .value_kind:     by_value
    .group_segment_fixed_size: 8192
    .kernarg_segment_align: 8
    .kernarg_segment_size: 116
    .language:       OpenCL C
    .language_version:
      - 2
      - 0
    .max_flat_workgroup_size: 256
    .name:           _ZL29rocblas_internal_gemmt_kernelIiLi16ELi32ELi8ELc78ELc84ELc85ELb0ELb0E19rocblas_complex_numIdES1_PKPKS1_PKPS1_EviT_T9_T10_S9_lSB_S9_lSA_T11_S9_li
    .private_segment_fixed_size: 0
    .sgpr_count:     44
    .sgpr_spill_count: 0
    .symbol:         _ZL29rocblas_internal_gemmt_kernelIiLi16ELi32ELi8ELc78ELc84ELc85ELb0ELb0E19rocblas_complex_numIdES1_PKPKS1_PKPS1_EviT_T9_T10_S9_lSB_S9_lSA_T11_S9_li.kd
    .uniform_work_group_size: 1
    .uses_dynamic_stack: false
    .vgpr_count:     62
    .vgpr_spill_count: 0
    .wavefront_size: 64
  - .agpr_count:     0
    .args:
      - .offset:         0
        .size:           4
        .value_kind:     by_value
      - .offset:         4
        .size:           4
        .value_kind:     by_value
      - .offset:         8
        .size:           16
        .value_kind:     by_value
      - .address_space:  global
        .offset:         24
        .size:           8
        .value_kind:     global_buffer
      - .offset:         32
        .size:           4
        .value_kind:     by_value
      - .offset:         40
        .size:           8
        .value_kind:     by_value
      - .address_space:  global
        .offset:         48
        .size:           8
        .value_kind:     global_buffer
      - .offset:         56
        .size:           4
        .value_kind:     by_value
      - .offset:         64
        .size:           8
        .value_kind:     by_value
      - .offset:         72
        .size:           16
        .value_kind:     by_value
      - .address_space:  global
        .offset:         88
        .size:           8
        .value_kind:     global_buffer
      - .offset:         96
        .size:           4
        .value_kind:     by_value
      - .offset:         104
        .size:           8
        .value_kind:     by_value
      - .offset:         112
        .size:           4
        .value_kind:     by_value
    .group_segment_fixed_size: 8192
    .kernarg_segment_align: 8
    .kernarg_segment_size: 116
    .language:       OpenCL C
    .language_version:
      - 2
      - 0
    .max_flat_workgroup_size: 256
    .name:           _ZL29rocblas_internal_gemmt_kernelIiLi16ELi32ELi8ELc78ELc67ELc85ELb0ELb1E19rocblas_complex_numIdES1_PKPKS1_PKPS1_EviT_T9_T10_S9_lSB_S9_lSA_T11_S9_li
    .private_segment_fixed_size: 0
    .sgpr_count:     44
    .sgpr_spill_count: 0
    .symbol:         _ZL29rocblas_internal_gemmt_kernelIiLi16ELi32ELi8ELc78ELc67ELc85ELb0ELb1E19rocblas_complex_numIdES1_PKPKS1_PKPS1_EviT_T9_T10_S9_lSB_S9_lSA_T11_S9_li.kd
    .uniform_work_group_size: 1
    .uses_dynamic_stack: false
    .vgpr_count:     62
    .vgpr_spill_count: 0
    .wavefront_size: 64
  - .agpr_count:     0
    .args:
      - .offset:         0
        .size:           4
        .value_kind:     by_value
      - .offset:         4
        .size:           4
        .value_kind:     by_value
      - .offset:         8
        .size:           16
        .value_kind:     by_value
      - .address_space:  global
        .offset:         24
        .size:           8
        .value_kind:     global_buffer
      - .offset:         32
        .size:           4
        .value_kind:     by_value
      - .offset:         40
        .size:           8
        .value_kind:     by_value
      - .address_space:  global
        .offset:         48
        .size:           8
        .value_kind:     global_buffer
      - .offset:         56
        .size:           4
        .value_kind:     by_value
      - .offset:         64
        .size:           8
        .value_kind:     by_value
      - .offset:         72
        .size:           16
        .value_kind:     by_value
      - .address_space:  global
        .offset:         88
        .size:           8
        .value_kind:     global_buffer
      - .offset:         96
        .size:           4
        .value_kind:     by_value
      - .offset:         104
        .size:           8
        .value_kind:     by_value
      - .offset:         112
        .size:           4
        .value_kind:     by_value
    .group_segment_fixed_size: 8192
    .kernarg_segment_align: 8
    .kernarg_segment_size: 116
    .language:       OpenCL C
    .language_version:
      - 2
      - 0
    .max_flat_workgroup_size: 256
    .name:           _ZL29rocblas_internal_gemmt_kernelIiLi16ELi32ELi8ELc84ELc78ELc85ELb0ELb0E19rocblas_complex_numIdES1_PKPKS1_PKPS1_EviT_T9_T10_S9_lSB_S9_lSA_T11_S9_li
    .private_segment_fixed_size: 0
    .sgpr_count:     40
    .sgpr_spill_count: 0
    .symbol:         _ZL29rocblas_internal_gemmt_kernelIiLi16ELi32ELi8ELc84ELc78ELc85ELb0ELb0E19rocblas_complex_numIdES1_PKPKS1_PKPS1_EviT_T9_T10_S9_lSB_S9_lSA_T11_S9_li.kd
    .uniform_work_group_size: 1
    .uses_dynamic_stack: false
    .vgpr_count:     62
    .vgpr_spill_count: 0
    .wavefront_size: 64
  - .agpr_count:     0
    .args:
      - .offset:         0
        .size:           4
        .value_kind:     by_value
      - .offset:         4
        .size:           4
        .value_kind:     by_value
      - .offset:         8
        .size:           16
        .value_kind:     by_value
      - .address_space:  global
        .offset:         24
        .size:           8
        .value_kind:     global_buffer
      - .offset:         32
        .size:           4
        .value_kind:     by_value
      - .offset:         40
        .size:           8
        .value_kind:     by_value
      - .address_space:  global
        .offset:         48
        .size:           8
        .value_kind:     global_buffer
      - .offset:         56
        .size:           4
        .value_kind:     by_value
      - .offset:         64
        .size:           8
        .value_kind:     by_value
      - .offset:         72
        .size:           16
        .value_kind:     by_value
      - .address_space:  global
        .offset:         88
        .size:           8
        .value_kind:     global_buffer
      - .offset:         96
        .size:           4
        .value_kind:     by_value
      - .offset:         104
        .size:           8
        .value_kind:     by_value
      - .offset:         112
        .size:           4
        .value_kind:     by_value
    .group_segment_fixed_size: 8192
    .kernarg_segment_align: 8
    .kernarg_segment_size: 116
    .language:       OpenCL C
    .language_version:
      - 2
      - 0
    .max_flat_workgroup_size: 256
    .name:           _ZL29rocblas_internal_gemmt_kernelIiLi16ELi32ELi8ELc84ELc84ELc85ELb0ELb0E19rocblas_complex_numIdES1_PKPKS1_PKPS1_EviT_T9_T10_S9_lSB_S9_lSA_T11_S9_li
    .private_segment_fixed_size: 0
    .sgpr_count:     42
    .sgpr_spill_count: 0
    .symbol:         _ZL29rocblas_internal_gemmt_kernelIiLi16ELi32ELi8ELc84ELc84ELc85ELb0ELb0E19rocblas_complex_numIdES1_PKPKS1_PKPS1_EviT_T9_T10_S9_lSB_S9_lSA_T11_S9_li.kd
    .uniform_work_group_size: 1
    .uses_dynamic_stack: false
    .vgpr_count:     62
    .vgpr_spill_count: 0
    .wavefront_size: 64
  - .agpr_count:     0
    .args:
      - .offset:         0
        .size:           4
        .value_kind:     by_value
      - .offset:         4
        .size:           4
        .value_kind:     by_value
      - .offset:         8
        .size:           16
        .value_kind:     by_value
      - .address_space:  global
        .offset:         24
        .size:           8
        .value_kind:     global_buffer
      - .offset:         32
        .size:           4
        .value_kind:     by_value
      - .offset:         40
        .size:           8
        .value_kind:     by_value
      - .address_space:  global
        .offset:         48
        .size:           8
        .value_kind:     global_buffer
      - .offset:         56
        .size:           4
        .value_kind:     by_value
      - .offset:         64
        .size:           8
        .value_kind:     by_value
      - .offset:         72
        .size:           16
        .value_kind:     by_value
      - .address_space:  global
        .offset:         88
        .size:           8
        .value_kind:     global_buffer
      - .offset:         96
        .size:           4
        .value_kind:     by_value
      - .offset:         104
        .size:           8
        .value_kind:     by_value
      - .offset:         112
        .size:           4
        .value_kind:     by_value
    .group_segment_fixed_size: 8192
    .kernarg_segment_align: 8
    .kernarg_segment_size: 116
    .language:       OpenCL C
    .language_version:
      - 2
      - 0
    .max_flat_workgroup_size: 256
    .name:           _ZL29rocblas_internal_gemmt_kernelIiLi16ELi32ELi8ELc84ELc67ELc85ELb0ELb1E19rocblas_complex_numIdES1_PKPKS1_PKPS1_EviT_T9_T10_S9_lSB_S9_lSA_T11_S9_li
    .private_segment_fixed_size: 0
    .sgpr_count:     42
    .sgpr_spill_count: 0
    .symbol:         _ZL29rocblas_internal_gemmt_kernelIiLi16ELi32ELi8ELc84ELc67ELc85ELb0ELb1E19rocblas_complex_numIdES1_PKPKS1_PKPS1_EviT_T9_T10_S9_lSB_S9_lSA_T11_S9_li.kd
    .uniform_work_group_size: 1
    .uses_dynamic_stack: false
    .vgpr_count:     62
    .vgpr_spill_count: 0
    .wavefront_size: 64
  - .agpr_count:     0
    .args:
      - .offset:         0
        .size:           4
        .value_kind:     by_value
      - .offset:         4
        .size:           4
        .value_kind:     by_value
      - .offset:         8
        .size:           16
        .value_kind:     by_value
      - .address_space:  global
        .offset:         24
        .size:           8
        .value_kind:     global_buffer
      - .offset:         32
        .size:           4
        .value_kind:     by_value
      - .offset:         40
        .size:           8
        .value_kind:     by_value
      - .address_space:  global
        .offset:         48
        .size:           8
        .value_kind:     global_buffer
      - .offset:         56
        .size:           4
        .value_kind:     by_value
      - .offset:         64
        .size:           8
        .value_kind:     by_value
      - .offset:         72
        .size:           16
        .value_kind:     by_value
      - .address_space:  global
        .offset:         88
        .size:           8
        .value_kind:     global_buffer
      - .offset:         96
        .size:           4
        .value_kind:     by_value
      - .offset:         104
        .size:           8
        .value_kind:     by_value
      - .offset:         112
        .size:           4
        .value_kind:     by_value
    .group_segment_fixed_size: 8192
    .kernarg_segment_align: 8
    .kernarg_segment_size: 116
    .language:       OpenCL C
    .language_version:
      - 2
      - 0
    .max_flat_workgroup_size: 256
    .name:           _ZL29rocblas_internal_gemmt_kernelIiLi16ELi32ELi8ELc67ELc78ELc85ELb1ELb0E19rocblas_complex_numIdES1_PKPKS1_PKPS1_EviT_T9_T10_S9_lSB_S9_lSA_T11_S9_li
    .private_segment_fixed_size: 0
    .sgpr_count:     40
    .sgpr_spill_count: 0
    .symbol:         _ZL29rocblas_internal_gemmt_kernelIiLi16ELi32ELi8ELc67ELc78ELc85ELb1ELb0E19rocblas_complex_numIdES1_PKPKS1_PKPS1_EviT_T9_T10_S9_lSB_S9_lSA_T11_S9_li.kd
    .uniform_work_group_size: 1
    .uses_dynamic_stack: false
    .vgpr_count:     62
    .vgpr_spill_count: 0
    .wavefront_size: 64
  - .agpr_count:     0
    .args:
      - .offset:         0
        .size:           4
        .value_kind:     by_value
      - .offset:         4
        .size:           4
        .value_kind:     by_value
      - .offset:         8
        .size:           16
        .value_kind:     by_value
      - .address_space:  global
        .offset:         24
        .size:           8
        .value_kind:     global_buffer
      - .offset:         32
        .size:           4
        .value_kind:     by_value
      - .offset:         40
        .size:           8
        .value_kind:     by_value
      - .address_space:  global
        .offset:         48
        .size:           8
        .value_kind:     global_buffer
      - .offset:         56
        .size:           4
        .value_kind:     by_value
      - .offset:         64
        .size:           8
        .value_kind:     by_value
      - .offset:         72
        .size:           16
        .value_kind:     by_value
      - .address_space:  global
        .offset:         88
        .size:           8
        .value_kind:     global_buffer
      - .offset:         96
        .size:           4
        .value_kind:     by_value
      - .offset:         104
        .size:           8
        .value_kind:     by_value
      - .offset:         112
        .size:           4
        .value_kind:     by_value
    .group_segment_fixed_size: 8192
    .kernarg_segment_align: 8
    .kernarg_segment_size: 116
    .language:       OpenCL C
    .language_version:
      - 2
      - 0
    .max_flat_workgroup_size: 256
    .name:           _ZL29rocblas_internal_gemmt_kernelIiLi16ELi32ELi8ELc67ELc84ELc85ELb1ELb0E19rocblas_complex_numIdES1_PKPKS1_PKPS1_EviT_T9_T10_S9_lSB_S9_lSA_T11_S9_li
    .private_segment_fixed_size: 0
    .sgpr_count:     42
    .sgpr_spill_count: 0
    .symbol:         _ZL29rocblas_internal_gemmt_kernelIiLi16ELi32ELi8ELc67ELc84ELc85ELb1ELb0E19rocblas_complex_numIdES1_PKPKS1_PKPS1_EviT_T9_T10_S9_lSB_S9_lSA_T11_S9_li.kd
    .uniform_work_group_size: 1
    .uses_dynamic_stack: false
    .vgpr_count:     62
    .vgpr_spill_count: 0
    .wavefront_size: 64
  - .agpr_count:     0
    .args:
      - .offset:         0
        .size:           4
        .value_kind:     by_value
      - .offset:         4
        .size:           4
        .value_kind:     by_value
      - .offset:         8
        .size:           16
        .value_kind:     by_value
      - .address_space:  global
        .offset:         24
        .size:           8
        .value_kind:     global_buffer
      - .offset:         32
        .size:           4
        .value_kind:     by_value
      - .offset:         40
        .size:           8
        .value_kind:     by_value
      - .address_space:  global
        .offset:         48
        .size:           8
        .value_kind:     global_buffer
      - .offset:         56
        .size:           4
        .value_kind:     by_value
      - .offset:         64
        .size:           8
        .value_kind:     by_value
      - .offset:         72
        .size:           16
        .value_kind:     by_value
      - .address_space:  global
        .offset:         88
        .size:           8
        .value_kind:     global_buffer
      - .offset:         96
        .size:           4
        .value_kind:     by_value
      - .offset:         104
        .size:           8
        .value_kind:     by_value
      - .offset:         112
        .size:           4
        .value_kind:     by_value
    .group_segment_fixed_size: 8192
    .kernarg_segment_align: 8
    .kernarg_segment_size: 116
    .language:       OpenCL C
    .language_version:
      - 2
      - 0
    .max_flat_workgroup_size: 256
    .name:           _ZL29rocblas_internal_gemmt_kernelIiLi16ELi32ELi8ELc67ELc67ELc85ELb1ELb1E19rocblas_complex_numIdES1_PKPKS1_PKPS1_EviT_T9_T10_S9_lSB_S9_lSA_T11_S9_li
    .private_segment_fixed_size: 0
    .sgpr_count:     42
    .sgpr_spill_count: 0
    .symbol:         _ZL29rocblas_internal_gemmt_kernelIiLi16ELi32ELi8ELc67ELc67ELc85ELb1ELb1E19rocblas_complex_numIdES1_PKPKS1_PKPS1_EviT_T9_T10_S9_lSB_S9_lSA_T11_S9_li.kd
    .uniform_work_group_size: 1
    .uses_dynamic_stack: false
    .vgpr_count:     58
    .vgpr_spill_count: 0
    .wavefront_size: 64
  - .agpr_count:     0
    .args:
      - .offset:         0
        .size:           4
        .value_kind:     by_value
      - .offset:         4
        .size:           4
        .value_kind:     by_value
      - .offset:         8
        .size:           16
        .value_kind:     by_value
      - .address_space:  global
        .offset:         24
        .size:           8
        .value_kind:     global_buffer
      - .offset:         32
        .size:           4
        .value_kind:     by_value
      - .offset:         40
        .size:           8
        .value_kind:     by_value
      - .address_space:  global
        .offset:         48
        .size:           8
        .value_kind:     global_buffer
      - .offset:         56
        .size:           4
        .value_kind:     by_value
      - .offset:         64
        .size:           8
        .value_kind:     by_value
      - .offset:         72
        .size:           16
        .value_kind:     by_value
      - .address_space:  global
        .offset:         88
        .size:           8
        .value_kind:     global_buffer
      - .offset:         96
        .size:           4
        .value_kind:     by_value
      - .offset:         104
        .size:           8
        .value_kind:     by_value
      - .offset:         112
        .size:           4
        .value_kind:     by_value
    .group_segment_fixed_size: 8192
    .kernarg_segment_align: 8
    .kernarg_segment_size: 116
    .language:       OpenCL C
    .language_version:
      - 2
      - 0
    .max_flat_workgroup_size: 256
    .name:           _ZL29rocblas_internal_gemmt_kernelIiLi16ELi32ELi8ELc78ELc78ELc76ELb0ELb0E19rocblas_complex_numIdES1_PKPKS1_PKPS1_EviT_T9_T10_S9_lSB_S9_lSA_T11_S9_li
    .private_segment_fixed_size: 0
    .sgpr_count:     42
    .sgpr_spill_count: 0
    .symbol:         _ZL29rocblas_internal_gemmt_kernelIiLi16ELi32ELi8ELc78ELc78ELc76ELb0ELb0E19rocblas_complex_numIdES1_PKPKS1_PKPS1_EviT_T9_T10_S9_lSB_S9_lSA_T11_S9_li.kd
    .uniform_work_group_size: 1
    .uses_dynamic_stack: false
    .vgpr_count:     62
    .vgpr_spill_count: 0
    .wavefront_size: 64
  - .agpr_count:     0
    .args:
      - .offset:         0
        .size:           4
        .value_kind:     by_value
      - .offset:         4
        .size:           4
        .value_kind:     by_value
      - .offset:         8
        .size:           16
        .value_kind:     by_value
      - .address_space:  global
        .offset:         24
        .size:           8
        .value_kind:     global_buffer
      - .offset:         32
        .size:           4
        .value_kind:     by_value
      - .offset:         40
        .size:           8
        .value_kind:     by_value
      - .address_space:  global
        .offset:         48
        .size:           8
        .value_kind:     global_buffer
      - .offset:         56
        .size:           4
        .value_kind:     by_value
      - .offset:         64
        .size:           8
        .value_kind:     by_value
      - .offset:         72
        .size:           16
        .value_kind:     by_value
      - .address_space:  global
        .offset:         88
        .size:           8
        .value_kind:     global_buffer
      - .offset:         96
        .size:           4
        .value_kind:     by_value
      - .offset:         104
        .size:           8
        .value_kind:     by_value
      - .offset:         112
        .size:           4
        .value_kind:     by_value
    .group_segment_fixed_size: 8192
    .kernarg_segment_align: 8
    .kernarg_segment_size: 116
    .language:       OpenCL C
    .language_version:
      - 2
      - 0
    .max_flat_workgroup_size: 256
    .name:           _ZL29rocblas_internal_gemmt_kernelIiLi16ELi32ELi8ELc78ELc84ELc76ELb0ELb0E19rocblas_complex_numIdES1_PKPKS1_PKPS1_EviT_T9_T10_S9_lSB_S9_lSA_T11_S9_li
    .private_segment_fixed_size: 0
    .sgpr_count:     44
    .sgpr_spill_count: 0
    .symbol:         _ZL29rocblas_internal_gemmt_kernelIiLi16ELi32ELi8ELc78ELc84ELc76ELb0ELb0E19rocblas_complex_numIdES1_PKPKS1_PKPS1_EviT_T9_T10_S9_lSB_S9_lSA_T11_S9_li.kd
    .uniform_work_group_size: 1
    .uses_dynamic_stack: false
    .vgpr_count:     62
    .vgpr_spill_count: 0
    .wavefront_size: 64
  - .agpr_count:     0
    .args:
      - .offset:         0
        .size:           4
        .value_kind:     by_value
      - .offset:         4
        .size:           4
        .value_kind:     by_value
      - .offset:         8
        .size:           16
        .value_kind:     by_value
      - .address_space:  global
        .offset:         24
        .size:           8
        .value_kind:     global_buffer
      - .offset:         32
        .size:           4
        .value_kind:     by_value
      - .offset:         40
        .size:           8
        .value_kind:     by_value
      - .address_space:  global
        .offset:         48
        .size:           8
        .value_kind:     global_buffer
      - .offset:         56
        .size:           4
        .value_kind:     by_value
      - .offset:         64
        .size:           8
        .value_kind:     by_value
      - .offset:         72
        .size:           16
        .value_kind:     by_value
      - .address_space:  global
        .offset:         88
        .size:           8
        .value_kind:     global_buffer
      - .offset:         96
        .size:           4
        .value_kind:     by_value
      - .offset:         104
        .size:           8
        .value_kind:     by_value
      - .offset:         112
        .size:           4
        .value_kind:     by_value
    .group_segment_fixed_size: 8192
    .kernarg_segment_align: 8
    .kernarg_segment_size: 116
    .language:       OpenCL C
    .language_version:
      - 2
      - 0
    .max_flat_workgroup_size: 256
    .name:           _ZL29rocblas_internal_gemmt_kernelIiLi16ELi32ELi8ELc78ELc67ELc76ELb0ELb1E19rocblas_complex_numIdES1_PKPKS1_PKPS1_EviT_T9_T10_S9_lSB_S9_lSA_T11_S9_li
    .private_segment_fixed_size: 0
    .sgpr_count:     44
    .sgpr_spill_count: 0
    .symbol:         _ZL29rocblas_internal_gemmt_kernelIiLi16ELi32ELi8ELc78ELc67ELc76ELb0ELb1E19rocblas_complex_numIdES1_PKPKS1_PKPS1_EviT_T9_T10_S9_lSB_S9_lSA_T11_S9_li.kd
    .uniform_work_group_size: 1
    .uses_dynamic_stack: false
    .vgpr_count:     62
    .vgpr_spill_count: 0
    .wavefront_size: 64
  - .agpr_count:     0
    .args:
      - .offset:         0
        .size:           4
        .value_kind:     by_value
      - .offset:         4
        .size:           4
        .value_kind:     by_value
      - .offset:         8
        .size:           16
        .value_kind:     by_value
      - .address_space:  global
        .offset:         24
        .size:           8
        .value_kind:     global_buffer
      - .offset:         32
        .size:           4
        .value_kind:     by_value
      - .offset:         40
        .size:           8
        .value_kind:     by_value
      - .address_space:  global
        .offset:         48
        .size:           8
        .value_kind:     global_buffer
      - .offset:         56
        .size:           4
        .value_kind:     by_value
      - .offset:         64
        .size:           8
        .value_kind:     by_value
      - .offset:         72
        .size:           16
        .value_kind:     by_value
      - .address_space:  global
        .offset:         88
        .size:           8
        .value_kind:     global_buffer
      - .offset:         96
        .size:           4
        .value_kind:     by_value
      - .offset:         104
        .size:           8
        .value_kind:     by_value
      - .offset:         112
        .size:           4
        .value_kind:     by_value
    .group_segment_fixed_size: 8192
    .kernarg_segment_align: 8
    .kernarg_segment_size: 116
    .language:       OpenCL C
    .language_version:
      - 2
      - 0
    .max_flat_workgroup_size: 256
    .name:           _ZL29rocblas_internal_gemmt_kernelIiLi16ELi32ELi8ELc84ELc78ELc76ELb0ELb0E19rocblas_complex_numIdES1_PKPKS1_PKPS1_EviT_T9_T10_S9_lSB_S9_lSA_T11_S9_li
    .private_segment_fixed_size: 0
    .sgpr_count:     40
    .sgpr_spill_count: 0
    .symbol:         _ZL29rocblas_internal_gemmt_kernelIiLi16ELi32ELi8ELc84ELc78ELc76ELb0ELb0E19rocblas_complex_numIdES1_PKPKS1_PKPS1_EviT_T9_T10_S9_lSB_S9_lSA_T11_S9_li.kd
    .uniform_work_group_size: 1
    .uses_dynamic_stack: false
    .vgpr_count:     62
    .vgpr_spill_count: 0
    .wavefront_size: 64
  - .agpr_count:     0
    .args:
      - .offset:         0
        .size:           4
        .value_kind:     by_value
      - .offset:         4
        .size:           4
        .value_kind:     by_value
      - .offset:         8
        .size:           16
        .value_kind:     by_value
      - .address_space:  global
        .offset:         24
        .size:           8
        .value_kind:     global_buffer
      - .offset:         32
        .size:           4
        .value_kind:     by_value
      - .offset:         40
        .size:           8
        .value_kind:     by_value
      - .address_space:  global
        .offset:         48
        .size:           8
        .value_kind:     global_buffer
      - .offset:         56
        .size:           4
        .value_kind:     by_value
      - .offset:         64
        .size:           8
        .value_kind:     by_value
      - .offset:         72
        .size:           16
        .value_kind:     by_value
      - .address_space:  global
        .offset:         88
        .size:           8
        .value_kind:     global_buffer
      - .offset:         96
        .size:           4
        .value_kind:     by_value
      - .offset:         104
        .size:           8
        .value_kind:     by_value
      - .offset:         112
        .size:           4
        .value_kind:     by_value
    .group_segment_fixed_size: 8192
    .kernarg_segment_align: 8
    .kernarg_segment_size: 116
    .language:       OpenCL C
    .language_version:
      - 2
      - 0
    .max_flat_workgroup_size: 256
    .name:           _ZL29rocblas_internal_gemmt_kernelIiLi16ELi32ELi8ELc84ELc84ELc76ELb0ELb0E19rocblas_complex_numIdES1_PKPKS1_PKPS1_EviT_T9_T10_S9_lSB_S9_lSA_T11_S9_li
    .private_segment_fixed_size: 0
    .sgpr_count:     42
    .sgpr_spill_count: 0
    .symbol:         _ZL29rocblas_internal_gemmt_kernelIiLi16ELi32ELi8ELc84ELc84ELc76ELb0ELb0E19rocblas_complex_numIdES1_PKPKS1_PKPS1_EviT_T9_T10_S9_lSB_S9_lSA_T11_S9_li.kd
    .uniform_work_group_size: 1
    .uses_dynamic_stack: false
    .vgpr_count:     62
    .vgpr_spill_count: 0
    .wavefront_size: 64
  - .agpr_count:     0
    .args:
      - .offset:         0
        .size:           4
        .value_kind:     by_value
      - .offset:         4
        .size:           4
        .value_kind:     by_value
      - .offset:         8
        .size:           16
        .value_kind:     by_value
      - .address_space:  global
        .offset:         24
        .size:           8
        .value_kind:     global_buffer
      - .offset:         32
        .size:           4
        .value_kind:     by_value
      - .offset:         40
        .size:           8
        .value_kind:     by_value
      - .address_space:  global
        .offset:         48
        .size:           8
        .value_kind:     global_buffer
      - .offset:         56
        .size:           4
        .value_kind:     by_value
      - .offset:         64
        .size:           8
        .value_kind:     by_value
      - .offset:         72
        .size:           16
        .value_kind:     by_value
      - .address_space:  global
        .offset:         88
        .size:           8
        .value_kind:     global_buffer
      - .offset:         96
        .size:           4
        .value_kind:     by_value
      - .offset:         104
        .size:           8
        .value_kind:     by_value
      - .offset:         112
        .size:           4
        .value_kind:     by_value
    .group_segment_fixed_size: 8192
    .kernarg_segment_align: 8
    .kernarg_segment_size: 116
    .language:       OpenCL C
    .language_version:
      - 2
      - 0
    .max_flat_workgroup_size: 256
    .name:           _ZL29rocblas_internal_gemmt_kernelIiLi16ELi32ELi8ELc84ELc67ELc76ELb0ELb1E19rocblas_complex_numIdES1_PKPKS1_PKPS1_EviT_T9_T10_S9_lSB_S9_lSA_T11_S9_li
    .private_segment_fixed_size: 0
    .sgpr_count:     42
    .sgpr_spill_count: 0
    .symbol:         _ZL29rocblas_internal_gemmt_kernelIiLi16ELi32ELi8ELc84ELc67ELc76ELb0ELb1E19rocblas_complex_numIdES1_PKPKS1_PKPS1_EviT_T9_T10_S9_lSB_S9_lSA_T11_S9_li.kd
    .uniform_work_group_size: 1
    .uses_dynamic_stack: false
    .vgpr_count:     62
    .vgpr_spill_count: 0
    .wavefront_size: 64
  - .agpr_count:     0
    .args:
      - .offset:         0
        .size:           4
        .value_kind:     by_value
      - .offset:         4
        .size:           4
        .value_kind:     by_value
      - .offset:         8
        .size:           16
        .value_kind:     by_value
      - .address_space:  global
        .offset:         24
        .size:           8
        .value_kind:     global_buffer
      - .offset:         32
        .size:           4
        .value_kind:     by_value
      - .offset:         40
        .size:           8
        .value_kind:     by_value
      - .address_space:  global
        .offset:         48
        .size:           8
        .value_kind:     global_buffer
      - .offset:         56
        .size:           4
        .value_kind:     by_value
      - .offset:         64
        .size:           8
        .value_kind:     by_value
      - .offset:         72
        .size:           16
        .value_kind:     by_value
      - .address_space:  global
        .offset:         88
        .size:           8
        .value_kind:     global_buffer
      - .offset:         96
        .size:           4
        .value_kind:     by_value
      - .offset:         104
        .size:           8
        .value_kind:     by_value
      - .offset:         112
        .size:           4
        .value_kind:     by_value
    .group_segment_fixed_size: 8192
    .kernarg_segment_align: 8
    .kernarg_segment_size: 116
    .language:       OpenCL C
    .language_version:
      - 2
      - 0
    .max_flat_workgroup_size: 256
    .name:           _ZL29rocblas_internal_gemmt_kernelIiLi16ELi32ELi8ELc67ELc78ELc76ELb1ELb0E19rocblas_complex_numIdES1_PKPKS1_PKPS1_EviT_T9_T10_S9_lSB_S9_lSA_T11_S9_li
    .private_segment_fixed_size: 0
    .sgpr_count:     40
    .sgpr_spill_count: 0
    .symbol:         _ZL29rocblas_internal_gemmt_kernelIiLi16ELi32ELi8ELc67ELc78ELc76ELb1ELb0E19rocblas_complex_numIdES1_PKPKS1_PKPS1_EviT_T9_T10_S9_lSB_S9_lSA_T11_S9_li.kd
    .uniform_work_group_size: 1
    .uses_dynamic_stack: false
    .vgpr_count:     62
    .vgpr_spill_count: 0
    .wavefront_size: 64
  - .agpr_count:     0
    .args:
      - .offset:         0
        .size:           4
        .value_kind:     by_value
      - .offset:         4
        .size:           4
        .value_kind:     by_value
      - .offset:         8
        .size:           16
        .value_kind:     by_value
      - .address_space:  global
        .offset:         24
        .size:           8
        .value_kind:     global_buffer
      - .offset:         32
        .size:           4
        .value_kind:     by_value
      - .offset:         40
        .size:           8
        .value_kind:     by_value
      - .address_space:  global
        .offset:         48
        .size:           8
        .value_kind:     global_buffer
      - .offset:         56
        .size:           4
        .value_kind:     by_value
      - .offset:         64
        .size:           8
        .value_kind:     by_value
      - .offset:         72
        .size:           16
        .value_kind:     by_value
      - .address_space:  global
        .offset:         88
        .size:           8
        .value_kind:     global_buffer
      - .offset:         96
        .size:           4
        .value_kind:     by_value
      - .offset:         104
        .size:           8
        .value_kind:     by_value
      - .offset:         112
        .size:           4
        .value_kind:     by_value
    .group_segment_fixed_size: 8192
    .kernarg_segment_align: 8
    .kernarg_segment_size: 116
    .language:       OpenCL C
    .language_version:
      - 2
      - 0
    .max_flat_workgroup_size: 256
    .name:           _ZL29rocblas_internal_gemmt_kernelIiLi16ELi32ELi8ELc67ELc84ELc76ELb1ELb0E19rocblas_complex_numIdES1_PKPKS1_PKPS1_EviT_T9_T10_S9_lSB_S9_lSA_T11_S9_li
    .private_segment_fixed_size: 0
    .sgpr_count:     42
    .sgpr_spill_count: 0
    .symbol:         _ZL29rocblas_internal_gemmt_kernelIiLi16ELi32ELi8ELc67ELc84ELc76ELb1ELb0E19rocblas_complex_numIdES1_PKPKS1_PKPS1_EviT_T9_T10_S9_lSB_S9_lSA_T11_S9_li.kd
    .uniform_work_group_size: 1
    .uses_dynamic_stack: false
    .vgpr_count:     62
    .vgpr_spill_count: 0
    .wavefront_size: 64
  - .agpr_count:     0
    .args:
      - .offset:         0
        .size:           4
        .value_kind:     by_value
      - .offset:         4
        .size:           4
        .value_kind:     by_value
      - .offset:         8
        .size:           16
        .value_kind:     by_value
      - .address_space:  global
        .offset:         24
        .size:           8
        .value_kind:     global_buffer
      - .offset:         32
        .size:           4
        .value_kind:     by_value
      - .offset:         40
        .size:           8
        .value_kind:     by_value
      - .address_space:  global
        .offset:         48
        .size:           8
        .value_kind:     global_buffer
      - .offset:         56
        .size:           4
        .value_kind:     by_value
      - .offset:         64
        .size:           8
        .value_kind:     by_value
      - .offset:         72
        .size:           16
        .value_kind:     by_value
      - .address_space:  global
        .offset:         88
        .size:           8
        .value_kind:     global_buffer
      - .offset:         96
        .size:           4
        .value_kind:     by_value
      - .offset:         104
        .size:           8
        .value_kind:     by_value
      - .offset:         112
        .size:           4
        .value_kind:     by_value
    .group_segment_fixed_size: 8192
    .kernarg_segment_align: 8
    .kernarg_segment_size: 116
    .language:       OpenCL C
    .language_version:
      - 2
      - 0
    .max_flat_workgroup_size: 256
    .name:           _ZL29rocblas_internal_gemmt_kernelIiLi16ELi32ELi8ELc67ELc67ELc76ELb1ELb1E19rocblas_complex_numIdES1_PKPKS1_PKPS1_EviT_T9_T10_S9_lSB_S9_lSA_T11_S9_li
    .private_segment_fixed_size: 0
    .sgpr_count:     42
    .sgpr_spill_count: 0
    .symbol:         _ZL29rocblas_internal_gemmt_kernelIiLi16ELi32ELi8ELc67ELc67ELc76ELb1ELb1E19rocblas_complex_numIdES1_PKPKS1_PKPS1_EviT_T9_T10_S9_lSB_S9_lSA_T11_S9_li.kd
    .uniform_work_group_size: 1
    .uses_dynamic_stack: false
    .vgpr_count:     58
    .vgpr_spill_count: 0
    .wavefront_size: 64
  - .agpr_count:     0
    .args:
      - .offset:         0
        .size:           4
        .value_kind:     by_value
      - .offset:         8
        .size:           8
        .value_kind:     by_value
      - .address_space:  global
        .offset:         16
        .size:           8
        .value_kind:     global_buffer
      - .address_space:  global
        .offset:         24
        .size:           8
        .value_kind:     global_buffer
      - .offset:         32
        .size:           8
        .value_kind:     by_value
      - .offset:         40
        .size:           8
        .value_kind:     by_value
      - .address_space:  global
        .offset:         48
        .size:           8
        .value_kind:     global_buffer
      - .offset:         56
        .size:           8
        .value_kind:     by_value
      - .offset:         64
        .size:           8
        .value_kind:     by_value
      - .address_space:  global
        .offset:         72
        .size:           8
        .value_kind:     global_buffer
      - .address_space:  global
        .offset:         80
        .size:           8
        .value_kind:     global_buffer
      - .offset:         88
        .size:           8
        .value_kind:     by_value
      - .offset:         96
        .size:           8
        .value_kind:     by_value
      - .offset:         104
        .size:           4
        .value_kind:     by_value
    .group_segment_fixed_size: 2048
    .kernarg_segment_align: 8
    .kernarg_segment_size: 108
    .language:       OpenCL C
    .language_version:
      - 2
      - 0
    .max_flat_workgroup_size: 256
    .name:           _ZL29rocblas_internal_gemmt_kernelIlLi16ELi32ELi8ELc78ELc78ELc85ELb0ELb0EfPKfPKS1_PKPfEviT_T9_T10_S7_lS9_S7_lS8_T11_S7_li
    .private_segment_fixed_size: 0
    .sgpr_count:     41
    .sgpr_spill_count: 0
    .symbol:         _ZL29rocblas_internal_gemmt_kernelIlLi16ELi32ELi8ELc78ELc78ELc85ELb0ELb0EfPKfPKS1_PKPfEviT_T9_T10_S7_lS9_S7_lS8_T11_S7_li.kd
    .uniform_work_group_size: 1
    .uses_dynamic_stack: false
    .vgpr_count:     50
    .vgpr_spill_count: 0
    .wavefront_size: 64
  - .agpr_count:     0
    .args:
      - .offset:         0
        .size:           4
        .value_kind:     by_value
      - .offset:         8
        .size:           8
        .value_kind:     by_value
      - .address_space:  global
        .offset:         16
        .size:           8
        .value_kind:     global_buffer
      - .address_space:  global
        .offset:         24
        .size:           8
        .value_kind:     global_buffer
      - .offset:         32
        .size:           8
        .value_kind:     by_value
      - .offset:         40
        .size:           8
        .value_kind:     by_value
      - .address_space:  global
        .offset:         48
        .size:           8
        .value_kind:     global_buffer
      - .offset:         56
        .size:           8
        .value_kind:     by_value
      - .offset:         64
        .size:           8
        .value_kind:     by_value
      - .address_space:  global
        .offset:         72
        .size:           8
        .value_kind:     global_buffer
      - .address_space:  global
        .offset:         80
        .size:           8
        .value_kind:     global_buffer
      - .offset:         88
        .size:           8
        .value_kind:     by_value
      - .offset:         96
        .size:           8
        .value_kind:     by_value
      - .offset:         104
        .size:           4
        .value_kind:     by_value
    .group_segment_fixed_size: 2048
    .kernarg_segment_align: 8
    .kernarg_segment_size: 108
    .language:       OpenCL C
    .language_version:
      - 2
      - 0
    .max_flat_workgroup_size: 256
    .name:           _ZL29rocblas_internal_gemmt_kernelIlLi16ELi32ELi8ELc78ELc84ELc85ELb0ELb0EfPKfPKS1_PKPfEviT_T9_T10_S7_lS9_S7_lS8_T11_S7_li
    .private_segment_fixed_size: 0
    .sgpr_count:     41
    .sgpr_spill_count: 0
    .symbol:         _ZL29rocblas_internal_gemmt_kernelIlLi16ELi32ELi8ELc78ELc84ELc85ELb0ELb0EfPKfPKS1_PKPfEviT_T9_T10_S7_lS9_S7_lS8_T11_S7_li.kd
    .uniform_work_group_size: 1
    .uses_dynamic_stack: false
    .vgpr_count:     50
    .vgpr_spill_count: 0
    .wavefront_size: 64
  - .agpr_count:     0
    .args:
      - .offset:         0
        .size:           4
        .value_kind:     by_value
      - .offset:         8
        .size:           8
        .value_kind:     by_value
      - .address_space:  global
        .offset:         16
        .size:           8
        .value_kind:     global_buffer
      - .address_space:  global
        .offset:         24
        .size:           8
        .value_kind:     global_buffer
      - .offset:         32
        .size:           8
        .value_kind:     by_value
      - .offset:         40
        .size:           8
        .value_kind:     by_value
      - .address_space:  global
        .offset:         48
        .size:           8
        .value_kind:     global_buffer
      - .offset:         56
        .size:           8
        .value_kind:     by_value
      - .offset:         64
        .size:           8
        .value_kind:     by_value
      - .address_space:  global
        .offset:         72
        .size:           8
        .value_kind:     global_buffer
      - .address_space:  global
        .offset:         80
        .size:           8
        .value_kind:     global_buffer
      - .offset:         88
        .size:           8
        .value_kind:     by_value
      - .offset:         96
        .size:           8
        .value_kind:     by_value
      - .offset:         104
        .size:           4
        .value_kind:     by_value
    .group_segment_fixed_size: 2048
    .kernarg_segment_align: 8
    .kernarg_segment_size: 108
    .language:       OpenCL C
    .language_version:
      - 2
      - 0
    .max_flat_workgroup_size: 256
    .name:           _ZL29rocblas_internal_gemmt_kernelIlLi16ELi32ELi8ELc78ELc67ELc85ELb0ELb0EfPKfPKS1_PKPfEviT_T9_T10_S7_lS9_S7_lS8_T11_S7_li
    .private_segment_fixed_size: 0
    .sgpr_count:     41
    .sgpr_spill_count: 0
    .symbol:         _ZL29rocblas_internal_gemmt_kernelIlLi16ELi32ELi8ELc78ELc67ELc85ELb0ELb0EfPKfPKS1_PKPfEviT_T9_T10_S7_lS9_S7_lS8_T11_S7_li.kd
    .uniform_work_group_size: 1
    .uses_dynamic_stack: false
    .vgpr_count:     50
    .vgpr_spill_count: 0
    .wavefront_size: 64
  - .agpr_count:     0
    .args:
      - .offset:         0
        .size:           4
        .value_kind:     by_value
      - .offset:         8
        .size:           8
        .value_kind:     by_value
      - .address_space:  global
        .offset:         16
        .size:           8
        .value_kind:     global_buffer
      - .address_space:  global
        .offset:         24
        .size:           8
        .value_kind:     global_buffer
      - .offset:         32
        .size:           8
        .value_kind:     by_value
      - .offset:         40
        .size:           8
        .value_kind:     by_value
      - .address_space:  global
        .offset:         48
        .size:           8
        .value_kind:     global_buffer
      - .offset:         56
        .size:           8
        .value_kind:     by_value
      - .offset:         64
        .size:           8
        .value_kind:     by_value
      - .address_space:  global
        .offset:         72
        .size:           8
        .value_kind:     global_buffer
      - .address_space:  global
        .offset:         80
        .size:           8
        .value_kind:     global_buffer
      - .offset:         88
        .size:           8
        .value_kind:     by_value
      - .offset:         96
        .size:           8
        .value_kind:     by_value
      - .offset:         104
        .size:           4
        .value_kind:     by_value
    .group_segment_fixed_size: 2048
    .kernarg_segment_align: 8
    .kernarg_segment_size: 108
    .language:       OpenCL C
    .language_version:
      - 2
      - 0
    .max_flat_workgroup_size: 256
    .name:           _ZL29rocblas_internal_gemmt_kernelIlLi16ELi32ELi8ELc84ELc78ELc85ELb0ELb0EfPKfPKS1_PKPfEviT_T9_T10_S7_lS9_S7_lS8_T11_S7_li
    .private_segment_fixed_size: 0
    .sgpr_count:     41
    .sgpr_spill_count: 0
    .symbol:         _ZL29rocblas_internal_gemmt_kernelIlLi16ELi32ELi8ELc84ELc78ELc85ELb0ELb0EfPKfPKS1_PKPfEviT_T9_T10_S7_lS9_S7_lS8_T11_S7_li.kd
    .uniform_work_group_size: 1
    .uses_dynamic_stack: false
    .vgpr_count:     50
    .vgpr_spill_count: 0
    .wavefront_size: 64
  - .agpr_count:     0
    .args:
      - .offset:         0
        .size:           4
        .value_kind:     by_value
      - .offset:         8
        .size:           8
        .value_kind:     by_value
      - .address_space:  global
        .offset:         16
        .size:           8
        .value_kind:     global_buffer
      - .address_space:  global
        .offset:         24
        .size:           8
        .value_kind:     global_buffer
      - .offset:         32
        .size:           8
        .value_kind:     by_value
      - .offset:         40
        .size:           8
        .value_kind:     by_value
      - .address_space:  global
        .offset:         48
        .size:           8
        .value_kind:     global_buffer
      - .offset:         56
        .size:           8
        .value_kind:     by_value
      - .offset:         64
        .size:           8
        .value_kind:     by_value
      - .address_space:  global
        .offset:         72
        .size:           8
        .value_kind:     global_buffer
      - .address_space:  global
        .offset:         80
        .size:           8
        .value_kind:     global_buffer
      - .offset:         88
        .size:           8
        .value_kind:     by_value
      - .offset:         96
        .size:           8
        .value_kind:     by_value
      - .offset:         104
        .size:           4
        .value_kind:     by_value
    .group_segment_fixed_size: 2048
    .kernarg_segment_align: 8
    .kernarg_segment_size: 108
    .language:       OpenCL C
    .language_version:
      - 2
      - 0
    .max_flat_workgroup_size: 256
    .name:           _ZL29rocblas_internal_gemmt_kernelIlLi16ELi32ELi8ELc84ELc84ELc85ELb0ELb0EfPKfPKS1_PKPfEviT_T9_T10_S7_lS9_S7_lS8_T11_S7_li
    .private_segment_fixed_size: 0
    .sgpr_count:     41
    .sgpr_spill_count: 0
    .symbol:         _ZL29rocblas_internal_gemmt_kernelIlLi16ELi32ELi8ELc84ELc84ELc85ELb0ELb0EfPKfPKS1_PKPfEviT_T9_T10_S7_lS9_S7_lS8_T11_S7_li.kd
    .uniform_work_group_size: 1
    .uses_dynamic_stack: false
    .vgpr_count:     50
    .vgpr_spill_count: 0
    .wavefront_size: 64
  - .agpr_count:     0
    .args:
      - .offset:         0
        .size:           4
        .value_kind:     by_value
      - .offset:         8
        .size:           8
        .value_kind:     by_value
      - .address_space:  global
        .offset:         16
        .size:           8
        .value_kind:     global_buffer
      - .address_space:  global
        .offset:         24
        .size:           8
        .value_kind:     global_buffer
      - .offset:         32
        .size:           8
        .value_kind:     by_value
      - .offset:         40
        .size:           8
        .value_kind:     by_value
      - .address_space:  global
        .offset:         48
        .size:           8
        .value_kind:     global_buffer
      - .offset:         56
        .size:           8
        .value_kind:     by_value
      - .offset:         64
        .size:           8
        .value_kind:     by_value
      - .address_space:  global
        .offset:         72
        .size:           8
        .value_kind:     global_buffer
      - .address_space:  global
        .offset:         80
        .size:           8
        .value_kind:     global_buffer
      - .offset:         88
        .size:           8
        .value_kind:     by_value
      - .offset:         96
        .size:           8
        .value_kind:     by_value
      - .offset:         104
        .size:           4
        .value_kind:     by_value
    .group_segment_fixed_size: 2048
    .kernarg_segment_align: 8
    .kernarg_segment_size: 108
    .language:       OpenCL C
    .language_version:
      - 2
      - 0
    .max_flat_workgroup_size: 256
    .name:           _ZL29rocblas_internal_gemmt_kernelIlLi16ELi32ELi8ELc84ELc67ELc85ELb0ELb0EfPKfPKS1_PKPfEviT_T9_T10_S7_lS9_S7_lS8_T11_S7_li
    .private_segment_fixed_size: 0
    .sgpr_count:     41
    .sgpr_spill_count: 0
    .symbol:         _ZL29rocblas_internal_gemmt_kernelIlLi16ELi32ELi8ELc84ELc67ELc85ELb0ELb0EfPKfPKS1_PKPfEviT_T9_T10_S7_lS9_S7_lS8_T11_S7_li.kd
    .uniform_work_group_size: 1
    .uses_dynamic_stack: false
    .vgpr_count:     50
    .vgpr_spill_count: 0
    .wavefront_size: 64
  - .agpr_count:     0
    .args:
      - .offset:         0
        .size:           4
        .value_kind:     by_value
      - .offset:         8
        .size:           8
        .value_kind:     by_value
      - .address_space:  global
        .offset:         16
        .size:           8
        .value_kind:     global_buffer
      - .address_space:  global
        .offset:         24
        .size:           8
        .value_kind:     global_buffer
      - .offset:         32
        .size:           8
        .value_kind:     by_value
      - .offset:         40
        .size:           8
        .value_kind:     by_value
      - .address_space:  global
        .offset:         48
        .size:           8
        .value_kind:     global_buffer
      - .offset:         56
        .size:           8
        .value_kind:     by_value
      - .offset:         64
        .size:           8
        .value_kind:     by_value
      - .address_space:  global
        .offset:         72
        .size:           8
        .value_kind:     global_buffer
      - .address_space:  global
        .offset:         80
        .size:           8
        .value_kind:     global_buffer
      - .offset:         88
        .size:           8
        .value_kind:     by_value
      - .offset:         96
        .size:           8
        .value_kind:     by_value
      - .offset:         104
        .size:           4
        .value_kind:     by_value
    .group_segment_fixed_size: 2048
    .kernarg_segment_align: 8
    .kernarg_segment_size: 108
    .language:       OpenCL C
    .language_version:
      - 2
      - 0
    .max_flat_workgroup_size: 256
    .name:           _ZL29rocblas_internal_gemmt_kernelIlLi16ELi32ELi8ELc67ELc78ELc85ELb0ELb0EfPKfPKS1_PKPfEviT_T9_T10_S7_lS9_S7_lS8_T11_S7_li
    .private_segment_fixed_size: 0
    .sgpr_count:     41
    .sgpr_spill_count: 0
    .symbol:         _ZL29rocblas_internal_gemmt_kernelIlLi16ELi32ELi8ELc67ELc78ELc85ELb0ELb0EfPKfPKS1_PKPfEviT_T9_T10_S7_lS9_S7_lS8_T11_S7_li.kd
    .uniform_work_group_size: 1
    .uses_dynamic_stack: false
    .vgpr_count:     50
    .vgpr_spill_count: 0
    .wavefront_size: 64
  - .agpr_count:     0
    .args:
      - .offset:         0
        .size:           4
        .value_kind:     by_value
      - .offset:         8
        .size:           8
        .value_kind:     by_value
      - .address_space:  global
        .offset:         16
        .size:           8
        .value_kind:     global_buffer
      - .address_space:  global
        .offset:         24
        .size:           8
        .value_kind:     global_buffer
      - .offset:         32
        .size:           8
        .value_kind:     by_value
      - .offset:         40
        .size:           8
        .value_kind:     by_value
      - .address_space:  global
        .offset:         48
        .size:           8
        .value_kind:     global_buffer
      - .offset:         56
        .size:           8
        .value_kind:     by_value
      - .offset:         64
        .size:           8
        .value_kind:     by_value
      - .address_space:  global
        .offset:         72
        .size:           8
        .value_kind:     global_buffer
      - .address_space:  global
        .offset:         80
        .size:           8
        .value_kind:     global_buffer
      - .offset:         88
        .size:           8
        .value_kind:     by_value
      - .offset:         96
        .size:           8
        .value_kind:     by_value
      - .offset:         104
        .size:           4
        .value_kind:     by_value
    .group_segment_fixed_size: 2048
    .kernarg_segment_align: 8
    .kernarg_segment_size: 108
    .language:       OpenCL C
    .language_version:
      - 2
      - 0
    .max_flat_workgroup_size: 256
    .name:           _ZL29rocblas_internal_gemmt_kernelIlLi16ELi32ELi8ELc67ELc84ELc85ELb0ELb0EfPKfPKS1_PKPfEviT_T9_T10_S7_lS9_S7_lS8_T11_S7_li
    .private_segment_fixed_size: 0
    .sgpr_count:     41
    .sgpr_spill_count: 0
    .symbol:         _ZL29rocblas_internal_gemmt_kernelIlLi16ELi32ELi8ELc67ELc84ELc85ELb0ELb0EfPKfPKS1_PKPfEviT_T9_T10_S7_lS9_S7_lS8_T11_S7_li.kd
    .uniform_work_group_size: 1
    .uses_dynamic_stack: false
    .vgpr_count:     50
    .vgpr_spill_count: 0
    .wavefront_size: 64
  - .agpr_count:     0
    .args:
      - .offset:         0
        .size:           4
        .value_kind:     by_value
      - .offset:         8
        .size:           8
        .value_kind:     by_value
      - .address_space:  global
        .offset:         16
        .size:           8
        .value_kind:     global_buffer
      - .address_space:  global
        .offset:         24
        .size:           8
        .value_kind:     global_buffer
      - .offset:         32
        .size:           8
        .value_kind:     by_value
      - .offset:         40
        .size:           8
        .value_kind:     by_value
      - .address_space:  global
        .offset:         48
        .size:           8
        .value_kind:     global_buffer
      - .offset:         56
        .size:           8
        .value_kind:     by_value
      - .offset:         64
        .size:           8
        .value_kind:     by_value
      - .address_space:  global
        .offset:         72
        .size:           8
        .value_kind:     global_buffer
      - .address_space:  global
        .offset:         80
        .size:           8
        .value_kind:     global_buffer
      - .offset:         88
        .size:           8
        .value_kind:     by_value
      - .offset:         96
        .size:           8
        .value_kind:     by_value
      - .offset:         104
        .size:           4
        .value_kind:     by_value
    .group_segment_fixed_size: 2048
    .kernarg_segment_align: 8
    .kernarg_segment_size: 108
    .language:       OpenCL C
    .language_version:
      - 2
      - 0
    .max_flat_workgroup_size: 256
    .name:           _ZL29rocblas_internal_gemmt_kernelIlLi16ELi32ELi8ELc67ELc67ELc85ELb0ELb0EfPKfPKS1_PKPfEviT_T9_T10_S7_lS9_S7_lS8_T11_S7_li
    .private_segment_fixed_size: 0
    .sgpr_count:     41
    .sgpr_spill_count: 0
    .symbol:         _ZL29rocblas_internal_gemmt_kernelIlLi16ELi32ELi8ELc67ELc67ELc85ELb0ELb0EfPKfPKS1_PKPfEviT_T9_T10_S7_lS9_S7_lS8_T11_S7_li.kd
    .uniform_work_group_size: 1
    .uses_dynamic_stack: false
    .vgpr_count:     50
    .vgpr_spill_count: 0
    .wavefront_size: 64
  - .agpr_count:     0
    .args:
      - .offset:         0
        .size:           4
        .value_kind:     by_value
      - .offset:         8
        .size:           8
        .value_kind:     by_value
      - .address_space:  global
        .offset:         16
        .size:           8
        .value_kind:     global_buffer
      - .address_space:  global
        .offset:         24
        .size:           8
        .value_kind:     global_buffer
      - .offset:         32
        .size:           8
        .value_kind:     by_value
      - .offset:         40
        .size:           8
        .value_kind:     by_value
      - .address_space:  global
        .offset:         48
        .size:           8
        .value_kind:     global_buffer
      - .offset:         56
        .size:           8
        .value_kind:     by_value
      - .offset:         64
        .size:           8
        .value_kind:     by_value
      - .address_space:  global
        .offset:         72
        .size:           8
        .value_kind:     global_buffer
      - .address_space:  global
        .offset:         80
        .size:           8
        .value_kind:     global_buffer
      - .offset:         88
        .size:           8
        .value_kind:     by_value
      - .offset:         96
        .size:           8
        .value_kind:     by_value
      - .offset:         104
        .size:           4
        .value_kind:     by_value
    .group_segment_fixed_size: 2048
    .kernarg_segment_align: 8
    .kernarg_segment_size: 108
    .language:       OpenCL C
    .language_version:
      - 2
      - 0
    .max_flat_workgroup_size: 256
    .name:           _ZL29rocblas_internal_gemmt_kernelIlLi16ELi32ELi8ELc78ELc78ELc76ELb0ELb0EfPKfPKS1_PKPfEviT_T9_T10_S7_lS9_S7_lS8_T11_S7_li
    .private_segment_fixed_size: 0
    .sgpr_count:     41
    .sgpr_spill_count: 0
    .symbol:         _ZL29rocblas_internal_gemmt_kernelIlLi16ELi32ELi8ELc78ELc78ELc76ELb0ELb0EfPKfPKS1_PKPfEviT_T9_T10_S7_lS9_S7_lS8_T11_S7_li.kd
    .uniform_work_group_size: 1
    .uses_dynamic_stack: false
    .vgpr_count:     50
    .vgpr_spill_count: 0
    .wavefront_size: 64
  - .agpr_count:     0
    .args:
      - .offset:         0
        .size:           4
        .value_kind:     by_value
      - .offset:         8
        .size:           8
        .value_kind:     by_value
      - .address_space:  global
        .offset:         16
        .size:           8
        .value_kind:     global_buffer
      - .address_space:  global
        .offset:         24
        .size:           8
        .value_kind:     global_buffer
      - .offset:         32
        .size:           8
        .value_kind:     by_value
      - .offset:         40
        .size:           8
        .value_kind:     by_value
      - .address_space:  global
        .offset:         48
        .size:           8
        .value_kind:     global_buffer
      - .offset:         56
        .size:           8
        .value_kind:     by_value
      - .offset:         64
        .size:           8
        .value_kind:     by_value
      - .address_space:  global
        .offset:         72
        .size:           8
        .value_kind:     global_buffer
      - .address_space:  global
        .offset:         80
        .size:           8
        .value_kind:     global_buffer
      - .offset:         88
        .size:           8
        .value_kind:     by_value
      - .offset:         96
        .size:           8
        .value_kind:     by_value
      - .offset:         104
        .size:           4
        .value_kind:     by_value
    .group_segment_fixed_size: 2048
    .kernarg_segment_align: 8
    .kernarg_segment_size: 108
    .language:       OpenCL C
    .language_version:
      - 2
      - 0
    .max_flat_workgroup_size: 256
    .name:           _ZL29rocblas_internal_gemmt_kernelIlLi16ELi32ELi8ELc78ELc84ELc76ELb0ELb0EfPKfPKS1_PKPfEviT_T9_T10_S7_lS9_S7_lS8_T11_S7_li
    .private_segment_fixed_size: 0
    .sgpr_count:     41
    .sgpr_spill_count: 0
    .symbol:         _ZL29rocblas_internal_gemmt_kernelIlLi16ELi32ELi8ELc78ELc84ELc76ELb0ELb0EfPKfPKS1_PKPfEviT_T9_T10_S7_lS9_S7_lS8_T11_S7_li.kd
    .uniform_work_group_size: 1
    .uses_dynamic_stack: false
    .vgpr_count:     50
    .vgpr_spill_count: 0
    .wavefront_size: 64
  - .agpr_count:     0
    .args:
      - .offset:         0
        .size:           4
        .value_kind:     by_value
      - .offset:         8
        .size:           8
        .value_kind:     by_value
      - .address_space:  global
        .offset:         16
        .size:           8
        .value_kind:     global_buffer
      - .address_space:  global
        .offset:         24
        .size:           8
        .value_kind:     global_buffer
      - .offset:         32
        .size:           8
        .value_kind:     by_value
      - .offset:         40
        .size:           8
        .value_kind:     by_value
      - .address_space:  global
        .offset:         48
        .size:           8
        .value_kind:     global_buffer
      - .offset:         56
        .size:           8
        .value_kind:     by_value
      - .offset:         64
        .size:           8
        .value_kind:     by_value
      - .address_space:  global
        .offset:         72
        .size:           8
        .value_kind:     global_buffer
      - .address_space:  global
        .offset:         80
        .size:           8
        .value_kind:     global_buffer
      - .offset:         88
        .size:           8
        .value_kind:     by_value
      - .offset:         96
        .size:           8
        .value_kind:     by_value
      - .offset:         104
        .size:           4
        .value_kind:     by_value
    .group_segment_fixed_size: 2048
    .kernarg_segment_align: 8
    .kernarg_segment_size: 108
    .language:       OpenCL C
    .language_version:
      - 2
      - 0
    .max_flat_workgroup_size: 256
    .name:           _ZL29rocblas_internal_gemmt_kernelIlLi16ELi32ELi8ELc78ELc67ELc76ELb0ELb0EfPKfPKS1_PKPfEviT_T9_T10_S7_lS9_S7_lS8_T11_S7_li
    .private_segment_fixed_size: 0
    .sgpr_count:     41
    .sgpr_spill_count: 0
    .symbol:         _ZL29rocblas_internal_gemmt_kernelIlLi16ELi32ELi8ELc78ELc67ELc76ELb0ELb0EfPKfPKS1_PKPfEviT_T9_T10_S7_lS9_S7_lS8_T11_S7_li.kd
    .uniform_work_group_size: 1
    .uses_dynamic_stack: false
    .vgpr_count:     50
    .vgpr_spill_count: 0
    .wavefront_size: 64
  - .agpr_count:     0
    .args:
      - .offset:         0
        .size:           4
        .value_kind:     by_value
      - .offset:         8
        .size:           8
        .value_kind:     by_value
      - .address_space:  global
        .offset:         16
        .size:           8
        .value_kind:     global_buffer
      - .address_space:  global
        .offset:         24
        .size:           8
        .value_kind:     global_buffer
      - .offset:         32
        .size:           8
        .value_kind:     by_value
      - .offset:         40
        .size:           8
        .value_kind:     by_value
      - .address_space:  global
        .offset:         48
        .size:           8
        .value_kind:     global_buffer
      - .offset:         56
        .size:           8
        .value_kind:     by_value
      - .offset:         64
        .size:           8
        .value_kind:     by_value
      - .address_space:  global
        .offset:         72
        .size:           8
        .value_kind:     global_buffer
      - .address_space:  global
        .offset:         80
        .size:           8
        .value_kind:     global_buffer
      - .offset:         88
        .size:           8
        .value_kind:     by_value
      - .offset:         96
        .size:           8
        .value_kind:     by_value
      - .offset:         104
        .size:           4
        .value_kind:     by_value
    .group_segment_fixed_size: 2048
    .kernarg_segment_align: 8
    .kernarg_segment_size: 108
    .language:       OpenCL C
    .language_version:
      - 2
      - 0
    .max_flat_workgroup_size: 256
    .name:           _ZL29rocblas_internal_gemmt_kernelIlLi16ELi32ELi8ELc84ELc78ELc76ELb0ELb0EfPKfPKS1_PKPfEviT_T9_T10_S7_lS9_S7_lS8_T11_S7_li
    .private_segment_fixed_size: 0
    .sgpr_count:     41
    .sgpr_spill_count: 0
    .symbol:         _ZL29rocblas_internal_gemmt_kernelIlLi16ELi32ELi8ELc84ELc78ELc76ELb0ELb0EfPKfPKS1_PKPfEviT_T9_T10_S7_lS9_S7_lS8_T11_S7_li.kd
    .uniform_work_group_size: 1
    .uses_dynamic_stack: false
    .vgpr_count:     50
    .vgpr_spill_count: 0
    .wavefront_size: 64
  - .agpr_count:     0
    .args:
      - .offset:         0
        .size:           4
        .value_kind:     by_value
      - .offset:         8
        .size:           8
        .value_kind:     by_value
      - .address_space:  global
        .offset:         16
        .size:           8
        .value_kind:     global_buffer
      - .address_space:  global
        .offset:         24
        .size:           8
        .value_kind:     global_buffer
      - .offset:         32
        .size:           8
        .value_kind:     by_value
      - .offset:         40
        .size:           8
        .value_kind:     by_value
      - .address_space:  global
        .offset:         48
        .size:           8
        .value_kind:     global_buffer
      - .offset:         56
        .size:           8
        .value_kind:     by_value
      - .offset:         64
        .size:           8
        .value_kind:     by_value
      - .address_space:  global
        .offset:         72
        .size:           8
        .value_kind:     global_buffer
      - .address_space:  global
        .offset:         80
        .size:           8
        .value_kind:     global_buffer
      - .offset:         88
        .size:           8
        .value_kind:     by_value
      - .offset:         96
        .size:           8
        .value_kind:     by_value
      - .offset:         104
        .size:           4
        .value_kind:     by_value
    .group_segment_fixed_size: 2048
    .kernarg_segment_align: 8
    .kernarg_segment_size: 108
    .language:       OpenCL C
    .language_version:
      - 2
      - 0
    .max_flat_workgroup_size: 256
    .name:           _ZL29rocblas_internal_gemmt_kernelIlLi16ELi32ELi8ELc84ELc84ELc76ELb0ELb0EfPKfPKS1_PKPfEviT_T9_T10_S7_lS9_S7_lS8_T11_S7_li
    .private_segment_fixed_size: 0
    .sgpr_count:     41
    .sgpr_spill_count: 0
    .symbol:         _ZL29rocblas_internal_gemmt_kernelIlLi16ELi32ELi8ELc84ELc84ELc76ELb0ELb0EfPKfPKS1_PKPfEviT_T9_T10_S7_lS9_S7_lS8_T11_S7_li.kd
    .uniform_work_group_size: 1
    .uses_dynamic_stack: false
    .vgpr_count:     50
    .vgpr_spill_count: 0
    .wavefront_size: 64
  - .agpr_count:     0
    .args:
      - .offset:         0
        .size:           4
        .value_kind:     by_value
      - .offset:         8
        .size:           8
        .value_kind:     by_value
      - .address_space:  global
        .offset:         16
        .size:           8
        .value_kind:     global_buffer
      - .address_space:  global
        .offset:         24
        .size:           8
        .value_kind:     global_buffer
      - .offset:         32
        .size:           8
        .value_kind:     by_value
      - .offset:         40
        .size:           8
        .value_kind:     by_value
      - .address_space:  global
        .offset:         48
        .size:           8
        .value_kind:     global_buffer
      - .offset:         56
        .size:           8
        .value_kind:     by_value
      - .offset:         64
        .size:           8
        .value_kind:     by_value
      - .address_space:  global
        .offset:         72
        .size:           8
        .value_kind:     global_buffer
      - .address_space:  global
        .offset:         80
        .size:           8
        .value_kind:     global_buffer
      - .offset:         88
        .size:           8
        .value_kind:     by_value
      - .offset:         96
        .size:           8
        .value_kind:     by_value
      - .offset:         104
        .size:           4
        .value_kind:     by_value
    .group_segment_fixed_size: 2048
    .kernarg_segment_align: 8
    .kernarg_segment_size: 108
    .language:       OpenCL C
    .language_version:
      - 2
      - 0
    .max_flat_workgroup_size: 256
    .name:           _ZL29rocblas_internal_gemmt_kernelIlLi16ELi32ELi8ELc84ELc67ELc76ELb0ELb0EfPKfPKS1_PKPfEviT_T9_T10_S7_lS9_S7_lS8_T11_S7_li
    .private_segment_fixed_size: 0
    .sgpr_count:     41
    .sgpr_spill_count: 0
    .symbol:         _ZL29rocblas_internal_gemmt_kernelIlLi16ELi32ELi8ELc84ELc67ELc76ELb0ELb0EfPKfPKS1_PKPfEviT_T9_T10_S7_lS9_S7_lS8_T11_S7_li.kd
    .uniform_work_group_size: 1
    .uses_dynamic_stack: false
    .vgpr_count:     50
    .vgpr_spill_count: 0
    .wavefront_size: 64
  - .agpr_count:     0
    .args:
      - .offset:         0
        .size:           4
        .value_kind:     by_value
      - .offset:         8
        .size:           8
        .value_kind:     by_value
      - .address_space:  global
        .offset:         16
        .size:           8
        .value_kind:     global_buffer
      - .address_space:  global
        .offset:         24
        .size:           8
        .value_kind:     global_buffer
      - .offset:         32
        .size:           8
        .value_kind:     by_value
      - .offset:         40
        .size:           8
        .value_kind:     by_value
      - .address_space:  global
        .offset:         48
        .size:           8
        .value_kind:     global_buffer
      - .offset:         56
        .size:           8
        .value_kind:     by_value
      - .offset:         64
        .size:           8
        .value_kind:     by_value
      - .address_space:  global
        .offset:         72
        .size:           8
        .value_kind:     global_buffer
      - .address_space:  global
        .offset:         80
        .size:           8
        .value_kind:     global_buffer
      - .offset:         88
        .size:           8
        .value_kind:     by_value
      - .offset:         96
        .size:           8
        .value_kind:     by_value
      - .offset:         104
        .size:           4
        .value_kind:     by_value
    .group_segment_fixed_size: 2048
    .kernarg_segment_align: 8
    .kernarg_segment_size: 108
    .language:       OpenCL C
    .language_version:
      - 2
      - 0
    .max_flat_workgroup_size: 256
    .name:           _ZL29rocblas_internal_gemmt_kernelIlLi16ELi32ELi8ELc67ELc78ELc76ELb0ELb0EfPKfPKS1_PKPfEviT_T9_T10_S7_lS9_S7_lS8_T11_S7_li
    .private_segment_fixed_size: 0
    .sgpr_count:     41
    .sgpr_spill_count: 0
    .symbol:         _ZL29rocblas_internal_gemmt_kernelIlLi16ELi32ELi8ELc67ELc78ELc76ELb0ELb0EfPKfPKS1_PKPfEviT_T9_T10_S7_lS9_S7_lS8_T11_S7_li.kd
    .uniform_work_group_size: 1
    .uses_dynamic_stack: false
    .vgpr_count:     50
    .vgpr_spill_count: 0
    .wavefront_size: 64
  - .agpr_count:     0
    .args:
      - .offset:         0
        .size:           4
        .value_kind:     by_value
      - .offset:         8
        .size:           8
        .value_kind:     by_value
      - .address_space:  global
        .offset:         16
        .size:           8
        .value_kind:     global_buffer
      - .address_space:  global
        .offset:         24
        .size:           8
        .value_kind:     global_buffer
      - .offset:         32
        .size:           8
        .value_kind:     by_value
      - .offset:         40
        .size:           8
        .value_kind:     by_value
      - .address_space:  global
        .offset:         48
        .size:           8
        .value_kind:     global_buffer
      - .offset:         56
        .size:           8
        .value_kind:     by_value
      - .offset:         64
        .size:           8
        .value_kind:     by_value
      - .address_space:  global
        .offset:         72
        .size:           8
        .value_kind:     global_buffer
      - .address_space:  global
        .offset:         80
        .size:           8
        .value_kind:     global_buffer
      - .offset:         88
        .size:           8
        .value_kind:     by_value
      - .offset:         96
        .size:           8
        .value_kind:     by_value
      - .offset:         104
        .size:           4
        .value_kind:     by_value
    .group_segment_fixed_size: 2048
    .kernarg_segment_align: 8
    .kernarg_segment_size: 108
    .language:       OpenCL C
    .language_version:
      - 2
      - 0
    .max_flat_workgroup_size: 256
    .name:           _ZL29rocblas_internal_gemmt_kernelIlLi16ELi32ELi8ELc67ELc84ELc76ELb0ELb0EfPKfPKS1_PKPfEviT_T9_T10_S7_lS9_S7_lS8_T11_S7_li
    .private_segment_fixed_size: 0
    .sgpr_count:     41
    .sgpr_spill_count: 0
    .symbol:         _ZL29rocblas_internal_gemmt_kernelIlLi16ELi32ELi8ELc67ELc84ELc76ELb0ELb0EfPKfPKS1_PKPfEviT_T9_T10_S7_lS9_S7_lS8_T11_S7_li.kd
    .uniform_work_group_size: 1
    .uses_dynamic_stack: false
    .vgpr_count:     50
    .vgpr_spill_count: 0
    .wavefront_size: 64
  - .agpr_count:     0
    .args:
      - .offset:         0
        .size:           4
        .value_kind:     by_value
      - .offset:         8
        .size:           8
        .value_kind:     by_value
      - .address_space:  global
        .offset:         16
        .size:           8
        .value_kind:     global_buffer
      - .address_space:  global
        .offset:         24
        .size:           8
        .value_kind:     global_buffer
      - .offset:         32
        .size:           8
        .value_kind:     by_value
      - .offset:         40
        .size:           8
        .value_kind:     by_value
      - .address_space:  global
        .offset:         48
        .size:           8
        .value_kind:     global_buffer
      - .offset:         56
        .size:           8
        .value_kind:     by_value
      - .offset:         64
        .size:           8
        .value_kind:     by_value
      - .address_space:  global
        .offset:         72
        .size:           8
        .value_kind:     global_buffer
      - .address_space:  global
        .offset:         80
        .size:           8
        .value_kind:     global_buffer
      - .offset:         88
        .size:           8
        .value_kind:     by_value
      - .offset:         96
        .size:           8
        .value_kind:     by_value
      - .offset:         104
        .size:           4
        .value_kind:     by_value
    .group_segment_fixed_size: 2048
    .kernarg_segment_align: 8
    .kernarg_segment_size: 108
    .language:       OpenCL C
    .language_version:
      - 2
      - 0
    .max_flat_workgroup_size: 256
    .name:           _ZL29rocblas_internal_gemmt_kernelIlLi16ELi32ELi8ELc67ELc67ELc76ELb0ELb0EfPKfPKS1_PKPfEviT_T9_T10_S7_lS9_S7_lS8_T11_S7_li
    .private_segment_fixed_size: 0
    .sgpr_count:     41
    .sgpr_spill_count: 0
    .symbol:         _ZL29rocblas_internal_gemmt_kernelIlLi16ELi32ELi8ELc67ELc67ELc76ELb0ELb0EfPKfPKS1_PKPfEviT_T9_T10_S7_lS9_S7_lS8_T11_S7_li.kd
    .uniform_work_group_size: 1
    .uses_dynamic_stack: false
    .vgpr_count:     50
    .vgpr_spill_count: 0
    .wavefront_size: 64
  - .agpr_count:     0
    .args:
      - .offset:         0
        .size:           4
        .value_kind:     by_value
      - .offset:         8
        .size:           8
        .value_kind:     by_value
      - .offset:         16
        .size:           4
        .value_kind:     by_value
      - .address_space:  global
        .offset:         24
        .size:           8
        .value_kind:     global_buffer
      - .offset:         32
        .size:           8
        .value_kind:     by_value
      - .offset:         40
        .size:           8
        .value_kind:     by_value
      - .address_space:  global
        .offset:         48
        .size:           8
        .value_kind:     global_buffer
      - .offset:         56
        .size:           8
        .value_kind:     by_value
      - .offset:         64
        .size:           8
        .value_kind:     by_value
      - .offset:         72
        .size:           4
        .value_kind:     by_value
      - .address_space:  global
        .offset:         80
        .size:           8
        .value_kind:     global_buffer
      - .offset:         88
        .size:           8
        .value_kind:     by_value
      - .offset:         96
        .size:           8
        .value_kind:     by_value
      - .offset:         104
        .size:           4
        .value_kind:     by_value
    .group_segment_fixed_size: 2048
    .kernarg_segment_align: 8
    .kernarg_segment_size: 108
    .language:       OpenCL C
    .language_version:
      - 2
      - 0
    .max_flat_workgroup_size: 256
    .name:           _ZL29rocblas_internal_gemmt_kernelIlLi16ELi32ELi8ELc78ELc78ELc85ELb0ELb0EffPKPKfPKPfEviT_T9_T10_S7_lS9_S7_lS8_T11_S7_li
    .private_segment_fixed_size: 0
    .sgpr_count:     37
    .sgpr_spill_count: 0
    .symbol:         _ZL29rocblas_internal_gemmt_kernelIlLi16ELi32ELi8ELc78ELc78ELc85ELb0ELb0EffPKPKfPKPfEviT_T9_T10_S7_lS9_S7_lS8_T11_S7_li.kd
    .uniform_work_group_size: 1
    .uses_dynamic_stack: false
    .vgpr_count:     50
    .vgpr_spill_count: 0
    .wavefront_size: 64
  - .agpr_count:     0
    .args:
      - .offset:         0
        .size:           4
        .value_kind:     by_value
      - .offset:         8
        .size:           8
        .value_kind:     by_value
      - .offset:         16
        .size:           4
        .value_kind:     by_value
      - .address_space:  global
        .offset:         24
        .size:           8
        .value_kind:     global_buffer
      - .offset:         32
        .size:           8
        .value_kind:     by_value
      - .offset:         40
        .size:           8
        .value_kind:     by_value
      - .address_space:  global
        .offset:         48
        .size:           8
        .value_kind:     global_buffer
      - .offset:         56
        .size:           8
        .value_kind:     by_value
      - .offset:         64
        .size:           8
        .value_kind:     by_value
      - .offset:         72
        .size:           4
        .value_kind:     by_value
      - .address_space:  global
        .offset:         80
        .size:           8
        .value_kind:     global_buffer
      - .offset:         88
        .size:           8
        .value_kind:     by_value
      - .offset:         96
        .size:           8
        .value_kind:     by_value
      - .offset:         104
        .size:           4
        .value_kind:     by_value
    .group_segment_fixed_size: 2048
    .kernarg_segment_align: 8
    .kernarg_segment_size: 108
    .language:       OpenCL C
    .language_version:
      - 2
      - 0
    .max_flat_workgroup_size: 256
    .name:           _ZL29rocblas_internal_gemmt_kernelIlLi16ELi32ELi8ELc78ELc84ELc85ELb0ELb0EffPKPKfPKPfEviT_T9_T10_S7_lS9_S7_lS8_T11_S7_li
    .private_segment_fixed_size: 0
    .sgpr_count:     37
    .sgpr_spill_count: 0
    .symbol:         _ZL29rocblas_internal_gemmt_kernelIlLi16ELi32ELi8ELc78ELc84ELc85ELb0ELb0EffPKPKfPKPfEviT_T9_T10_S7_lS9_S7_lS8_T11_S7_li.kd
    .uniform_work_group_size: 1
    .uses_dynamic_stack: false
    .vgpr_count:     50
    .vgpr_spill_count: 0
    .wavefront_size: 64
  - .agpr_count:     0
    .args:
      - .offset:         0
        .size:           4
        .value_kind:     by_value
      - .offset:         8
        .size:           8
        .value_kind:     by_value
      - .offset:         16
        .size:           4
        .value_kind:     by_value
      - .address_space:  global
        .offset:         24
        .size:           8
        .value_kind:     global_buffer
      - .offset:         32
        .size:           8
        .value_kind:     by_value
      - .offset:         40
        .size:           8
        .value_kind:     by_value
      - .address_space:  global
        .offset:         48
        .size:           8
        .value_kind:     global_buffer
      - .offset:         56
        .size:           8
        .value_kind:     by_value
      - .offset:         64
        .size:           8
        .value_kind:     by_value
      - .offset:         72
        .size:           4
        .value_kind:     by_value
      - .address_space:  global
        .offset:         80
        .size:           8
        .value_kind:     global_buffer
      - .offset:         88
        .size:           8
        .value_kind:     by_value
      - .offset:         96
        .size:           8
        .value_kind:     by_value
      - .offset:         104
        .size:           4
        .value_kind:     by_value
    .group_segment_fixed_size: 2048
    .kernarg_segment_align: 8
    .kernarg_segment_size: 108
    .language:       OpenCL C
    .language_version:
      - 2
      - 0
    .max_flat_workgroup_size: 256
    .name:           _ZL29rocblas_internal_gemmt_kernelIlLi16ELi32ELi8ELc78ELc67ELc85ELb0ELb0EffPKPKfPKPfEviT_T9_T10_S7_lS9_S7_lS8_T11_S7_li
    .private_segment_fixed_size: 0
    .sgpr_count:     37
    .sgpr_spill_count: 0
    .symbol:         _ZL29rocblas_internal_gemmt_kernelIlLi16ELi32ELi8ELc78ELc67ELc85ELb0ELb0EffPKPKfPKPfEviT_T9_T10_S7_lS9_S7_lS8_T11_S7_li.kd
    .uniform_work_group_size: 1
    .uses_dynamic_stack: false
    .vgpr_count:     50
    .vgpr_spill_count: 0
    .wavefront_size: 64
  - .agpr_count:     0
    .args:
      - .offset:         0
        .size:           4
        .value_kind:     by_value
      - .offset:         8
        .size:           8
        .value_kind:     by_value
      - .offset:         16
        .size:           4
        .value_kind:     by_value
      - .address_space:  global
        .offset:         24
        .size:           8
        .value_kind:     global_buffer
      - .offset:         32
        .size:           8
        .value_kind:     by_value
      - .offset:         40
        .size:           8
        .value_kind:     by_value
      - .address_space:  global
        .offset:         48
        .size:           8
        .value_kind:     global_buffer
      - .offset:         56
        .size:           8
        .value_kind:     by_value
      - .offset:         64
        .size:           8
        .value_kind:     by_value
      - .offset:         72
        .size:           4
        .value_kind:     by_value
      - .address_space:  global
        .offset:         80
        .size:           8
        .value_kind:     global_buffer
      - .offset:         88
        .size:           8
        .value_kind:     by_value
      - .offset:         96
        .size:           8
        .value_kind:     by_value
      - .offset:         104
        .size:           4
        .value_kind:     by_value
    .group_segment_fixed_size: 2048
    .kernarg_segment_align: 8
    .kernarg_segment_size: 108
    .language:       OpenCL C
    .language_version:
      - 2
      - 0
    .max_flat_workgroup_size: 256
    .name:           _ZL29rocblas_internal_gemmt_kernelIlLi16ELi32ELi8ELc84ELc78ELc85ELb0ELb0EffPKPKfPKPfEviT_T9_T10_S7_lS9_S7_lS8_T11_S7_li
    .private_segment_fixed_size: 0
    .sgpr_count:     37
    .sgpr_spill_count: 0
    .symbol:         _ZL29rocblas_internal_gemmt_kernelIlLi16ELi32ELi8ELc84ELc78ELc85ELb0ELb0EffPKPKfPKPfEviT_T9_T10_S7_lS9_S7_lS8_T11_S7_li.kd
    .uniform_work_group_size: 1
    .uses_dynamic_stack: false
    .vgpr_count:     50
    .vgpr_spill_count: 0
    .wavefront_size: 64
  - .agpr_count:     0
    .args:
      - .offset:         0
        .size:           4
        .value_kind:     by_value
      - .offset:         8
        .size:           8
        .value_kind:     by_value
      - .offset:         16
        .size:           4
        .value_kind:     by_value
      - .address_space:  global
        .offset:         24
        .size:           8
        .value_kind:     global_buffer
      - .offset:         32
        .size:           8
        .value_kind:     by_value
      - .offset:         40
        .size:           8
        .value_kind:     by_value
      - .address_space:  global
        .offset:         48
        .size:           8
        .value_kind:     global_buffer
      - .offset:         56
        .size:           8
        .value_kind:     by_value
      - .offset:         64
        .size:           8
        .value_kind:     by_value
      - .offset:         72
        .size:           4
        .value_kind:     by_value
      - .address_space:  global
        .offset:         80
        .size:           8
        .value_kind:     global_buffer
      - .offset:         88
        .size:           8
        .value_kind:     by_value
      - .offset:         96
        .size:           8
        .value_kind:     by_value
      - .offset:         104
        .size:           4
        .value_kind:     by_value
    .group_segment_fixed_size: 2048
    .kernarg_segment_align: 8
    .kernarg_segment_size: 108
    .language:       OpenCL C
    .language_version:
      - 2
      - 0
    .max_flat_workgroup_size: 256
    .name:           _ZL29rocblas_internal_gemmt_kernelIlLi16ELi32ELi8ELc84ELc84ELc85ELb0ELb0EffPKPKfPKPfEviT_T9_T10_S7_lS9_S7_lS8_T11_S7_li
    .private_segment_fixed_size: 0
    .sgpr_count:     37
    .sgpr_spill_count: 0
    .symbol:         _ZL29rocblas_internal_gemmt_kernelIlLi16ELi32ELi8ELc84ELc84ELc85ELb0ELb0EffPKPKfPKPfEviT_T9_T10_S7_lS9_S7_lS8_T11_S7_li.kd
    .uniform_work_group_size: 1
    .uses_dynamic_stack: false
    .vgpr_count:     50
    .vgpr_spill_count: 0
    .wavefront_size: 64
  - .agpr_count:     0
    .args:
      - .offset:         0
        .size:           4
        .value_kind:     by_value
      - .offset:         8
        .size:           8
        .value_kind:     by_value
      - .offset:         16
        .size:           4
        .value_kind:     by_value
      - .address_space:  global
        .offset:         24
        .size:           8
        .value_kind:     global_buffer
      - .offset:         32
        .size:           8
        .value_kind:     by_value
      - .offset:         40
        .size:           8
        .value_kind:     by_value
      - .address_space:  global
        .offset:         48
        .size:           8
        .value_kind:     global_buffer
      - .offset:         56
        .size:           8
        .value_kind:     by_value
      - .offset:         64
        .size:           8
        .value_kind:     by_value
      - .offset:         72
        .size:           4
        .value_kind:     by_value
      - .address_space:  global
        .offset:         80
        .size:           8
        .value_kind:     global_buffer
      - .offset:         88
        .size:           8
        .value_kind:     by_value
      - .offset:         96
        .size:           8
        .value_kind:     by_value
      - .offset:         104
        .size:           4
        .value_kind:     by_value
    .group_segment_fixed_size: 2048
    .kernarg_segment_align: 8
    .kernarg_segment_size: 108
    .language:       OpenCL C
    .language_version:
      - 2
      - 0
    .max_flat_workgroup_size: 256
    .name:           _ZL29rocblas_internal_gemmt_kernelIlLi16ELi32ELi8ELc84ELc67ELc85ELb0ELb0EffPKPKfPKPfEviT_T9_T10_S7_lS9_S7_lS8_T11_S7_li
    .private_segment_fixed_size: 0
    .sgpr_count:     37
    .sgpr_spill_count: 0
    .symbol:         _ZL29rocblas_internal_gemmt_kernelIlLi16ELi32ELi8ELc84ELc67ELc85ELb0ELb0EffPKPKfPKPfEviT_T9_T10_S7_lS9_S7_lS8_T11_S7_li.kd
    .uniform_work_group_size: 1
    .uses_dynamic_stack: false
    .vgpr_count:     50
    .vgpr_spill_count: 0
    .wavefront_size: 64
  - .agpr_count:     0
    .args:
      - .offset:         0
        .size:           4
        .value_kind:     by_value
      - .offset:         8
        .size:           8
        .value_kind:     by_value
      - .offset:         16
        .size:           4
        .value_kind:     by_value
      - .address_space:  global
        .offset:         24
        .size:           8
        .value_kind:     global_buffer
      - .offset:         32
        .size:           8
        .value_kind:     by_value
      - .offset:         40
        .size:           8
        .value_kind:     by_value
      - .address_space:  global
        .offset:         48
        .size:           8
        .value_kind:     global_buffer
      - .offset:         56
        .size:           8
        .value_kind:     by_value
      - .offset:         64
        .size:           8
        .value_kind:     by_value
      - .offset:         72
        .size:           4
        .value_kind:     by_value
      - .address_space:  global
        .offset:         80
        .size:           8
        .value_kind:     global_buffer
      - .offset:         88
        .size:           8
        .value_kind:     by_value
      - .offset:         96
        .size:           8
        .value_kind:     by_value
      - .offset:         104
        .size:           4
        .value_kind:     by_value
    .group_segment_fixed_size: 2048
    .kernarg_segment_align: 8
    .kernarg_segment_size: 108
    .language:       OpenCL C
    .language_version:
      - 2
      - 0
    .max_flat_workgroup_size: 256
    .name:           _ZL29rocblas_internal_gemmt_kernelIlLi16ELi32ELi8ELc67ELc78ELc85ELb0ELb0EffPKPKfPKPfEviT_T9_T10_S7_lS9_S7_lS8_T11_S7_li
    .private_segment_fixed_size: 0
    .sgpr_count:     37
    .sgpr_spill_count: 0
    .symbol:         _ZL29rocblas_internal_gemmt_kernelIlLi16ELi32ELi8ELc67ELc78ELc85ELb0ELb0EffPKPKfPKPfEviT_T9_T10_S7_lS9_S7_lS8_T11_S7_li.kd
    .uniform_work_group_size: 1
    .uses_dynamic_stack: false
    .vgpr_count:     50
    .vgpr_spill_count: 0
    .wavefront_size: 64
  - .agpr_count:     0
    .args:
      - .offset:         0
        .size:           4
        .value_kind:     by_value
      - .offset:         8
        .size:           8
        .value_kind:     by_value
      - .offset:         16
        .size:           4
        .value_kind:     by_value
      - .address_space:  global
        .offset:         24
        .size:           8
        .value_kind:     global_buffer
      - .offset:         32
        .size:           8
        .value_kind:     by_value
      - .offset:         40
        .size:           8
        .value_kind:     by_value
      - .address_space:  global
        .offset:         48
        .size:           8
        .value_kind:     global_buffer
      - .offset:         56
        .size:           8
        .value_kind:     by_value
      - .offset:         64
        .size:           8
        .value_kind:     by_value
      - .offset:         72
        .size:           4
        .value_kind:     by_value
      - .address_space:  global
        .offset:         80
        .size:           8
        .value_kind:     global_buffer
      - .offset:         88
        .size:           8
        .value_kind:     by_value
      - .offset:         96
        .size:           8
        .value_kind:     by_value
      - .offset:         104
        .size:           4
        .value_kind:     by_value
    .group_segment_fixed_size: 2048
    .kernarg_segment_align: 8
    .kernarg_segment_size: 108
    .language:       OpenCL C
    .language_version:
      - 2
      - 0
    .max_flat_workgroup_size: 256
    .name:           _ZL29rocblas_internal_gemmt_kernelIlLi16ELi32ELi8ELc67ELc84ELc85ELb0ELb0EffPKPKfPKPfEviT_T9_T10_S7_lS9_S7_lS8_T11_S7_li
    .private_segment_fixed_size: 0
    .sgpr_count:     37
    .sgpr_spill_count: 0
    .symbol:         _ZL29rocblas_internal_gemmt_kernelIlLi16ELi32ELi8ELc67ELc84ELc85ELb0ELb0EffPKPKfPKPfEviT_T9_T10_S7_lS9_S7_lS8_T11_S7_li.kd
    .uniform_work_group_size: 1
    .uses_dynamic_stack: false
    .vgpr_count:     50
    .vgpr_spill_count: 0
    .wavefront_size: 64
  - .agpr_count:     0
    .args:
      - .offset:         0
        .size:           4
        .value_kind:     by_value
      - .offset:         8
        .size:           8
        .value_kind:     by_value
      - .offset:         16
        .size:           4
        .value_kind:     by_value
      - .address_space:  global
        .offset:         24
        .size:           8
        .value_kind:     global_buffer
      - .offset:         32
        .size:           8
        .value_kind:     by_value
      - .offset:         40
        .size:           8
        .value_kind:     by_value
      - .address_space:  global
        .offset:         48
        .size:           8
        .value_kind:     global_buffer
      - .offset:         56
        .size:           8
        .value_kind:     by_value
      - .offset:         64
        .size:           8
        .value_kind:     by_value
      - .offset:         72
        .size:           4
        .value_kind:     by_value
      - .address_space:  global
        .offset:         80
        .size:           8
        .value_kind:     global_buffer
      - .offset:         88
        .size:           8
        .value_kind:     by_value
      - .offset:         96
        .size:           8
        .value_kind:     by_value
      - .offset:         104
        .size:           4
        .value_kind:     by_value
    .group_segment_fixed_size: 2048
    .kernarg_segment_align: 8
    .kernarg_segment_size: 108
    .language:       OpenCL C
    .language_version:
      - 2
      - 0
    .max_flat_workgroup_size: 256
    .name:           _ZL29rocblas_internal_gemmt_kernelIlLi16ELi32ELi8ELc67ELc67ELc85ELb0ELb0EffPKPKfPKPfEviT_T9_T10_S7_lS9_S7_lS8_T11_S7_li
    .private_segment_fixed_size: 0
    .sgpr_count:     37
    .sgpr_spill_count: 0
    .symbol:         _ZL29rocblas_internal_gemmt_kernelIlLi16ELi32ELi8ELc67ELc67ELc85ELb0ELb0EffPKPKfPKPfEviT_T9_T10_S7_lS9_S7_lS8_T11_S7_li.kd
    .uniform_work_group_size: 1
    .uses_dynamic_stack: false
    .vgpr_count:     50
    .vgpr_spill_count: 0
    .wavefront_size: 64
  - .agpr_count:     0
    .args:
      - .offset:         0
        .size:           4
        .value_kind:     by_value
      - .offset:         8
        .size:           8
        .value_kind:     by_value
      - .offset:         16
        .size:           4
        .value_kind:     by_value
      - .address_space:  global
        .offset:         24
        .size:           8
        .value_kind:     global_buffer
      - .offset:         32
        .size:           8
        .value_kind:     by_value
      - .offset:         40
        .size:           8
        .value_kind:     by_value
      - .address_space:  global
        .offset:         48
        .size:           8
        .value_kind:     global_buffer
      - .offset:         56
        .size:           8
        .value_kind:     by_value
      - .offset:         64
        .size:           8
        .value_kind:     by_value
      - .offset:         72
        .size:           4
        .value_kind:     by_value
      - .address_space:  global
        .offset:         80
        .size:           8
        .value_kind:     global_buffer
      - .offset:         88
        .size:           8
        .value_kind:     by_value
      - .offset:         96
        .size:           8
        .value_kind:     by_value
      - .offset:         104
        .size:           4
        .value_kind:     by_value
    .group_segment_fixed_size: 2048
    .kernarg_segment_align: 8
    .kernarg_segment_size: 108
    .language:       OpenCL C
    .language_version:
      - 2
      - 0
    .max_flat_workgroup_size: 256
    .name:           _ZL29rocblas_internal_gemmt_kernelIlLi16ELi32ELi8ELc78ELc78ELc76ELb0ELb0EffPKPKfPKPfEviT_T9_T10_S7_lS9_S7_lS8_T11_S7_li
    .private_segment_fixed_size: 0
    .sgpr_count:     37
    .sgpr_spill_count: 0
    .symbol:         _ZL29rocblas_internal_gemmt_kernelIlLi16ELi32ELi8ELc78ELc78ELc76ELb0ELb0EffPKPKfPKPfEviT_T9_T10_S7_lS9_S7_lS8_T11_S7_li.kd
    .uniform_work_group_size: 1
    .uses_dynamic_stack: false
    .vgpr_count:     50
    .vgpr_spill_count: 0
    .wavefront_size: 64
  - .agpr_count:     0
    .args:
      - .offset:         0
        .size:           4
        .value_kind:     by_value
      - .offset:         8
        .size:           8
        .value_kind:     by_value
      - .offset:         16
        .size:           4
        .value_kind:     by_value
      - .address_space:  global
        .offset:         24
        .size:           8
        .value_kind:     global_buffer
      - .offset:         32
        .size:           8
        .value_kind:     by_value
      - .offset:         40
        .size:           8
        .value_kind:     by_value
      - .address_space:  global
        .offset:         48
        .size:           8
        .value_kind:     global_buffer
      - .offset:         56
        .size:           8
        .value_kind:     by_value
      - .offset:         64
        .size:           8
        .value_kind:     by_value
      - .offset:         72
        .size:           4
        .value_kind:     by_value
      - .address_space:  global
        .offset:         80
        .size:           8
        .value_kind:     global_buffer
      - .offset:         88
        .size:           8
        .value_kind:     by_value
      - .offset:         96
        .size:           8
        .value_kind:     by_value
      - .offset:         104
        .size:           4
        .value_kind:     by_value
    .group_segment_fixed_size: 2048
    .kernarg_segment_align: 8
    .kernarg_segment_size: 108
    .language:       OpenCL C
    .language_version:
      - 2
      - 0
    .max_flat_workgroup_size: 256
    .name:           _ZL29rocblas_internal_gemmt_kernelIlLi16ELi32ELi8ELc78ELc84ELc76ELb0ELb0EffPKPKfPKPfEviT_T9_T10_S7_lS9_S7_lS8_T11_S7_li
    .private_segment_fixed_size: 0
    .sgpr_count:     37
    .sgpr_spill_count: 0
    .symbol:         _ZL29rocblas_internal_gemmt_kernelIlLi16ELi32ELi8ELc78ELc84ELc76ELb0ELb0EffPKPKfPKPfEviT_T9_T10_S7_lS9_S7_lS8_T11_S7_li.kd
    .uniform_work_group_size: 1
    .uses_dynamic_stack: false
    .vgpr_count:     50
    .vgpr_spill_count: 0
    .wavefront_size: 64
  - .agpr_count:     0
    .args:
      - .offset:         0
        .size:           4
        .value_kind:     by_value
      - .offset:         8
        .size:           8
        .value_kind:     by_value
      - .offset:         16
        .size:           4
        .value_kind:     by_value
      - .address_space:  global
        .offset:         24
        .size:           8
        .value_kind:     global_buffer
      - .offset:         32
        .size:           8
        .value_kind:     by_value
      - .offset:         40
        .size:           8
        .value_kind:     by_value
      - .address_space:  global
        .offset:         48
        .size:           8
        .value_kind:     global_buffer
      - .offset:         56
        .size:           8
        .value_kind:     by_value
      - .offset:         64
        .size:           8
        .value_kind:     by_value
      - .offset:         72
        .size:           4
        .value_kind:     by_value
      - .address_space:  global
        .offset:         80
        .size:           8
        .value_kind:     global_buffer
      - .offset:         88
        .size:           8
        .value_kind:     by_value
      - .offset:         96
        .size:           8
        .value_kind:     by_value
      - .offset:         104
        .size:           4
        .value_kind:     by_value
    .group_segment_fixed_size: 2048
    .kernarg_segment_align: 8
    .kernarg_segment_size: 108
    .language:       OpenCL C
    .language_version:
      - 2
      - 0
    .max_flat_workgroup_size: 256
    .name:           _ZL29rocblas_internal_gemmt_kernelIlLi16ELi32ELi8ELc78ELc67ELc76ELb0ELb0EffPKPKfPKPfEviT_T9_T10_S7_lS9_S7_lS8_T11_S7_li
    .private_segment_fixed_size: 0
    .sgpr_count:     37
    .sgpr_spill_count: 0
    .symbol:         _ZL29rocblas_internal_gemmt_kernelIlLi16ELi32ELi8ELc78ELc67ELc76ELb0ELb0EffPKPKfPKPfEviT_T9_T10_S7_lS9_S7_lS8_T11_S7_li.kd
    .uniform_work_group_size: 1
    .uses_dynamic_stack: false
    .vgpr_count:     50
    .vgpr_spill_count: 0
    .wavefront_size: 64
  - .agpr_count:     0
    .args:
      - .offset:         0
        .size:           4
        .value_kind:     by_value
      - .offset:         8
        .size:           8
        .value_kind:     by_value
      - .offset:         16
        .size:           4
        .value_kind:     by_value
      - .address_space:  global
        .offset:         24
        .size:           8
        .value_kind:     global_buffer
      - .offset:         32
        .size:           8
        .value_kind:     by_value
      - .offset:         40
        .size:           8
        .value_kind:     by_value
      - .address_space:  global
        .offset:         48
        .size:           8
        .value_kind:     global_buffer
      - .offset:         56
        .size:           8
        .value_kind:     by_value
      - .offset:         64
        .size:           8
        .value_kind:     by_value
      - .offset:         72
        .size:           4
        .value_kind:     by_value
      - .address_space:  global
        .offset:         80
        .size:           8
        .value_kind:     global_buffer
      - .offset:         88
        .size:           8
        .value_kind:     by_value
      - .offset:         96
        .size:           8
        .value_kind:     by_value
      - .offset:         104
        .size:           4
        .value_kind:     by_value
    .group_segment_fixed_size: 2048
    .kernarg_segment_align: 8
    .kernarg_segment_size: 108
    .language:       OpenCL C
    .language_version:
      - 2
      - 0
    .max_flat_workgroup_size: 256
    .name:           _ZL29rocblas_internal_gemmt_kernelIlLi16ELi32ELi8ELc84ELc78ELc76ELb0ELb0EffPKPKfPKPfEviT_T9_T10_S7_lS9_S7_lS8_T11_S7_li
    .private_segment_fixed_size: 0
    .sgpr_count:     37
    .sgpr_spill_count: 0
    .symbol:         _ZL29rocblas_internal_gemmt_kernelIlLi16ELi32ELi8ELc84ELc78ELc76ELb0ELb0EffPKPKfPKPfEviT_T9_T10_S7_lS9_S7_lS8_T11_S7_li.kd
    .uniform_work_group_size: 1
    .uses_dynamic_stack: false
    .vgpr_count:     50
    .vgpr_spill_count: 0
    .wavefront_size: 64
  - .agpr_count:     0
    .args:
      - .offset:         0
        .size:           4
        .value_kind:     by_value
      - .offset:         8
        .size:           8
        .value_kind:     by_value
      - .offset:         16
        .size:           4
        .value_kind:     by_value
      - .address_space:  global
        .offset:         24
        .size:           8
        .value_kind:     global_buffer
      - .offset:         32
        .size:           8
        .value_kind:     by_value
      - .offset:         40
        .size:           8
        .value_kind:     by_value
      - .address_space:  global
        .offset:         48
        .size:           8
        .value_kind:     global_buffer
      - .offset:         56
        .size:           8
        .value_kind:     by_value
      - .offset:         64
        .size:           8
        .value_kind:     by_value
      - .offset:         72
        .size:           4
        .value_kind:     by_value
      - .address_space:  global
        .offset:         80
        .size:           8
        .value_kind:     global_buffer
      - .offset:         88
        .size:           8
        .value_kind:     by_value
      - .offset:         96
        .size:           8
        .value_kind:     by_value
      - .offset:         104
        .size:           4
        .value_kind:     by_value
    .group_segment_fixed_size: 2048
    .kernarg_segment_align: 8
    .kernarg_segment_size: 108
    .language:       OpenCL C
    .language_version:
      - 2
      - 0
    .max_flat_workgroup_size: 256
    .name:           _ZL29rocblas_internal_gemmt_kernelIlLi16ELi32ELi8ELc84ELc84ELc76ELb0ELb0EffPKPKfPKPfEviT_T9_T10_S7_lS9_S7_lS8_T11_S7_li
    .private_segment_fixed_size: 0
    .sgpr_count:     37
    .sgpr_spill_count: 0
    .symbol:         _ZL29rocblas_internal_gemmt_kernelIlLi16ELi32ELi8ELc84ELc84ELc76ELb0ELb0EffPKPKfPKPfEviT_T9_T10_S7_lS9_S7_lS8_T11_S7_li.kd
    .uniform_work_group_size: 1
    .uses_dynamic_stack: false
    .vgpr_count:     50
    .vgpr_spill_count: 0
    .wavefront_size: 64
  - .agpr_count:     0
    .args:
      - .offset:         0
        .size:           4
        .value_kind:     by_value
      - .offset:         8
        .size:           8
        .value_kind:     by_value
      - .offset:         16
        .size:           4
        .value_kind:     by_value
      - .address_space:  global
        .offset:         24
        .size:           8
        .value_kind:     global_buffer
      - .offset:         32
        .size:           8
        .value_kind:     by_value
      - .offset:         40
        .size:           8
        .value_kind:     by_value
      - .address_space:  global
        .offset:         48
        .size:           8
        .value_kind:     global_buffer
      - .offset:         56
        .size:           8
        .value_kind:     by_value
      - .offset:         64
        .size:           8
        .value_kind:     by_value
      - .offset:         72
        .size:           4
        .value_kind:     by_value
      - .address_space:  global
        .offset:         80
        .size:           8
        .value_kind:     global_buffer
      - .offset:         88
        .size:           8
        .value_kind:     by_value
      - .offset:         96
        .size:           8
        .value_kind:     by_value
      - .offset:         104
        .size:           4
        .value_kind:     by_value
    .group_segment_fixed_size: 2048
    .kernarg_segment_align: 8
    .kernarg_segment_size: 108
    .language:       OpenCL C
    .language_version:
      - 2
      - 0
    .max_flat_workgroup_size: 256
    .name:           _ZL29rocblas_internal_gemmt_kernelIlLi16ELi32ELi8ELc84ELc67ELc76ELb0ELb0EffPKPKfPKPfEviT_T9_T10_S7_lS9_S7_lS8_T11_S7_li
    .private_segment_fixed_size: 0
    .sgpr_count:     37
    .sgpr_spill_count: 0
    .symbol:         _ZL29rocblas_internal_gemmt_kernelIlLi16ELi32ELi8ELc84ELc67ELc76ELb0ELb0EffPKPKfPKPfEviT_T9_T10_S7_lS9_S7_lS8_T11_S7_li.kd
    .uniform_work_group_size: 1
    .uses_dynamic_stack: false
    .vgpr_count:     50
    .vgpr_spill_count: 0
    .wavefront_size: 64
  - .agpr_count:     0
    .args:
      - .offset:         0
        .size:           4
        .value_kind:     by_value
      - .offset:         8
        .size:           8
        .value_kind:     by_value
      - .offset:         16
        .size:           4
        .value_kind:     by_value
      - .address_space:  global
        .offset:         24
        .size:           8
        .value_kind:     global_buffer
      - .offset:         32
        .size:           8
        .value_kind:     by_value
      - .offset:         40
        .size:           8
        .value_kind:     by_value
      - .address_space:  global
        .offset:         48
        .size:           8
        .value_kind:     global_buffer
      - .offset:         56
        .size:           8
        .value_kind:     by_value
      - .offset:         64
        .size:           8
        .value_kind:     by_value
      - .offset:         72
        .size:           4
        .value_kind:     by_value
      - .address_space:  global
        .offset:         80
        .size:           8
        .value_kind:     global_buffer
      - .offset:         88
        .size:           8
        .value_kind:     by_value
      - .offset:         96
        .size:           8
        .value_kind:     by_value
      - .offset:         104
        .size:           4
        .value_kind:     by_value
    .group_segment_fixed_size: 2048
    .kernarg_segment_align: 8
    .kernarg_segment_size: 108
    .language:       OpenCL C
    .language_version:
      - 2
      - 0
    .max_flat_workgroup_size: 256
    .name:           _ZL29rocblas_internal_gemmt_kernelIlLi16ELi32ELi8ELc67ELc78ELc76ELb0ELb0EffPKPKfPKPfEviT_T9_T10_S7_lS9_S7_lS8_T11_S7_li
    .private_segment_fixed_size: 0
    .sgpr_count:     37
    .sgpr_spill_count: 0
    .symbol:         _ZL29rocblas_internal_gemmt_kernelIlLi16ELi32ELi8ELc67ELc78ELc76ELb0ELb0EffPKPKfPKPfEviT_T9_T10_S7_lS9_S7_lS8_T11_S7_li.kd
    .uniform_work_group_size: 1
    .uses_dynamic_stack: false
    .vgpr_count:     50
    .vgpr_spill_count: 0
    .wavefront_size: 64
  - .agpr_count:     0
    .args:
      - .offset:         0
        .size:           4
        .value_kind:     by_value
      - .offset:         8
        .size:           8
        .value_kind:     by_value
      - .offset:         16
        .size:           4
        .value_kind:     by_value
      - .address_space:  global
        .offset:         24
        .size:           8
        .value_kind:     global_buffer
      - .offset:         32
        .size:           8
        .value_kind:     by_value
      - .offset:         40
        .size:           8
        .value_kind:     by_value
      - .address_space:  global
        .offset:         48
        .size:           8
        .value_kind:     global_buffer
      - .offset:         56
        .size:           8
        .value_kind:     by_value
      - .offset:         64
        .size:           8
        .value_kind:     by_value
      - .offset:         72
        .size:           4
        .value_kind:     by_value
      - .address_space:  global
        .offset:         80
        .size:           8
        .value_kind:     global_buffer
      - .offset:         88
        .size:           8
        .value_kind:     by_value
      - .offset:         96
        .size:           8
        .value_kind:     by_value
      - .offset:         104
        .size:           4
        .value_kind:     by_value
    .group_segment_fixed_size: 2048
    .kernarg_segment_align: 8
    .kernarg_segment_size: 108
    .language:       OpenCL C
    .language_version:
      - 2
      - 0
    .max_flat_workgroup_size: 256
    .name:           _ZL29rocblas_internal_gemmt_kernelIlLi16ELi32ELi8ELc67ELc84ELc76ELb0ELb0EffPKPKfPKPfEviT_T9_T10_S7_lS9_S7_lS8_T11_S7_li
    .private_segment_fixed_size: 0
    .sgpr_count:     37
    .sgpr_spill_count: 0
    .symbol:         _ZL29rocblas_internal_gemmt_kernelIlLi16ELi32ELi8ELc67ELc84ELc76ELb0ELb0EffPKPKfPKPfEviT_T9_T10_S7_lS9_S7_lS8_T11_S7_li.kd
    .uniform_work_group_size: 1
    .uses_dynamic_stack: false
    .vgpr_count:     50
    .vgpr_spill_count: 0
    .wavefront_size: 64
  - .agpr_count:     0
    .args:
      - .offset:         0
        .size:           4
        .value_kind:     by_value
      - .offset:         8
        .size:           8
        .value_kind:     by_value
      - .offset:         16
        .size:           4
        .value_kind:     by_value
      - .address_space:  global
        .offset:         24
        .size:           8
        .value_kind:     global_buffer
      - .offset:         32
        .size:           8
        .value_kind:     by_value
      - .offset:         40
        .size:           8
        .value_kind:     by_value
      - .address_space:  global
        .offset:         48
        .size:           8
        .value_kind:     global_buffer
      - .offset:         56
        .size:           8
        .value_kind:     by_value
      - .offset:         64
        .size:           8
        .value_kind:     by_value
      - .offset:         72
        .size:           4
        .value_kind:     by_value
      - .address_space:  global
        .offset:         80
        .size:           8
        .value_kind:     global_buffer
      - .offset:         88
        .size:           8
        .value_kind:     by_value
      - .offset:         96
        .size:           8
        .value_kind:     by_value
      - .offset:         104
        .size:           4
        .value_kind:     by_value
    .group_segment_fixed_size: 2048
    .kernarg_segment_align: 8
    .kernarg_segment_size: 108
    .language:       OpenCL C
    .language_version:
      - 2
      - 0
    .max_flat_workgroup_size: 256
    .name:           _ZL29rocblas_internal_gemmt_kernelIlLi16ELi32ELi8ELc67ELc67ELc76ELb0ELb0EffPKPKfPKPfEviT_T9_T10_S7_lS9_S7_lS8_T11_S7_li
    .private_segment_fixed_size: 0
    .sgpr_count:     37
    .sgpr_spill_count: 0
    .symbol:         _ZL29rocblas_internal_gemmt_kernelIlLi16ELi32ELi8ELc67ELc67ELc76ELb0ELb0EffPKPKfPKPfEviT_T9_T10_S7_lS9_S7_lS8_T11_S7_li.kd
    .uniform_work_group_size: 1
    .uses_dynamic_stack: false
    .vgpr_count:     50
    .vgpr_spill_count: 0
    .wavefront_size: 64
  - .agpr_count:     0
    .args:
      - .offset:         0
        .size:           4
        .value_kind:     by_value
      - .offset:         8
        .size:           8
        .value_kind:     by_value
      - .address_space:  global
        .offset:         16
        .size:           8
        .value_kind:     global_buffer
      - .address_space:  global
        .offset:         24
        .size:           8
        .value_kind:     global_buffer
      - .offset:         32
        .size:           8
        .value_kind:     by_value
      - .offset:         40
        .size:           8
        .value_kind:     by_value
      - .address_space:  global
        .offset:         48
        .size:           8
        .value_kind:     global_buffer
      - .offset:         56
        .size:           8
        .value_kind:     by_value
      - .offset:         64
        .size:           8
        .value_kind:     by_value
      - .address_space:  global
        .offset:         72
        .size:           8
        .value_kind:     global_buffer
      - .address_space:  global
        .offset:         80
        .size:           8
        .value_kind:     global_buffer
      - .offset:         88
        .size:           8
        .value_kind:     by_value
      - .offset:         96
        .size:           8
        .value_kind:     by_value
      - .offset:         104
        .size:           4
        .value_kind:     by_value
    .group_segment_fixed_size: 4096
    .kernarg_segment_align: 8
    .kernarg_segment_size: 108
    .language:       OpenCL C
    .language_version:
      - 2
      - 0
    .max_flat_workgroup_size: 256
    .name:           _ZL29rocblas_internal_gemmt_kernelIlLi16ELi32ELi8ELc78ELc78ELc85ELb0ELb0EdPKdPKS1_PKPdEviT_T9_T10_S7_lS9_S7_lS8_T11_S7_li
    .private_segment_fixed_size: 0
    .sgpr_count:     42
    .sgpr_spill_count: 0
    .symbol:         _ZL29rocblas_internal_gemmt_kernelIlLi16ELi32ELi8ELc78ELc78ELc85ELb0ELb0EdPKdPKS1_PKPdEviT_T9_T10_S7_lS9_S7_lS8_T11_S7_li.kd
    .uniform_work_group_size: 1
    .uses_dynamic_stack: false
    .vgpr_count:     54
    .vgpr_spill_count: 0
    .wavefront_size: 64
  - .agpr_count:     0
    .args:
      - .offset:         0
        .size:           4
        .value_kind:     by_value
      - .offset:         8
        .size:           8
        .value_kind:     by_value
      - .address_space:  global
        .offset:         16
        .size:           8
        .value_kind:     global_buffer
      - .address_space:  global
        .offset:         24
        .size:           8
        .value_kind:     global_buffer
      - .offset:         32
        .size:           8
        .value_kind:     by_value
      - .offset:         40
        .size:           8
        .value_kind:     by_value
      - .address_space:  global
        .offset:         48
        .size:           8
        .value_kind:     global_buffer
      - .offset:         56
        .size:           8
        .value_kind:     by_value
      - .offset:         64
        .size:           8
        .value_kind:     by_value
      - .address_space:  global
        .offset:         72
        .size:           8
        .value_kind:     global_buffer
      - .address_space:  global
        .offset:         80
        .size:           8
        .value_kind:     global_buffer
      - .offset:         88
        .size:           8
        .value_kind:     by_value
      - .offset:         96
        .size:           8
        .value_kind:     by_value
      - .offset:         104
        .size:           4
        .value_kind:     by_value
    .group_segment_fixed_size: 4096
    .kernarg_segment_align: 8
    .kernarg_segment_size: 108
    .language:       OpenCL C
    .language_version:
      - 2
      - 0
    .max_flat_workgroup_size: 256
    .name:           _ZL29rocblas_internal_gemmt_kernelIlLi16ELi32ELi8ELc78ELc84ELc85ELb0ELb0EdPKdPKS1_PKPdEviT_T9_T10_S7_lS9_S7_lS8_T11_S7_li
    .private_segment_fixed_size: 0
    .sgpr_count:     42
    .sgpr_spill_count: 0
    .symbol:         _ZL29rocblas_internal_gemmt_kernelIlLi16ELi32ELi8ELc78ELc84ELc85ELb0ELb0EdPKdPKS1_PKPdEviT_T9_T10_S7_lS9_S7_lS8_T11_S7_li.kd
    .uniform_work_group_size: 1
    .uses_dynamic_stack: false
    .vgpr_count:     54
    .vgpr_spill_count: 0
    .wavefront_size: 64
  - .agpr_count:     0
    .args:
      - .offset:         0
        .size:           4
        .value_kind:     by_value
      - .offset:         8
        .size:           8
        .value_kind:     by_value
      - .address_space:  global
        .offset:         16
        .size:           8
        .value_kind:     global_buffer
      - .address_space:  global
        .offset:         24
        .size:           8
        .value_kind:     global_buffer
      - .offset:         32
        .size:           8
        .value_kind:     by_value
      - .offset:         40
        .size:           8
        .value_kind:     by_value
      - .address_space:  global
        .offset:         48
        .size:           8
        .value_kind:     global_buffer
      - .offset:         56
        .size:           8
        .value_kind:     by_value
      - .offset:         64
        .size:           8
        .value_kind:     by_value
      - .address_space:  global
        .offset:         72
        .size:           8
        .value_kind:     global_buffer
      - .address_space:  global
        .offset:         80
        .size:           8
        .value_kind:     global_buffer
      - .offset:         88
        .size:           8
        .value_kind:     by_value
      - .offset:         96
        .size:           8
        .value_kind:     by_value
      - .offset:         104
        .size:           4
        .value_kind:     by_value
    .group_segment_fixed_size: 4096
    .kernarg_segment_align: 8
    .kernarg_segment_size: 108
    .language:       OpenCL C
    .language_version:
      - 2
      - 0
    .max_flat_workgroup_size: 256
    .name:           _ZL29rocblas_internal_gemmt_kernelIlLi16ELi32ELi8ELc78ELc67ELc85ELb0ELb0EdPKdPKS1_PKPdEviT_T9_T10_S7_lS9_S7_lS8_T11_S7_li
    .private_segment_fixed_size: 0
    .sgpr_count:     42
    .sgpr_spill_count: 0
    .symbol:         _ZL29rocblas_internal_gemmt_kernelIlLi16ELi32ELi8ELc78ELc67ELc85ELb0ELb0EdPKdPKS1_PKPdEviT_T9_T10_S7_lS9_S7_lS8_T11_S7_li.kd
    .uniform_work_group_size: 1
    .uses_dynamic_stack: false
    .vgpr_count:     54
    .vgpr_spill_count: 0
    .wavefront_size: 64
  - .agpr_count:     0
    .args:
      - .offset:         0
        .size:           4
        .value_kind:     by_value
      - .offset:         8
        .size:           8
        .value_kind:     by_value
      - .address_space:  global
        .offset:         16
        .size:           8
        .value_kind:     global_buffer
      - .address_space:  global
        .offset:         24
        .size:           8
        .value_kind:     global_buffer
      - .offset:         32
        .size:           8
        .value_kind:     by_value
      - .offset:         40
        .size:           8
        .value_kind:     by_value
      - .address_space:  global
        .offset:         48
        .size:           8
        .value_kind:     global_buffer
      - .offset:         56
        .size:           8
        .value_kind:     by_value
      - .offset:         64
        .size:           8
        .value_kind:     by_value
      - .address_space:  global
        .offset:         72
        .size:           8
        .value_kind:     global_buffer
      - .address_space:  global
        .offset:         80
        .size:           8
        .value_kind:     global_buffer
      - .offset:         88
        .size:           8
        .value_kind:     by_value
      - .offset:         96
        .size:           8
        .value_kind:     by_value
      - .offset:         104
        .size:           4
        .value_kind:     by_value
    .group_segment_fixed_size: 4096
    .kernarg_segment_align: 8
    .kernarg_segment_size: 108
    .language:       OpenCL C
    .language_version:
      - 2
      - 0
    .max_flat_workgroup_size: 256
    .name:           _ZL29rocblas_internal_gemmt_kernelIlLi16ELi32ELi8ELc84ELc78ELc85ELb0ELb0EdPKdPKS1_PKPdEviT_T9_T10_S7_lS9_S7_lS8_T11_S7_li
    .private_segment_fixed_size: 0
    .sgpr_count:     42
    .sgpr_spill_count: 0
    .symbol:         _ZL29rocblas_internal_gemmt_kernelIlLi16ELi32ELi8ELc84ELc78ELc85ELb0ELb0EdPKdPKS1_PKPdEviT_T9_T10_S7_lS9_S7_lS8_T11_S7_li.kd
    .uniform_work_group_size: 1
    .uses_dynamic_stack: false
    .vgpr_count:     54
    .vgpr_spill_count: 0
    .wavefront_size: 64
  - .agpr_count:     0
    .args:
      - .offset:         0
        .size:           4
        .value_kind:     by_value
      - .offset:         8
        .size:           8
        .value_kind:     by_value
      - .address_space:  global
        .offset:         16
        .size:           8
        .value_kind:     global_buffer
      - .address_space:  global
        .offset:         24
        .size:           8
        .value_kind:     global_buffer
      - .offset:         32
        .size:           8
        .value_kind:     by_value
      - .offset:         40
        .size:           8
        .value_kind:     by_value
      - .address_space:  global
        .offset:         48
        .size:           8
        .value_kind:     global_buffer
      - .offset:         56
        .size:           8
        .value_kind:     by_value
      - .offset:         64
        .size:           8
        .value_kind:     by_value
      - .address_space:  global
        .offset:         72
        .size:           8
        .value_kind:     global_buffer
      - .address_space:  global
        .offset:         80
        .size:           8
        .value_kind:     global_buffer
      - .offset:         88
        .size:           8
        .value_kind:     by_value
      - .offset:         96
        .size:           8
        .value_kind:     by_value
      - .offset:         104
        .size:           4
        .value_kind:     by_value
    .group_segment_fixed_size: 4096
    .kernarg_segment_align: 8
    .kernarg_segment_size: 108
    .language:       OpenCL C
    .language_version:
      - 2
      - 0
    .max_flat_workgroup_size: 256
    .name:           _ZL29rocblas_internal_gemmt_kernelIlLi16ELi32ELi8ELc84ELc84ELc85ELb0ELb0EdPKdPKS1_PKPdEviT_T9_T10_S7_lS9_S7_lS8_T11_S7_li
    .private_segment_fixed_size: 0
    .sgpr_count:     42
    .sgpr_spill_count: 0
    .symbol:         _ZL29rocblas_internal_gemmt_kernelIlLi16ELi32ELi8ELc84ELc84ELc85ELb0ELb0EdPKdPKS1_PKPdEviT_T9_T10_S7_lS9_S7_lS8_T11_S7_li.kd
    .uniform_work_group_size: 1
    .uses_dynamic_stack: false
    .vgpr_count:     54
    .vgpr_spill_count: 0
    .wavefront_size: 64
  - .agpr_count:     0
    .args:
      - .offset:         0
        .size:           4
        .value_kind:     by_value
      - .offset:         8
        .size:           8
        .value_kind:     by_value
      - .address_space:  global
        .offset:         16
        .size:           8
        .value_kind:     global_buffer
      - .address_space:  global
        .offset:         24
        .size:           8
        .value_kind:     global_buffer
      - .offset:         32
        .size:           8
        .value_kind:     by_value
      - .offset:         40
        .size:           8
        .value_kind:     by_value
      - .address_space:  global
        .offset:         48
        .size:           8
        .value_kind:     global_buffer
      - .offset:         56
        .size:           8
        .value_kind:     by_value
      - .offset:         64
        .size:           8
        .value_kind:     by_value
      - .address_space:  global
        .offset:         72
        .size:           8
        .value_kind:     global_buffer
      - .address_space:  global
        .offset:         80
        .size:           8
        .value_kind:     global_buffer
      - .offset:         88
        .size:           8
        .value_kind:     by_value
      - .offset:         96
        .size:           8
        .value_kind:     by_value
      - .offset:         104
        .size:           4
        .value_kind:     by_value
    .group_segment_fixed_size: 4096
    .kernarg_segment_align: 8
    .kernarg_segment_size: 108
    .language:       OpenCL C
    .language_version:
      - 2
      - 0
    .max_flat_workgroup_size: 256
    .name:           _ZL29rocblas_internal_gemmt_kernelIlLi16ELi32ELi8ELc84ELc67ELc85ELb0ELb0EdPKdPKS1_PKPdEviT_T9_T10_S7_lS9_S7_lS8_T11_S7_li
    .private_segment_fixed_size: 0
    .sgpr_count:     42
    .sgpr_spill_count: 0
    .symbol:         _ZL29rocblas_internal_gemmt_kernelIlLi16ELi32ELi8ELc84ELc67ELc85ELb0ELb0EdPKdPKS1_PKPdEviT_T9_T10_S7_lS9_S7_lS8_T11_S7_li.kd
    .uniform_work_group_size: 1
    .uses_dynamic_stack: false
    .vgpr_count:     54
    .vgpr_spill_count: 0
    .wavefront_size: 64
  - .agpr_count:     0
    .args:
      - .offset:         0
        .size:           4
        .value_kind:     by_value
      - .offset:         8
        .size:           8
        .value_kind:     by_value
      - .address_space:  global
        .offset:         16
        .size:           8
        .value_kind:     global_buffer
      - .address_space:  global
        .offset:         24
        .size:           8
        .value_kind:     global_buffer
      - .offset:         32
        .size:           8
        .value_kind:     by_value
      - .offset:         40
        .size:           8
        .value_kind:     by_value
      - .address_space:  global
        .offset:         48
        .size:           8
        .value_kind:     global_buffer
      - .offset:         56
        .size:           8
        .value_kind:     by_value
      - .offset:         64
        .size:           8
        .value_kind:     by_value
      - .address_space:  global
        .offset:         72
        .size:           8
        .value_kind:     global_buffer
      - .address_space:  global
        .offset:         80
        .size:           8
        .value_kind:     global_buffer
      - .offset:         88
        .size:           8
        .value_kind:     by_value
      - .offset:         96
        .size:           8
        .value_kind:     by_value
      - .offset:         104
        .size:           4
        .value_kind:     by_value
    .group_segment_fixed_size: 4096
    .kernarg_segment_align: 8
    .kernarg_segment_size: 108
    .language:       OpenCL C
    .language_version:
      - 2
      - 0
    .max_flat_workgroup_size: 256
    .name:           _ZL29rocblas_internal_gemmt_kernelIlLi16ELi32ELi8ELc67ELc78ELc85ELb0ELb0EdPKdPKS1_PKPdEviT_T9_T10_S7_lS9_S7_lS8_T11_S7_li
    .private_segment_fixed_size: 0
    .sgpr_count:     42
    .sgpr_spill_count: 0
    .symbol:         _ZL29rocblas_internal_gemmt_kernelIlLi16ELi32ELi8ELc67ELc78ELc85ELb0ELb0EdPKdPKS1_PKPdEviT_T9_T10_S7_lS9_S7_lS8_T11_S7_li.kd
    .uniform_work_group_size: 1
    .uses_dynamic_stack: false
    .vgpr_count:     54
    .vgpr_spill_count: 0
    .wavefront_size: 64
  - .agpr_count:     0
    .args:
      - .offset:         0
        .size:           4
        .value_kind:     by_value
      - .offset:         8
        .size:           8
        .value_kind:     by_value
      - .address_space:  global
        .offset:         16
        .size:           8
        .value_kind:     global_buffer
      - .address_space:  global
        .offset:         24
        .size:           8
        .value_kind:     global_buffer
      - .offset:         32
        .size:           8
        .value_kind:     by_value
      - .offset:         40
        .size:           8
        .value_kind:     by_value
      - .address_space:  global
        .offset:         48
        .size:           8
        .value_kind:     global_buffer
      - .offset:         56
        .size:           8
        .value_kind:     by_value
      - .offset:         64
        .size:           8
        .value_kind:     by_value
      - .address_space:  global
        .offset:         72
        .size:           8
        .value_kind:     global_buffer
      - .address_space:  global
        .offset:         80
        .size:           8
        .value_kind:     global_buffer
      - .offset:         88
        .size:           8
        .value_kind:     by_value
      - .offset:         96
        .size:           8
        .value_kind:     by_value
      - .offset:         104
        .size:           4
        .value_kind:     by_value
    .group_segment_fixed_size: 4096
    .kernarg_segment_align: 8
    .kernarg_segment_size: 108
    .language:       OpenCL C
    .language_version:
      - 2
      - 0
    .max_flat_workgroup_size: 256
    .name:           _ZL29rocblas_internal_gemmt_kernelIlLi16ELi32ELi8ELc67ELc84ELc85ELb0ELb0EdPKdPKS1_PKPdEviT_T9_T10_S7_lS9_S7_lS8_T11_S7_li
    .private_segment_fixed_size: 0
    .sgpr_count:     42
    .sgpr_spill_count: 0
    .symbol:         _ZL29rocblas_internal_gemmt_kernelIlLi16ELi32ELi8ELc67ELc84ELc85ELb0ELb0EdPKdPKS1_PKPdEviT_T9_T10_S7_lS9_S7_lS8_T11_S7_li.kd
    .uniform_work_group_size: 1
    .uses_dynamic_stack: false
    .vgpr_count:     54
    .vgpr_spill_count: 0
    .wavefront_size: 64
  - .agpr_count:     0
    .args:
      - .offset:         0
        .size:           4
        .value_kind:     by_value
      - .offset:         8
        .size:           8
        .value_kind:     by_value
      - .address_space:  global
        .offset:         16
        .size:           8
        .value_kind:     global_buffer
      - .address_space:  global
        .offset:         24
        .size:           8
        .value_kind:     global_buffer
      - .offset:         32
        .size:           8
        .value_kind:     by_value
      - .offset:         40
        .size:           8
        .value_kind:     by_value
      - .address_space:  global
        .offset:         48
        .size:           8
        .value_kind:     global_buffer
      - .offset:         56
        .size:           8
        .value_kind:     by_value
      - .offset:         64
        .size:           8
        .value_kind:     by_value
      - .address_space:  global
        .offset:         72
        .size:           8
        .value_kind:     global_buffer
      - .address_space:  global
        .offset:         80
        .size:           8
        .value_kind:     global_buffer
      - .offset:         88
        .size:           8
        .value_kind:     by_value
      - .offset:         96
        .size:           8
        .value_kind:     by_value
      - .offset:         104
        .size:           4
        .value_kind:     by_value
    .group_segment_fixed_size: 4096
    .kernarg_segment_align: 8
    .kernarg_segment_size: 108
    .language:       OpenCL C
    .language_version:
      - 2
      - 0
    .max_flat_workgroup_size: 256
    .name:           _ZL29rocblas_internal_gemmt_kernelIlLi16ELi32ELi8ELc67ELc67ELc85ELb0ELb0EdPKdPKS1_PKPdEviT_T9_T10_S7_lS9_S7_lS8_T11_S7_li
    .private_segment_fixed_size: 0
    .sgpr_count:     42
    .sgpr_spill_count: 0
    .symbol:         _ZL29rocblas_internal_gemmt_kernelIlLi16ELi32ELi8ELc67ELc67ELc85ELb0ELb0EdPKdPKS1_PKPdEviT_T9_T10_S7_lS9_S7_lS8_T11_S7_li.kd
    .uniform_work_group_size: 1
    .uses_dynamic_stack: false
    .vgpr_count:     54
    .vgpr_spill_count: 0
    .wavefront_size: 64
  - .agpr_count:     0
    .args:
      - .offset:         0
        .size:           4
        .value_kind:     by_value
      - .offset:         8
        .size:           8
        .value_kind:     by_value
      - .address_space:  global
        .offset:         16
        .size:           8
        .value_kind:     global_buffer
      - .address_space:  global
        .offset:         24
        .size:           8
        .value_kind:     global_buffer
      - .offset:         32
        .size:           8
        .value_kind:     by_value
      - .offset:         40
        .size:           8
        .value_kind:     by_value
      - .address_space:  global
        .offset:         48
        .size:           8
        .value_kind:     global_buffer
      - .offset:         56
        .size:           8
        .value_kind:     by_value
      - .offset:         64
        .size:           8
        .value_kind:     by_value
      - .address_space:  global
        .offset:         72
        .size:           8
        .value_kind:     global_buffer
      - .address_space:  global
        .offset:         80
        .size:           8
        .value_kind:     global_buffer
      - .offset:         88
        .size:           8
        .value_kind:     by_value
      - .offset:         96
        .size:           8
        .value_kind:     by_value
      - .offset:         104
        .size:           4
        .value_kind:     by_value
    .group_segment_fixed_size: 4096
    .kernarg_segment_align: 8
    .kernarg_segment_size: 108
    .language:       OpenCL C
    .language_version:
      - 2
      - 0
    .max_flat_workgroup_size: 256
    .name:           _ZL29rocblas_internal_gemmt_kernelIlLi16ELi32ELi8ELc78ELc78ELc76ELb0ELb0EdPKdPKS1_PKPdEviT_T9_T10_S7_lS9_S7_lS8_T11_S7_li
    .private_segment_fixed_size: 0
    .sgpr_count:     42
    .sgpr_spill_count: 0
    .symbol:         _ZL29rocblas_internal_gemmt_kernelIlLi16ELi32ELi8ELc78ELc78ELc76ELb0ELb0EdPKdPKS1_PKPdEviT_T9_T10_S7_lS9_S7_lS8_T11_S7_li.kd
    .uniform_work_group_size: 1
    .uses_dynamic_stack: false
    .vgpr_count:     54
    .vgpr_spill_count: 0
    .wavefront_size: 64
  - .agpr_count:     0
    .args:
      - .offset:         0
        .size:           4
        .value_kind:     by_value
      - .offset:         8
        .size:           8
        .value_kind:     by_value
      - .address_space:  global
        .offset:         16
        .size:           8
        .value_kind:     global_buffer
      - .address_space:  global
        .offset:         24
        .size:           8
        .value_kind:     global_buffer
      - .offset:         32
        .size:           8
        .value_kind:     by_value
      - .offset:         40
        .size:           8
        .value_kind:     by_value
      - .address_space:  global
        .offset:         48
        .size:           8
        .value_kind:     global_buffer
      - .offset:         56
        .size:           8
        .value_kind:     by_value
      - .offset:         64
        .size:           8
        .value_kind:     by_value
      - .address_space:  global
        .offset:         72
        .size:           8
        .value_kind:     global_buffer
      - .address_space:  global
        .offset:         80
        .size:           8
        .value_kind:     global_buffer
      - .offset:         88
        .size:           8
        .value_kind:     by_value
      - .offset:         96
        .size:           8
        .value_kind:     by_value
      - .offset:         104
        .size:           4
        .value_kind:     by_value
    .group_segment_fixed_size: 4096
    .kernarg_segment_align: 8
    .kernarg_segment_size: 108
    .language:       OpenCL C
    .language_version:
      - 2
      - 0
    .max_flat_workgroup_size: 256
    .name:           _ZL29rocblas_internal_gemmt_kernelIlLi16ELi32ELi8ELc78ELc84ELc76ELb0ELb0EdPKdPKS1_PKPdEviT_T9_T10_S7_lS9_S7_lS8_T11_S7_li
    .private_segment_fixed_size: 0
    .sgpr_count:     42
    .sgpr_spill_count: 0
    .symbol:         _ZL29rocblas_internal_gemmt_kernelIlLi16ELi32ELi8ELc78ELc84ELc76ELb0ELb0EdPKdPKS1_PKPdEviT_T9_T10_S7_lS9_S7_lS8_T11_S7_li.kd
    .uniform_work_group_size: 1
    .uses_dynamic_stack: false
    .vgpr_count:     54
    .vgpr_spill_count: 0
    .wavefront_size: 64
  - .agpr_count:     0
    .args:
      - .offset:         0
        .size:           4
        .value_kind:     by_value
      - .offset:         8
        .size:           8
        .value_kind:     by_value
      - .address_space:  global
        .offset:         16
        .size:           8
        .value_kind:     global_buffer
      - .address_space:  global
        .offset:         24
        .size:           8
        .value_kind:     global_buffer
      - .offset:         32
        .size:           8
        .value_kind:     by_value
      - .offset:         40
        .size:           8
        .value_kind:     by_value
      - .address_space:  global
        .offset:         48
        .size:           8
        .value_kind:     global_buffer
      - .offset:         56
        .size:           8
        .value_kind:     by_value
      - .offset:         64
        .size:           8
        .value_kind:     by_value
      - .address_space:  global
        .offset:         72
        .size:           8
        .value_kind:     global_buffer
      - .address_space:  global
        .offset:         80
        .size:           8
        .value_kind:     global_buffer
      - .offset:         88
        .size:           8
        .value_kind:     by_value
      - .offset:         96
        .size:           8
        .value_kind:     by_value
      - .offset:         104
        .size:           4
        .value_kind:     by_value
    .group_segment_fixed_size: 4096
    .kernarg_segment_align: 8
    .kernarg_segment_size: 108
    .language:       OpenCL C
    .language_version:
      - 2
      - 0
    .max_flat_workgroup_size: 256
    .name:           _ZL29rocblas_internal_gemmt_kernelIlLi16ELi32ELi8ELc78ELc67ELc76ELb0ELb0EdPKdPKS1_PKPdEviT_T9_T10_S7_lS9_S7_lS8_T11_S7_li
    .private_segment_fixed_size: 0
    .sgpr_count:     42
    .sgpr_spill_count: 0
    .symbol:         _ZL29rocblas_internal_gemmt_kernelIlLi16ELi32ELi8ELc78ELc67ELc76ELb0ELb0EdPKdPKS1_PKPdEviT_T9_T10_S7_lS9_S7_lS8_T11_S7_li.kd
    .uniform_work_group_size: 1
    .uses_dynamic_stack: false
    .vgpr_count:     54
    .vgpr_spill_count: 0
    .wavefront_size: 64
  - .agpr_count:     0
    .args:
      - .offset:         0
        .size:           4
        .value_kind:     by_value
      - .offset:         8
        .size:           8
        .value_kind:     by_value
      - .address_space:  global
        .offset:         16
        .size:           8
        .value_kind:     global_buffer
      - .address_space:  global
        .offset:         24
        .size:           8
        .value_kind:     global_buffer
      - .offset:         32
        .size:           8
        .value_kind:     by_value
      - .offset:         40
        .size:           8
        .value_kind:     by_value
      - .address_space:  global
        .offset:         48
        .size:           8
        .value_kind:     global_buffer
      - .offset:         56
        .size:           8
        .value_kind:     by_value
      - .offset:         64
        .size:           8
        .value_kind:     by_value
      - .address_space:  global
        .offset:         72
        .size:           8
        .value_kind:     global_buffer
      - .address_space:  global
        .offset:         80
        .size:           8
        .value_kind:     global_buffer
      - .offset:         88
        .size:           8
        .value_kind:     by_value
      - .offset:         96
        .size:           8
        .value_kind:     by_value
      - .offset:         104
        .size:           4
        .value_kind:     by_value
    .group_segment_fixed_size: 4096
    .kernarg_segment_align: 8
    .kernarg_segment_size: 108
    .language:       OpenCL C
    .language_version:
      - 2
      - 0
    .max_flat_workgroup_size: 256
    .name:           _ZL29rocblas_internal_gemmt_kernelIlLi16ELi32ELi8ELc84ELc78ELc76ELb0ELb0EdPKdPKS1_PKPdEviT_T9_T10_S7_lS9_S7_lS8_T11_S7_li
    .private_segment_fixed_size: 0
    .sgpr_count:     42
    .sgpr_spill_count: 0
    .symbol:         _ZL29rocblas_internal_gemmt_kernelIlLi16ELi32ELi8ELc84ELc78ELc76ELb0ELb0EdPKdPKS1_PKPdEviT_T9_T10_S7_lS9_S7_lS8_T11_S7_li.kd
    .uniform_work_group_size: 1
    .uses_dynamic_stack: false
    .vgpr_count:     54
    .vgpr_spill_count: 0
    .wavefront_size: 64
  - .agpr_count:     0
    .args:
      - .offset:         0
        .size:           4
        .value_kind:     by_value
      - .offset:         8
        .size:           8
        .value_kind:     by_value
      - .address_space:  global
        .offset:         16
        .size:           8
        .value_kind:     global_buffer
      - .address_space:  global
        .offset:         24
        .size:           8
        .value_kind:     global_buffer
      - .offset:         32
        .size:           8
        .value_kind:     by_value
      - .offset:         40
        .size:           8
        .value_kind:     by_value
      - .address_space:  global
        .offset:         48
        .size:           8
        .value_kind:     global_buffer
      - .offset:         56
        .size:           8
        .value_kind:     by_value
      - .offset:         64
        .size:           8
        .value_kind:     by_value
      - .address_space:  global
        .offset:         72
        .size:           8
        .value_kind:     global_buffer
      - .address_space:  global
        .offset:         80
        .size:           8
        .value_kind:     global_buffer
      - .offset:         88
        .size:           8
        .value_kind:     by_value
      - .offset:         96
        .size:           8
        .value_kind:     by_value
      - .offset:         104
        .size:           4
        .value_kind:     by_value
    .group_segment_fixed_size: 4096
    .kernarg_segment_align: 8
    .kernarg_segment_size: 108
    .language:       OpenCL C
    .language_version:
      - 2
      - 0
    .max_flat_workgroup_size: 256
    .name:           _ZL29rocblas_internal_gemmt_kernelIlLi16ELi32ELi8ELc84ELc84ELc76ELb0ELb0EdPKdPKS1_PKPdEviT_T9_T10_S7_lS9_S7_lS8_T11_S7_li
    .private_segment_fixed_size: 0
    .sgpr_count:     42
    .sgpr_spill_count: 0
    .symbol:         _ZL29rocblas_internal_gemmt_kernelIlLi16ELi32ELi8ELc84ELc84ELc76ELb0ELb0EdPKdPKS1_PKPdEviT_T9_T10_S7_lS9_S7_lS8_T11_S7_li.kd
    .uniform_work_group_size: 1
    .uses_dynamic_stack: false
    .vgpr_count:     54
    .vgpr_spill_count: 0
    .wavefront_size: 64
  - .agpr_count:     0
    .args:
      - .offset:         0
        .size:           4
        .value_kind:     by_value
      - .offset:         8
        .size:           8
        .value_kind:     by_value
      - .address_space:  global
        .offset:         16
        .size:           8
        .value_kind:     global_buffer
      - .address_space:  global
        .offset:         24
        .size:           8
        .value_kind:     global_buffer
      - .offset:         32
        .size:           8
        .value_kind:     by_value
      - .offset:         40
        .size:           8
        .value_kind:     by_value
      - .address_space:  global
        .offset:         48
        .size:           8
        .value_kind:     global_buffer
      - .offset:         56
        .size:           8
        .value_kind:     by_value
      - .offset:         64
        .size:           8
        .value_kind:     by_value
      - .address_space:  global
        .offset:         72
        .size:           8
        .value_kind:     global_buffer
      - .address_space:  global
        .offset:         80
        .size:           8
        .value_kind:     global_buffer
      - .offset:         88
        .size:           8
        .value_kind:     by_value
      - .offset:         96
        .size:           8
        .value_kind:     by_value
      - .offset:         104
        .size:           4
        .value_kind:     by_value
    .group_segment_fixed_size: 4096
    .kernarg_segment_align: 8
    .kernarg_segment_size: 108
    .language:       OpenCL C
    .language_version:
      - 2
      - 0
    .max_flat_workgroup_size: 256
    .name:           _ZL29rocblas_internal_gemmt_kernelIlLi16ELi32ELi8ELc84ELc67ELc76ELb0ELb0EdPKdPKS1_PKPdEviT_T9_T10_S7_lS9_S7_lS8_T11_S7_li
    .private_segment_fixed_size: 0
    .sgpr_count:     42
    .sgpr_spill_count: 0
    .symbol:         _ZL29rocblas_internal_gemmt_kernelIlLi16ELi32ELi8ELc84ELc67ELc76ELb0ELb0EdPKdPKS1_PKPdEviT_T9_T10_S7_lS9_S7_lS8_T11_S7_li.kd
    .uniform_work_group_size: 1
    .uses_dynamic_stack: false
    .vgpr_count:     54
    .vgpr_spill_count: 0
    .wavefront_size: 64
  - .agpr_count:     0
    .args:
      - .offset:         0
        .size:           4
        .value_kind:     by_value
      - .offset:         8
        .size:           8
        .value_kind:     by_value
      - .address_space:  global
        .offset:         16
        .size:           8
        .value_kind:     global_buffer
      - .address_space:  global
        .offset:         24
        .size:           8
        .value_kind:     global_buffer
      - .offset:         32
        .size:           8
        .value_kind:     by_value
      - .offset:         40
        .size:           8
        .value_kind:     by_value
      - .address_space:  global
        .offset:         48
        .size:           8
        .value_kind:     global_buffer
      - .offset:         56
        .size:           8
        .value_kind:     by_value
      - .offset:         64
        .size:           8
        .value_kind:     by_value
      - .address_space:  global
        .offset:         72
        .size:           8
        .value_kind:     global_buffer
      - .address_space:  global
        .offset:         80
        .size:           8
        .value_kind:     global_buffer
      - .offset:         88
        .size:           8
        .value_kind:     by_value
      - .offset:         96
        .size:           8
        .value_kind:     by_value
      - .offset:         104
        .size:           4
        .value_kind:     by_value
    .group_segment_fixed_size: 4096
    .kernarg_segment_align: 8
    .kernarg_segment_size: 108
    .language:       OpenCL C
    .language_version:
      - 2
      - 0
    .max_flat_workgroup_size: 256
    .name:           _ZL29rocblas_internal_gemmt_kernelIlLi16ELi32ELi8ELc67ELc78ELc76ELb0ELb0EdPKdPKS1_PKPdEviT_T9_T10_S7_lS9_S7_lS8_T11_S7_li
    .private_segment_fixed_size: 0
    .sgpr_count:     42
    .sgpr_spill_count: 0
    .symbol:         _ZL29rocblas_internal_gemmt_kernelIlLi16ELi32ELi8ELc67ELc78ELc76ELb0ELb0EdPKdPKS1_PKPdEviT_T9_T10_S7_lS9_S7_lS8_T11_S7_li.kd
    .uniform_work_group_size: 1
    .uses_dynamic_stack: false
    .vgpr_count:     54
    .vgpr_spill_count: 0
    .wavefront_size: 64
  - .agpr_count:     0
    .args:
      - .offset:         0
        .size:           4
        .value_kind:     by_value
      - .offset:         8
        .size:           8
        .value_kind:     by_value
      - .address_space:  global
        .offset:         16
        .size:           8
        .value_kind:     global_buffer
      - .address_space:  global
        .offset:         24
        .size:           8
        .value_kind:     global_buffer
      - .offset:         32
        .size:           8
        .value_kind:     by_value
      - .offset:         40
        .size:           8
        .value_kind:     by_value
      - .address_space:  global
        .offset:         48
        .size:           8
        .value_kind:     global_buffer
      - .offset:         56
        .size:           8
        .value_kind:     by_value
      - .offset:         64
        .size:           8
        .value_kind:     by_value
      - .address_space:  global
        .offset:         72
        .size:           8
        .value_kind:     global_buffer
      - .address_space:  global
        .offset:         80
        .size:           8
        .value_kind:     global_buffer
      - .offset:         88
        .size:           8
        .value_kind:     by_value
      - .offset:         96
        .size:           8
        .value_kind:     by_value
      - .offset:         104
        .size:           4
        .value_kind:     by_value
    .group_segment_fixed_size: 4096
    .kernarg_segment_align: 8
    .kernarg_segment_size: 108
    .language:       OpenCL C
    .language_version:
      - 2
      - 0
    .max_flat_workgroup_size: 256
    .name:           _ZL29rocblas_internal_gemmt_kernelIlLi16ELi32ELi8ELc67ELc84ELc76ELb0ELb0EdPKdPKS1_PKPdEviT_T9_T10_S7_lS9_S7_lS8_T11_S7_li
    .private_segment_fixed_size: 0
    .sgpr_count:     42
    .sgpr_spill_count: 0
    .symbol:         _ZL29rocblas_internal_gemmt_kernelIlLi16ELi32ELi8ELc67ELc84ELc76ELb0ELb0EdPKdPKS1_PKPdEviT_T9_T10_S7_lS9_S7_lS8_T11_S7_li.kd
    .uniform_work_group_size: 1
    .uses_dynamic_stack: false
    .vgpr_count:     54
    .vgpr_spill_count: 0
    .wavefront_size: 64
  - .agpr_count:     0
    .args:
      - .offset:         0
        .size:           4
        .value_kind:     by_value
      - .offset:         8
        .size:           8
        .value_kind:     by_value
      - .address_space:  global
        .offset:         16
        .size:           8
        .value_kind:     global_buffer
      - .address_space:  global
        .offset:         24
        .size:           8
        .value_kind:     global_buffer
      - .offset:         32
        .size:           8
        .value_kind:     by_value
      - .offset:         40
        .size:           8
        .value_kind:     by_value
      - .address_space:  global
        .offset:         48
        .size:           8
        .value_kind:     global_buffer
      - .offset:         56
        .size:           8
        .value_kind:     by_value
      - .offset:         64
        .size:           8
        .value_kind:     by_value
      - .address_space:  global
        .offset:         72
        .size:           8
        .value_kind:     global_buffer
      - .address_space:  global
        .offset:         80
        .size:           8
        .value_kind:     global_buffer
      - .offset:         88
        .size:           8
        .value_kind:     by_value
      - .offset:         96
        .size:           8
        .value_kind:     by_value
      - .offset:         104
        .size:           4
        .value_kind:     by_value
    .group_segment_fixed_size: 4096
    .kernarg_segment_align: 8
    .kernarg_segment_size: 108
    .language:       OpenCL C
    .language_version:
      - 2
      - 0
    .max_flat_workgroup_size: 256
    .name:           _ZL29rocblas_internal_gemmt_kernelIlLi16ELi32ELi8ELc67ELc67ELc76ELb0ELb0EdPKdPKS1_PKPdEviT_T9_T10_S7_lS9_S7_lS8_T11_S7_li
    .private_segment_fixed_size: 0
    .sgpr_count:     42
    .sgpr_spill_count: 0
    .symbol:         _ZL29rocblas_internal_gemmt_kernelIlLi16ELi32ELi8ELc67ELc67ELc76ELb0ELb0EdPKdPKS1_PKPdEviT_T9_T10_S7_lS9_S7_lS8_T11_S7_li.kd
    .uniform_work_group_size: 1
    .uses_dynamic_stack: false
    .vgpr_count:     54
    .vgpr_spill_count: 0
    .wavefront_size: 64
  - .agpr_count:     0
    .args:
      - .offset:         0
        .size:           4
        .value_kind:     by_value
      - .offset:         8
        .size:           8
        .value_kind:     by_value
      - .offset:         16
        .size:           8
        .value_kind:     by_value
      - .address_space:  global
        .offset:         24
        .size:           8
        .value_kind:     global_buffer
      - .offset:         32
        .size:           8
        .value_kind:     by_value
      - .offset:         40
        .size:           8
        .value_kind:     by_value
      - .address_space:  global
        .offset:         48
        .size:           8
        .value_kind:     global_buffer
      - .offset:         56
        .size:           8
        .value_kind:     by_value
      - .offset:         64
        .size:           8
        .value_kind:     by_value
      - .offset:         72
        .size:           8
        .value_kind:     by_value
      - .address_space:  global
        .offset:         80
        .size:           8
        .value_kind:     global_buffer
      - .offset:         88
        .size:           8
        .value_kind:     by_value
      - .offset:         96
        .size:           8
        .value_kind:     by_value
      - .offset:         104
        .size:           4
        .value_kind:     by_value
    .group_segment_fixed_size: 4096
    .kernarg_segment_align: 8
    .kernarg_segment_size: 108
    .language:       OpenCL C
    .language_version:
      - 2
      - 0
    .max_flat_workgroup_size: 256
    .name:           _ZL29rocblas_internal_gemmt_kernelIlLi16ELi32ELi8ELc78ELc78ELc85ELb0ELb0EddPKPKdPKPdEviT_T9_T10_S7_lS9_S7_lS8_T11_S7_li
    .private_segment_fixed_size: 0
    .sgpr_count:     42
    .sgpr_spill_count: 0
    .symbol:         _ZL29rocblas_internal_gemmt_kernelIlLi16ELi32ELi8ELc78ELc78ELc85ELb0ELb0EddPKPKdPKPdEviT_T9_T10_S7_lS9_S7_lS8_T11_S7_li.kd
    .uniform_work_group_size: 1
    .uses_dynamic_stack: false
    .vgpr_count:     54
    .vgpr_spill_count: 0
    .wavefront_size: 64
  - .agpr_count:     0
    .args:
      - .offset:         0
        .size:           4
        .value_kind:     by_value
      - .offset:         8
        .size:           8
        .value_kind:     by_value
      - .offset:         16
        .size:           8
        .value_kind:     by_value
      - .address_space:  global
        .offset:         24
        .size:           8
        .value_kind:     global_buffer
      - .offset:         32
        .size:           8
        .value_kind:     by_value
      - .offset:         40
        .size:           8
        .value_kind:     by_value
      - .address_space:  global
        .offset:         48
        .size:           8
        .value_kind:     global_buffer
      - .offset:         56
        .size:           8
        .value_kind:     by_value
      - .offset:         64
        .size:           8
        .value_kind:     by_value
      - .offset:         72
        .size:           8
        .value_kind:     by_value
      - .address_space:  global
        .offset:         80
        .size:           8
        .value_kind:     global_buffer
      - .offset:         88
        .size:           8
        .value_kind:     by_value
      - .offset:         96
        .size:           8
        .value_kind:     by_value
      - .offset:         104
        .size:           4
        .value_kind:     by_value
    .group_segment_fixed_size: 4096
    .kernarg_segment_align: 8
    .kernarg_segment_size: 108
    .language:       OpenCL C
    .language_version:
      - 2
      - 0
    .max_flat_workgroup_size: 256
    .name:           _ZL29rocblas_internal_gemmt_kernelIlLi16ELi32ELi8ELc78ELc84ELc85ELb0ELb0EddPKPKdPKPdEviT_T9_T10_S7_lS9_S7_lS8_T11_S7_li
    .private_segment_fixed_size: 0
    .sgpr_count:     42
    .sgpr_spill_count: 0
    .symbol:         _ZL29rocblas_internal_gemmt_kernelIlLi16ELi32ELi8ELc78ELc84ELc85ELb0ELb0EddPKPKdPKPdEviT_T9_T10_S7_lS9_S7_lS8_T11_S7_li.kd
    .uniform_work_group_size: 1
    .uses_dynamic_stack: false
    .vgpr_count:     54
    .vgpr_spill_count: 0
    .wavefront_size: 64
  - .agpr_count:     0
    .args:
      - .offset:         0
        .size:           4
        .value_kind:     by_value
      - .offset:         8
        .size:           8
        .value_kind:     by_value
      - .offset:         16
        .size:           8
        .value_kind:     by_value
      - .address_space:  global
        .offset:         24
        .size:           8
        .value_kind:     global_buffer
      - .offset:         32
        .size:           8
        .value_kind:     by_value
      - .offset:         40
        .size:           8
        .value_kind:     by_value
      - .address_space:  global
        .offset:         48
        .size:           8
        .value_kind:     global_buffer
      - .offset:         56
        .size:           8
        .value_kind:     by_value
      - .offset:         64
        .size:           8
        .value_kind:     by_value
      - .offset:         72
        .size:           8
        .value_kind:     by_value
      - .address_space:  global
        .offset:         80
        .size:           8
        .value_kind:     global_buffer
      - .offset:         88
        .size:           8
        .value_kind:     by_value
      - .offset:         96
        .size:           8
        .value_kind:     by_value
      - .offset:         104
        .size:           4
        .value_kind:     by_value
    .group_segment_fixed_size: 4096
    .kernarg_segment_align: 8
    .kernarg_segment_size: 108
    .language:       OpenCL C
    .language_version:
      - 2
      - 0
    .max_flat_workgroup_size: 256
    .name:           _ZL29rocblas_internal_gemmt_kernelIlLi16ELi32ELi8ELc78ELc67ELc85ELb0ELb0EddPKPKdPKPdEviT_T9_T10_S7_lS9_S7_lS8_T11_S7_li
    .private_segment_fixed_size: 0
    .sgpr_count:     42
    .sgpr_spill_count: 0
    .symbol:         _ZL29rocblas_internal_gemmt_kernelIlLi16ELi32ELi8ELc78ELc67ELc85ELb0ELb0EddPKPKdPKPdEviT_T9_T10_S7_lS9_S7_lS8_T11_S7_li.kd
    .uniform_work_group_size: 1
    .uses_dynamic_stack: false
    .vgpr_count:     54
    .vgpr_spill_count: 0
    .wavefront_size: 64
  - .agpr_count:     0
    .args:
      - .offset:         0
        .size:           4
        .value_kind:     by_value
      - .offset:         8
        .size:           8
        .value_kind:     by_value
      - .offset:         16
        .size:           8
        .value_kind:     by_value
      - .address_space:  global
        .offset:         24
        .size:           8
        .value_kind:     global_buffer
      - .offset:         32
        .size:           8
        .value_kind:     by_value
      - .offset:         40
        .size:           8
        .value_kind:     by_value
      - .address_space:  global
        .offset:         48
        .size:           8
        .value_kind:     global_buffer
      - .offset:         56
        .size:           8
        .value_kind:     by_value
      - .offset:         64
        .size:           8
        .value_kind:     by_value
      - .offset:         72
        .size:           8
        .value_kind:     by_value
      - .address_space:  global
        .offset:         80
        .size:           8
        .value_kind:     global_buffer
      - .offset:         88
        .size:           8
        .value_kind:     by_value
      - .offset:         96
        .size:           8
        .value_kind:     by_value
      - .offset:         104
        .size:           4
        .value_kind:     by_value
    .group_segment_fixed_size: 4096
    .kernarg_segment_align: 8
    .kernarg_segment_size: 108
    .language:       OpenCL C
    .language_version:
      - 2
      - 0
    .max_flat_workgroup_size: 256
    .name:           _ZL29rocblas_internal_gemmt_kernelIlLi16ELi32ELi8ELc84ELc78ELc85ELb0ELb0EddPKPKdPKPdEviT_T9_T10_S7_lS9_S7_lS8_T11_S7_li
    .private_segment_fixed_size: 0
    .sgpr_count:     42
    .sgpr_spill_count: 0
    .symbol:         _ZL29rocblas_internal_gemmt_kernelIlLi16ELi32ELi8ELc84ELc78ELc85ELb0ELb0EddPKPKdPKPdEviT_T9_T10_S7_lS9_S7_lS8_T11_S7_li.kd
    .uniform_work_group_size: 1
    .uses_dynamic_stack: false
    .vgpr_count:     54
    .vgpr_spill_count: 0
    .wavefront_size: 64
  - .agpr_count:     0
    .args:
      - .offset:         0
        .size:           4
        .value_kind:     by_value
      - .offset:         8
        .size:           8
        .value_kind:     by_value
      - .offset:         16
        .size:           8
        .value_kind:     by_value
      - .address_space:  global
        .offset:         24
        .size:           8
        .value_kind:     global_buffer
      - .offset:         32
        .size:           8
        .value_kind:     by_value
      - .offset:         40
        .size:           8
        .value_kind:     by_value
      - .address_space:  global
        .offset:         48
        .size:           8
        .value_kind:     global_buffer
      - .offset:         56
        .size:           8
        .value_kind:     by_value
      - .offset:         64
        .size:           8
        .value_kind:     by_value
      - .offset:         72
        .size:           8
        .value_kind:     by_value
      - .address_space:  global
        .offset:         80
        .size:           8
        .value_kind:     global_buffer
      - .offset:         88
        .size:           8
        .value_kind:     by_value
      - .offset:         96
        .size:           8
        .value_kind:     by_value
      - .offset:         104
        .size:           4
        .value_kind:     by_value
    .group_segment_fixed_size: 4096
    .kernarg_segment_align: 8
    .kernarg_segment_size: 108
    .language:       OpenCL C
    .language_version:
      - 2
      - 0
    .max_flat_workgroup_size: 256
    .name:           _ZL29rocblas_internal_gemmt_kernelIlLi16ELi32ELi8ELc84ELc84ELc85ELb0ELb0EddPKPKdPKPdEviT_T9_T10_S7_lS9_S7_lS8_T11_S7_li
    .private_segment_fixed_size: 0
    .sgpr_count:     42
    .sgpr_spill_count: 0
    .symbol:         _ZL29rocblas_internal_gemmt_kernelIlLi16ELi32ELi8ELc84ELc84ELc85ELb0ELb0EddPKPKdPKPdEviT_T9_T10_S7_lS9_S7_lS8_T11_S7_li.kd
    .uniform_work_group_size: 1
    .uses_dynamic_stack: false
    .vgpr_count:     54
    .vgpr_spill_count: 0
    .wavefront_size: 64
  - .agpr_count:     0
    .args:
      - .offset:         0
        .size:           4
        .value_kind:     by_value
      - .offset:         8
        .size:           8
        .value_kind:     by_value
      - .offset:         16
        .size:           8
        .value_kind:     by_value
      - .address_space:  global
        .offset:         24
        .size:           8
        .value_kind:     global_buffer
      - .offset:         32
        .size:           8
        .value_kind:     by_value
      - .offset:         40
        .size:           8
        .value_kind:     by_value
      - .address_space:  global
        .offset:         48
        .size:           8
        .value_kind:     global_buffer
      - .offset:         56
        .size:           8
        .value_kind:     by_value
      - .offset:         64
        .size:           8
        .value_kind:     by_value
      - .offset:         72
        .size:           8
        .value_kind:     by_value
      - .address_space:  global
        .offset:         80
        .size:           8
        .value_kind:     global_buffer
      - .offset:         88
        .size:           8
        .value_kind:     by_value
      - .offset:         96
        .size:           8
        .value_kind:     by_value
      - .offset:         104
        .size:           4
        .value_kind:     by_value
    .group_segment_fixed_size: 4096
    .kernarg_segment_align: 8
    .kernarg_segment_size: 108
    .language:       OpenCL C
    .language_version:
      - 2
      - 0
    .max_flat_workgroup_size: 256
    .name:           _ZL29rocblas_internal_gemmt_kernelIlLi16ELi32ELi8ELc84ELc67ELc85ELb0ELb0EddPKPKdPKPdEviT_T9_T10_S7_lS9_S7_lS8_T11_S7_li
    .private_segment_fixed_size: 0
    .sgpr_count:     42
    .sgpr_spill_count: 0
    .symbol:         _ZL29rocblas_internal_gemmt_kernelIlLi16ELi32ELi8ELc84ELc67ELc85ELb0ELb0EddPKPKdPKPdEviT_T9_T10_S7_lS9_S7_lS8_T11_S7_li.kd
    .uniform_work_group_size: 1
    .uses_dynamic_stack: false
    .vgpr_count:     54
    .vgpr_spill_count: 0
    .wavefront_size: 64
  - .agpr_count:     0
    .args:
      - .offset:         0
        .size:           4
        .value_kind:     by_value
      - .offset:         8
        .size:           8
        .value_kind:     by_value
      - .offset:         16
        .size:           8
        .value_kind:     by_value
      - .address_space:  global
        .offset:         24
        .size:           8
        .value_kind:     global_buffer
      - .offset:         32
        .size:           8
        .value_kind:     by_value
      - .offset:         40
        .size:           8
        .value_kind:     by_value
      - .address_space:  global
        .offset:         48
        .size:           8
        .value_kind:     global_buffer
      - .offset:         56
        .size:           8
        .value_kind:     by_value
      - .offset:         64
        .size:           8
        .value_kind:     by_value
      - .offset:         72
        .size:           8
        .value_kind:     by_value
      - .address_space:  global
        .offset:         80
        .size:           8
        .value_kind:     global_buffer
      - .offset:         88
        .size:           8
        .value_kind:     by_value
      - .offset:         96
        .size:           8
        .value_kind:     by_value
      - .offset:         104
        .size:           4
        .value_kind:     by_value
    .group_segment_fixed_size: 4096
    .kernarg_segment_align: 8
    .kernarg_segment_size: 108
    .language:       OpenCL C
    .language_version:
      - 2
      - 0
    .max_flat_workgroup_size: 256
    .name:           _ZL29rocblas_internal_gemmt_kernelIlLi16ELi32ELi8ELc67ELc78ELc85ELb0ELb0EddPKPKdPKPdEviT_T9_T10_S7_lS9_S7_lS8_T11_S7_li
    .private_segment_fixed_size: 0
    .sgpr_count:     42
    .sgpr_spill_count: 0
    .symbol:         _ZL29rocblas_internal_gemmt_kernelIlLi16ELi32ELi8ELc67ELc78ELc85ELb0ELb0EddPKPKdPKPdEviT_T9_T10_S7_lS9_S7_lS8_T11_S7_li.kd
    .uniform_work_group_size: 1
    .uses_dynamic_stack: false
    .vgpr_count:     54
    .vgpr_spill_count: 0
    .wavefront_size: 64
  - .agpr_count:     0
    .args:
      - .offset:         0
        .size:           4
        .value_kind:     by_value
      - .offset:         8
        .size:           8
        .value_kind:     by_value
      - .offset:         16
        .size:           8
        .value_kind:     by_value
      - .address_space:  global
        .offset:         24
        .size:           8
        .value_kind:     global_buffer
      - .offset:         32
        .size:           8
        .value_kind:     by_value
      - .offset:         40
        .size:           8
        .value_kind:     by_value
      - .address_space:  global
        .offset:         48
        .size:           8
        .value_kind:     global_buffer
      - .offset:         56
        .size:           8
        .value_kind:     by_value
      - .offset:         64
        .size:           8
        .value_kind:     by_value
      - .offset:         72
        .size:           8
        .value_kind:     by_value
      - .address_space:  global
        .offset:         80
        .size:           8
        .value_kind:     global_buffer
      - .offset:         88
        .size:           8
        .value_kind:     by_value
      - .offset:         96
        .size:           8
        .value_kind:     by_value
      - .offset:         104
        .size:           4
        .value_kind:     by_value
    .group_segment_fixed_size: 4096
    .kernarg_segment_align: 8
    .kernarg_segment_size: 108
    .language:       OpenCL C
    .language_version:
      - 2
      - 0
    .max_flat_workgroup_size: 256
    .name:           _ZL29rocblas_internal_gemmt_kernelIlLi16ELi32ELi8ELc67ELc84ELc85ELb0ELb0EddPKPKdPKPdEviT_T9_T10_S7_lS9_S7_lS8_T11_S7_li
    .private_segment_fixed_size: 0
    .sgpr_count:     42
    .sgpr_spill_count: 0
    .symbol:         _ZL29rocblas_internal_gemmt_kernelIlLi16ELi32ELi8ELc67ELc84ELc85ELb0ELb0EddPKPKdPKPdEviT_T9_T10_S7_lS9_S7_lS8_T11_S7_li.kd
    .uniform_work_group_size: 1
    .uses_dynamic_stack: false
    .vgpr_count:     54
    .vgpr_spill_count: 0
    .wavefront_size: 64
  - .agpr_count:     0
    .args:
      - .offset:         0
        .size:           4
        .value_kind:     by_value
      - .offset:         8
        .size:           8
        .value_kind:     by_value
      - .offset:         16
        .size:           8
        .value_kind:     by_value
      - .address_space:  global
        .offset:         24
        .size:           8
        .value_kind:     global_buffer
      - .offset:         32
        .size:           8
        .value_kind:     by_value
      - .offset:         40
        .size:           8
        .value_kind:     by_value
      - .address_space:  global
        .offset:         48
        .size:           8
        .value_kind:     global_buffer
      - .offset:         56
        .size:           8
        .value_kind:     by_value
      - .offset:         64
        .size:           8
        .value_kind:     by_value
      - .offset:         72
        .size:           8
        .value_kind:     by_value
      - .address_space:  global
        .offset:         80
        .size:           8
        .value_kind:     global_buffer
      - .offset:         88
        .size:           8
        .value_kind:     by_value
      - .offset:         96
        .size:           8
        .value_kind:     by_value
      - .offset:         104
        .size:           4
        .value_kind:     by_value
    .group_segment_fixed_size: 4096
    .kernarg_segment_align: 8
    .kernarg_segment_size: 108
    .language:       OpenCL C
    .language_version:
      - 2
      - 0
    .max_flat_workgroup_size: 256
    .name:           _ZL29rocblas_internal_gemmt_kernelIlLi16ELi32ELi8ELc67ELc67ELc85ELb0ELb0EddPKPKdPKPdEviT_T9_T10_S7_lS9_S7_lS8_T11_S7_li
    .private_segment_fixed_size: 0
    .sgpr_count:     42
    .sgpr_spill_count: 0
    .symbol:         _ZL29rocblas_internal_gemmt_kernelIlLi16ELi32ELi8ELc67ELc67ELc85ELb0ELb0EddPKPKdPKPdEviT_T9_T10_S7_lS9_S7_lS8_T11_S7_li.kd
    .uniform_work_group_size: 1
    .uses_dynamic_stack: false
    .vgpr_count:     54
    .vgpr_spill_count: 0
    .wavefront_size: 64
  - .agpr_count:     0
    .args:
      - .offset:         0
        .size:           4
        .value_kind:     by_value
      - .offset:         8
        .size:           8
        .value_kind:     by_value
      - .offset:         16
        .size:           8
        .value_kind:     by_value
      - .address_space:  global
        .offset:         24
        .size:           8
        .value_kind:     global_buffer
      - .offset:         32
        .size:           8
        .value_kind:     by_value
      - .offset:         40
        .size:           8
        .value_kind:     by_value
      - .address_space:  global
        .offset:         48
        .size:           8
        .value_kind:     global_buffer
      - .offset:         56
        .size:           8
        .value_kind:     by_value
      - .offset:         64
        .size:           8
        .value_kind:     by_value
      - .offset:         72
        .size:           8
        .value_kind:     by_value
      - .address_space:  global
        .offset:         80
        .size:           8
        .value_kind:     global_buffer
      - .offset:         88
        .size:           8
        .value_kind:     by_value
      - .offset:         96
        .size:           8
        .value_kind:     by_value
      - .offset:         104
        .size:           4
        .value_kind:     by_value
    .group_segment_fixed_size: 4096
    .kernarg_segment_align: 8
    .kernarg_segment_size: 108
    .language:       OpenCL C
    .language_version:
      - 2
      - 0
    .max_flat_workgroup_size: 256
    .name:           _ZL29rocblas_internal_gemmt_kernelIlLi16ELi32ELi8ELc78ELc78ELc76ELb0ELb0EddPKPKdPKPdEviT_T9_T10_S7_lS9_S7_lS8_T11_S7_li
    .private_segment_fixed_size: 0
    .sgpr_count:     42
    .sgpr_spill_count: 0
    .symbol:         _ZL29rocblas_internal_gemmt_kernelIlLi16ELi32ELi8ELc78ELc78ELc76ELb0ELb0EddPKPKdPKPdEviT_T9_T10_S7_lS9_S7_lS8_T11_S7_li.kd
    .uniform_work_group_size: 1
    .uses_dynamic_stack: false
    .vgpr_count:     54
    .vgpr_spill_count: 0
    .wavefront_size: 64
  - .agpr_count:     0
    .args:
      - .offset:         0
        .size:           4
        .value_kind:     by_value
      - .offset:         8
        .size:           8
        .value_kind:     by_value
      - .offset:         16
        .size:           8
        .value_kind:     by_value
      - .address_space:  global
        .offset:         24
        .size:           8
        .value_kind:     global_buffer
      - .offset:         32
        .size:           8
        .value_kind:     by_value
      - .offset:         40
        .size:           8
        .value_kind:     by_value
      - .address_space:  global
        .offset:         48
        .size:           8
        .value_kind:     global_buffer
      - .offset:         56
        .size:           8
        .value_kind:     by_value
      - .offset:         64
        .size:           8
        .value_kind:     by_value
      - .offset:         72
        .size:           8
        .value_kind:     by_value
      - .address_space:  global
        .offset:         80
        .size:           8
        .value_kind:     global_buffer
      - .offset:         88
        .size:           8
        .value_kind:     by_value
      - .offset:         96
        .size:           8
        .value_kind:     by_value
      - .offset:         104
        .size:           4
        .value_kind:     by_value
    .group_segment_fixed_size: 4096
    .kernarg_segment_align: 8
    .kernarg_segment_size: 108
    .language:       OpenCL C
    .language_version:
      - 2
      - 0
    .max_flat_workgroup_size: 256
    .name:           _ZL29rocblas_internal_gemmt_kernelIlLi16ELi32ELi8ELc78ELc84ELc76ELb0ELb0EddPKPKdPKPdEviT_T9_T10_S7_lS9_S7_lS8_T11_S7_li
    .private_segment_fixed_size: 0
    .sgpr_count:     42
    .sgpr_spill_count: 0
    .symbol:         _ZL29rocblas_internal_gemmt_kernelIlLi16ELi32ELi8ELc78ELc84ELc76ELb0ELb0EddPKPKdPKPdEviT_T9_T10_S7_lS9_S7_lS8_T11_S7_li.kd
    .uniform_work_group_size: 1
    .uses_dynamic_stack: false
    .vgpr_count:     54
    .vgpr_spill_count: 0
    .wavefront_size: 64
  - .agpr_count:     0
    .args:
      - .offset:         0
        .size:           4
        .value_kind:     by_value
      - .offset:         8
        .size:           8
        .value_kind:     by_value
      - .offset:         16
        .size:           8
        .value_kind:     by_value
      - .address_space:  global
        .offset:         24
        .size:           8
        .value_kind:     global_buffer
      - .offset:         32
        .size:           8
        .value_kind:     by_value
      - .offset:         40
        .size:           8
        .value_kind:     by_value
      - .address_space:  global
        .offset:         48
        .size:           8
        .value_kind:     global_buffer
      - .offset:         56
        .size:           8
        .value_kind:     by_value
      - .offset:         64
        .size:           8
        .value_kind:     by_value
      - .offset:         72
        .size:           8
        .value_kind:     by_value
      - .address_space:  global
        .offset:         80
        .size:           8
        .value_kind:     global_buffer
      - .offset:         88
        .size:           8
        .value_kind:     by_value
      - .offset:         96
        .size:           8
        .value_kind:     by_value
      - .offset:         104
        .size:           4
        .value_kind:     by_value
    .group_segment_fixed_size: 4096
    .kernarg_segment_align: 8
    .kernarg_segment_size: 108
    .language:       OpenCL C
    .language_version:
      - 2
      - 0
    .max_flat_workgroup_size: 256
    .name:           _ZL29rocblas_internal_gemmt_kernelIlLi16ELi32ELi8ELc78ELc67ELc76ELb0ELb0EddPKPKdPKPdEviT_T9_T10_S7_lS9_S7_lS8_T11_S7_li
    .private_segment_fixed_size: 0
    .sgpr_count:     42
    .sgpr_spill_count: 0
    .symbol:         _ZL29rocblas_internal_gemmt_kernelIlLi16ELi32ELi8ELc78ELc67ELc76ELb0ELb0EddPKPKdPKPdEviT_T9_T10_S7_lS9_S7_lS8_T11_S7_li.kd
    .uniform_work_group_size: 1
    .uses_dynamic_stack: false
    .vgpr_count:     54
    .vgpr_spill_count: 0
    .wavefront_size: 64
  - .agpr_count:     0
    .args:
      - .offset:         0
        .size:           4
        .value_kind:     by_value
      - .offset:         8
        .size:           8
        .value_kind:     by_value
      - .offset:         16
        .size:           8
        .value_kind:     by_value
      - .address_space:  global
        .offset:         24
        .size:           8
        .value_kind:     global_buffer
      - .offset:         32
        .size:           8
        .value_kind:     by_value
      - .offset:         40
        .size:           8
        .value_kind:     by_value
      - .address_space:  global
        .offset:         48
        .size:           8
        .value_kind:     global_buffer
      - .offset:         56
        .size:           8
        .value_kind:     by_value
      - .offset:         64
        .size:           8
        .value_kind:     by_value
      - .offset:         72
        .size:           8
        .value_kind:     by_value
      - .address_space:  global
        .offset:         80
        .size:           8
        .value_kind:     global_buffer
      - .offset:         88
        .size:           8
        .value_kind:     by_value
      - .offset:         96
        .size:           8
        .value_kind:     by_value
      - .offset:         104
        .size:           4
        .value_kind:     by_value
    .group_segment_fixed_size: 4096
    .kernarg_segment_align: 8
    .kernarg_segment_size: 108
    .language:       OpenCL C
    .language_version:
      - 2
      - 0
    .max_flat_workgroup_size: 256
    .name:           _ZL29rocblas_internal_gemmt_kernelIlLi16ELi32ELi8ELc84ELc78ELc76ELb0ELb0EddPKPKdPKPdEviT_T9_T10_S7_lS9_S7_lS8_T11_S7_li
    .private_segment_fixed_size: 0
    .sgpr_count:     42
    .sgpr_spill_count: 0
    .symbol:         _ZL29rocblas_internal_gemmt_kernelIlLi16ELi32ELi8ELc84ELc78ELc76ELb0ELb0EddPKPKdPKPdEviT_T9_T10_S7_lS9_S7_lS8_T11_S7_li.kd
    .uniform_work_group_size: 1
    .uses_dynamic_stack: false
    .vgpr_count:     54
    .vgpr_spill_count: 0
    .wavefront_size: 64
  - .agpr_count:     0
    .args:
      - .offset:         0
        .size:           4
        .value_kind:     by_value
      - .offset:         8
        .size:           8
        .value_kind:     by_value
      - .offset:         16
        .size:           8
        .value_kind:     by_value
      - .address_space:  global
        .offset:         24
        .size:           8
        .value_kind:     global_buffer
      - .offset:         32
        .size:           8
        .value_kind:     by_value
      - .offset:         40
        .size:           8
        .value_kind:     by_value
      - .address_space:  global
        .offset:         48
        .size:           8
        .value_kind:     global_buffer
      - .offset:         56
        .size:           8
        .value_kind:     by_value
      - .offset:         64
        .size:           8
        .value_kind:     by_value
      - .offset:         72
        .size:           8
        .value_kind:     by_value
      - .address_space:  global
        .offset:         80
        .size:           8
        .value_kind:     global_buffer
      - .offset:         88
        .size:           8
        .value_kind:     by_value
      - .offset:         96
        .size:           8
        .value_kind:     by_value
      - .offset:         104
        .size:           4
        .value_kind:     by_value
    .group_segment_fixed_size: 4096
    .kernarg_segment_align: 8
    .kernarg_segment_size: 108
    .language:       OpenCL C
    .language_version:
      - 2
      - 0
    .max_flat_workgroup_size: 256
    .name:           _ZL29rocblas_internal_gemmt_kernelIlLi16ELi32ELi8ELc84ELc84ELc76ELb0ELb0EddPKPKdPKPdEviT_T9_T10_S7_lS9_S7_lS8_T11_S7_li
    .private_segment_fixed_size: 0
    .sgpr_count:     42
    .sgpr_spill_count: 0
    .symbol:         _ZL29rocblas_internal_gemmt_kernelIlLi16ELi32ELi8ELc84ELc84ELc76ELb0ELb0EddPKPKdPKPdEviT_T9_T10_S7_lS9_S7_lS8_T11_S7_li.kd
    .uniform_work_group_size: 1
    .uses_dynamic_stack: false
    .vgpr_count:     54
    .vgpr_spill_count: 0
    .wavefront_size: 64
  - .agpr_count:     0
    .args:
      - .offset:         0
        .size:           4
        .value_kind:     by_value
      - .offset:         8
        .size:           8
        .value_kind:     by_value
      - .offset:         16
        .size:           8
        .value_kind:     by_value
      - .address_space:  global
        .offset:         24
        .size:           8
        .value_kind:     global_buffer
      - .offset:         32
        .size:           8
        .value_kind:     by_value
      - .offset:         40
        .size:           8
        .value_kind:     by_value
      - .address_space:  global
        .offset:         48
        .size:           8
        .value_kind:     global_buffer
      - .offset:         56
        .size:           8
        .value_kind:     by_value
      - .offset:         64
        .size:           8
        .value_kind:     by_value
      - .offset:         72
        .size:           8
        .value_kind:     by_value
      - .address_space:  global
        .offset:         80
        .size:           8
        .value_kind:     global_buffer
      - .offset:         88
        .size:           8
        .value_kind:     by_value
      - .offset:         96
        .size:           8
        .value_kind:     by_value
      - .offset:         104
        .size:           4
        .value_kind:     by_value
    .group_segment_fixed_size: 4096
    .kernarg_segment_align: 8
    .kernarg_segment_size: 108
    .language:       OpenCL C
    .language_version:
      - 2
      - 0
    .max_flat_workgroup_size: 256
    .name:           _ZL29rocblas_internal_gemmt_kernelIlLi16ELi32ELi8ELc84ELc67ELc76ELb0ELb0EddPKPKdPKPdEviT_T9_T10_S7_lS9_S7_lS8_T11_S7_li
    .private_segment_fixed_size: 0
    .sgpr_count:     42
    .sgpr_spill_count: 0
    .symbol:         _ZL29rocblas_internal_gemmt_kernelIlLi16ELi32ELi8ELc84ELc67ELc76ELb0ELb0EddPKPKdPKPdEviT_T9_T10_S7_lS9_S7_lS8_T11_S7_li.kd
    .uniform_work_group_size: 1
    .uses_dynamic_stack: false
    .vgpr_count:     54
    .vgpr_spill_count: 0
    .wavefront_size: 64
  - .agpr_count:     0
    .args:
      - .offset:         0
        .size:           4
        .value_kind:     by_value
      - .offset:         8
        .size:           8
        .value_kind:     by_value
      - .offset:         16
        .size:           8
        .value_kind:     by_value
      - .address_space:  global
        .offset:         24
        .size:           8
        .value_kind:     global_buffer
      - .offset:         32
        .size:           8
        .value_kind:     by_value
      - .offset:         40
        .size:           8
        .value_kind:     by_value
      - .address_space:  global
        .offset:         48
        .size:           8
        .value_kind:     global_buffer
      - .offset:         56
        .size:           8
        .value_kind:     by_value
      - .offset:         64
        .size:           8
        .value_kind:     by_value
      - .offset:         72
        .size:           8
        .value_kind:     by_value
      - .address_space:  global
        .offset:         80
        .size:           8
        .value_kind:     global_buffer
      - .offset:         88
        .size:           8
        .value_kind:     by_value
      - .offset:         96
        .size:           8
        .value_kind:     by_value
      - .offset:         104
        .size:           4
        .value_kind:     by_value
    .group_segment_fixed_size: 4096
    .kernarg_segment_align: 8
    .kernarg_segment_size: 108
    .language:       OpenCL C
    .language_version:
      - 2
      - 0
    .max_flat_workgroup_size: 256
    .name:           _ZL29rocblas_internal_gemmt_kernelIlLi16ELi32ELi8ELc67ELc78ELc76ELb0ELb0EddPKPKdPKPdEviT_T9_T10_S7_lS9_S7_lS8_T11_S7_li
    .private_segment_fixed_size: 0
    .sgpr_count:     42
    .sgpr_spill_count: 0
    .symbol:         _ZL29rocblas_internal_gemmt_kernelIlLi16ELi32ELi8ELc67ELc78ELc76ELb0ELb0EddPKPKdPKPdEviT_T9_T10_S7_lS9_S7_lS8_T11_S7_li.kd
    .uniform_work_group_size: 1
    .uses_dynamic_stack: false
    .vgpr_count:     54
    .vgpr_spill_count: 0
    .wavefront_size: 64
  - .agpr_count:     0
    .args:
      - .offset:         0
        .size:           4
        .value_kind:     by_value
      - .offset:         8
        .size:           8
        .value_kind:     by_value
      - .offset:         16
        .size:           8
        .value_kind:     by_value
      - .address_space:  global
        .offset:         24
        .size:           8
        .value_kind:     global_buffer
      - .offset:         32
        .size:           8
        .value_kind:     by_value
      - .offset:         40
        .size:           8
        .value_kind:     by_value
      - .address_space:  global
        .offset:         48
        .size:           8
        .value_kind:     global_buffer
      - .offset:         56
        .size:           8
        .value_kind:     by_value
      - .offset:         64
        .size:           8
        .value_kind:     by_value
      - .offset:         72
        .size:           8
        .value_kind:     by_value
      - .address_space:  global
        .offset:         80
        .size:           8
        .value_kind:     global_buffer
      - .offset:         88
        .size:           8
        .value_kind:     by_value
      - .offset:         96
        .size:           8
        .value_kind:     by_value
      - .offset:         104
        .size:           4
        .value_kind:     by_value
    .group_segment_fixed_size: 4096
    .kernarg_segment_align: 8
    .kernarg_segment_size: 108
    .language:       OpenCL C
    .language_version:
      - 2
      - 0
    .max_flat_workgroup_size: 256
    .name:           _ZL29rocblas_internal_gemmt_kernelIlLi16ELi32ELi8ELc67ELc84ELc76ELb0ELb0EddPKPKdPKPdEviT_T9_T10_S7_lS9_S7_lS8_T11_S7_li
    .private_segment_fixed_size: 0
    .sgpr_count:     42
    .sgpr_spill_count: 0
    .symbol:         _ZL29rocblas_internal_gemmt_kernelIlLi16ELi32ELi8ELc67ELc84ELc76ELb0ELb0EddPKPKdPKPdEviT_T9_T10_S7_lS9_S7_lS8_T11_S7_li.kd
    .uniform_work_group_size: 1
    .uses_dynamic_stack: false
    .vgpr_count:     54
    .vgpr_spill_count: 0
    .wavefront_size: 64
  - .agpr_count:     0
    .args:
      - .offset:         0
        .size:           4
        .value_kind:     by_value
      - .offset:         8
        .size:           8
        .value_kind:     by_value
      - .offset:         16
        .size:           8
        .value_kind:     by_value
      - .address_space:  global
        .offset:         24
        .size:           8
        .value_kind:     global_buffer
      - .offset:         32
        .size:           8
        .value_kind:     by_value
      - .offset:         40
        .size:           8
        .value_kind:     by_value
      - .address_space:  global
        .offset:         48
        .size:           8
        .value_kind:     global_buffer
      - .offset:         56
        .size:           8
        .value_kind:     by_value
      - .offset:         64
        .size:           8
        .value_kind:     by_value
      - .offset:         72
        .size:           8
        .value_kind:     by_value
      - .address_space:  global
        .offset:         80
        .size:           8
        .value_kind:     global_buffer
      - .offset:         88
        .size:           8
        .value_kind:     by_value
      - .offset:         96
        .size:           8
        .value_kind:     by_value
      - .offset:         104
        .size:           4
        .value_kind:     by_value
    .group_segment_fixed_size: 4096
    .kernarg_segment_align: 8
    .kernarg_segment_size: 108
    .language:       OpenCL C
    .language_version:
      - 2
      - 0
    .max_flat_workgroup_size: 256
    .name:           _ZL29rocblas_internal_gemmt_kernelIlLi16ELi32ELi8ELc67ELc67ELc76ELb0ELb0EddPKPKdPKPdEviT_T9_T10_S7_lS9_S7_lS8_T11_S7_li
    .private_segment_fixed_size: 0
    .sgpr_count:     42
    .sgpr_spill_count: 0
    .symbol:         _ZL29rocblas_internal_gemmt_kernelIlLi16ELi32ELi8ELc67ELc67ELc76ELb0ELb0EddPKPKdPKPdEviT_T9_T10_S7_lS9_S7_lS8_T11_S7_li.kd
    .uniform_work_group_size: 1
    .uses_dynamic_stack: false
    .vgpr_count:     54
    .vgpr_spill_count: 0
    .wavefront_size: 64
  - .agpr_count:     0
    .args:
      - .offset:         0
        .size:           4
        .value_kind:     by_value
      - .offset:         8
        .size:           8
        .value_kind:     by_value
      - .address_space:  global
        .offset:         16
        .size:           8
        .value_kind:     global_buffer
      - .address_space:  global
        .offset:         24
        .size:           8
        .value_kind:     global_buffer
      - .offset:         32
        .size:           8
        .value_kind:     by_value
      - .offset:         40
        .size:           8
        .value_kind:     by_value
      - .address_space:  global
        .offset:         48
        .size:           8
        .value_kind:     global_buffer
      - .offset:         56
        .size:           8
        .value_kind:     by_value
      - .offset:         64
        .size:           8
        .value_kind:     by_value
      - .address_space:  global
        .offset:         72
        .size:           8
        .value_kind:     global_buffer
      - .address_space:  global
        .offset:         80
        .size:           8
        .value_kind:     global_buffer
      - .offset:         88
        .size:           8
        .value_kind:     by_value
      - .offset:         96
        .size:           8
        .value_kind:     by_value
      - .offset:         104
        .size:           4
        .value_kind:     by_value
    .group_segment_fixed_size: 4096
    .kernarg_segment_align: 8
    .kernarg_segment_size: 108
    .language:       OpenCL C
    .language_version:
      - 2
      - 0
    .max_flat_workgroup_size: 256
    .name:           _ZL29rocblas_internal_gemmt_kernelIlLi16ELi32ELi8ELc78ELc78ELc85ELb0ELb0E19rocblas_complex_numIfEPKS1_PKS3_PKPS1_EviT_T9_T10_S9_lSB_S9_lSA_T11_S9_li
    .private_segment_fixed_size: 0
    .sgpr_count:     46
    .sgpr_spill_count: 0
    .symbol:         _ZL29rocblas_internal_gemmt_kernelIlLi16ELi32ELi8ELc78ELc78ELc85ELb0ELb0E19rocblas_complex_numIfEPKS1_PKS3_PKPS1_EviT_T9_T10_S9_lSB_S9_lSA_T11_S9_li.kd
    .uniform_work_group_size: 1
    .uses_dynamic_stack: false
    .vgpr_count:     51
    .vgpr_spill_count: 0
    .wavefront_size: 64
  - .agpr_count:     0
    .args:
      - .offset:         0
        .size:           4
        .value_kind:     by_value
      - .offset:         8
        .size:           8
        .value_kind:     by_value
      - .address_space:  global
        .offset:         16
        .size:           8
        .value_kind:     global_buffer
      - .address_space:  global
        .offset:         24
        .size:           8
        .value_kind:     global_buffer
      - .offset:         32
        .size:           8
        .value_kind:     by_value
      - .offset:         40
        .size:           8
        .value_kind:     by_value
      - .address_space:  global
        .offset:         48
        .size:           8
        .value_kind:     global_buffer
      - .offset:         56
        .size:           8
        .value_kind:     by_value
      - .offset:         64
        .size:           8
        .value_kind:     by_value
      - .address_space:  global
        .offset:         72
        .size:           8
        .value_kind:     global_buffer
      - .address_space:  global
        .offset:         80
        .size:           8
        .value_kind:     global_buffer
      - .offset:         88
        .size:           8
        .value_kind:     by_value
      - .offset:         96
        .size:           8
        .value_kind:     by_value
      - .offset:         104
        .size:           4
        .value_kind:     by_value
    .group_segment_fixed_size: 4096
    .kernarg_segment_align: 8
    .kernarg_segment_size: 108
    .language:       OpenCL C
    .language_version:
      - 2
      - 0
    .max_flat_workgroup_size: 256
    .name:           _ZL29rocblas_internal_gemmt_kernelIlLi16ELi32ELi8ELc78ELc84ELc85ELb0ELb0E19rocblas_complex_numIfEPKS1_PKS3_PKPS1_EviT_T9_T10_S9_lSB_S9_lSA_T11_S9_li
    .private_segment_fixed_size: 0
    .sgpr_count:     46
    .sgpr_spill_count: 0
    .symbol:         _ZL29rocblas_internal_gemmt_kernelIlLi16ELi32ELi8ELc78ELc84ELc85ELb0ELb0E19rocblas_complex_numIfEPKS1_PKS3_PKPS1_EviT_T9_T10_S9_lSB_S9_lSA_T11_S9_li.kd
    .uniform_work_group_size: 1
    .uses_dynamic_stack: false
    .vgpr_count:     51
    .vgpr_spill_count: 0
    .wavefront_size: 64
  - .agpr_count:     0
    .args:
      - .offset:         0
        .size:           4
        .value_kind:     by_value
      - .offset:         8
        .size:           8
        .value_kind:     by_value
      - .address_space:  global
        .offset:         16
        .size:           8
        .value_kind:     global_buffer
      - .address_space:  global
        .offset:         24
        .size:           8
        .value_kind:     global_buffer
      - .offset:         32
        .size:           8
        .value_kind:     by_value
      - .offset:         40
        .size:           8
        .value_kind:     by_value
      - .address_space:  global
        .offset:         48
        .size:           8
        .value_kind:     global_buffer
      - .offset:         56
        .size:           8
        .value_kind:     by_value
      - .offset:         64
        .size:           8
        .value_kind:     by_value
      - .address_space:  global
        .offset:         72
        .size:           8
        .value_kind:     global_buffer
      - .address_space:  global
        .offset:         80
        .size:           8
        .value_kind:     global_buffer
      - .offset:         88
        .size:           8
        .value_kind:     by_value
      - .offset:         96
        .size:           8
        .value_kind:     by_value
      - .offset:         104
        .size:           4
        .value_kind:     by_value
    .group_segment_fixed_size: 4096
    .kernarg_segment_align: 8
    .kernarg_segment_size: 108
    .language:       OpenCL C
    .language_version:
      - 2
      - 0
    .max_flat_workgroup_size: 256
    .name:           _ZL29rocblas_internal_gemmt_kernelIlLi16ELi32ELi8ELc78ELc67ELc85ELb0ELb1E19rocblas_complex_numIfEPKS1_PKS3_PKPS1_EviT_T9_T10_S9_lSB_S9_lSA_T11_S9_li
    .private_segment_fixed_size: 0
    .sgpr_count:     46
    .sgpr_spill_count: 0
    .symbol:         _ZL29rocblas_internal_gemmt_kernelIlLi16ELi32ELi8ELc78ELc67ELc85ELb0ELb1E19rocblas_complex_numIfEPKS1_PKS3_PKPS1_EviT_T9_T10_S9_lSB_S9_lSA_T11_S9_li.kd
    .uniform_work_group_size: 1
    .uses_dynamic_stack: false
    .vgpr_count:     51
    .vgpr_spill_count: 0
    .wavefront_size: 64
  - .agpr_count:     0
    .args:
      - .offset:         0
        .size:           4
        .value_kind:     by_value
      - .offset:         8
        .size:           8
        .value_kind:     by_value
      - .address_space:  global
        .offset:         16
        .size:           8
        .value_kind:     global_buffer
      - .address_space:  global
        .offset:         24
        .size:           8
        .value_kind:     global_buffer
      - .offset:         32
        .size:           8
        .value_kind:     by_value
      - .offset:         40
        .size:           8
        .value_kind:     by_value
      - .address_space:  global
        .offset:         48
        .size:           8
        .value_kind:     global_buffer
      - .offset:         56
        .size:           8
        .value_kind:     by_value
      - .offset:         64
        .size:           8
        .value_kind:     by_value
      - .address_space:  global
        .offset:         72
        .size:           8
        .value_kind:     global_buffer
      - .address_space:  global
        .offset:         80
        .size:           8
        .value_kind:     global_buffer
      - .offset:         88
        .size:           8
        .value_kind:     by_value
      - .offset:         96
        .size:           8
        .value_kind:     by_value
      - .offset:         104
        .size:           4
        .value_kind:     by_value
    .group_segment_fixed_size: 4096
    .kernarg_segment_align: 8
    .kernarg_segment_size: 108
    .language:       OpenCL C
    .language_version:
      - 2
      - 0
    .max_flat_workgroup_size: 256
    .name:           _ZL29rocblas_internal_gemmt_kernelIlLi16ELi32ELi8ELc84ELc78ELc85ELb0ELb0E19rocblas_complex_numIfEPKS1_PKS3_PKPS1_EviT_T9_T10_S9_lSB_S9_lSA_T11_S9_li
    .private_segment_fixed_size: 0
    .sgpr_count:     46
    .sgpr_spill_count: 0
    .symbol:         _ZL29rocblas_internal_gemmt_kernelIlLi16ELi32ELi8ELc84ELc78ELc85ELb0ELb0E19rocblas_complex_numIfEPKS1_PKS3_PKPS1_EviT_T9_T10_S9_lSB_S9_lSA_T11_S9_li.kd
    .uniform_work_group_size: 1
    .uses_dynamic_stack: false
    .vgpr_count:     51
    .vgpr_spill_count: 0
    .wavefront_size: 64
  - .agpr_count:     0
    .args:
      - .offset:         0
        .size:           4
        .value_kind:     by_value
      - .offset:         8
        .size:           8
        .value_kind:     by_value
      - .address_space:  global
        .offset:         16
        .size:           8
        .value_kind:     global_buffer
      - .address_space:  global
        .offset:         24
        .size:           8
        .value_kind:     global_buffer
      - .offset:         32
        .size:           8
        .value_kind:     by_value
      - .offset:         40
        .size:           8
        .value_kind:     by_value
      - .address_space:  global
        .offset:         48
        .size:           8
        .value_kind:     global_buffer
      - .offset:         56
        .size:           8
        .value_kind:     by_value
      - .offset:         64
        .size:           8
        .value_kind:     by_value
      - .address_space:  global
        .offset:         72
        .size:           8
        .value_kind:     global_buffer
      - .address_space:  global
        .offset:         80
        .size:           8
        .value_kind:     global_buffer
      - .offset:         88
        .size:           8
        .value_kind:     by_value
      - .offset:         96
        .size:           8
        .value_kind:     by_value
      - .offset:         104
        .size:           4
        .value_kind:     by_value
    .group_segment_fixed_size: 4096
    .kernarg_segment_align: 8
    .kernarg_segment_size: 108
    .language:       OpenCL C
    .language_version:
      - 2
      - 0
    .max_flat_workgroup_size: 256
    .name:           _ZL29rocblas_internal_gemmt_kernelIlLi16ELi32ELi8ELc84ELc84ELc85ELb0ELb0E19rocblas_complex_numIfEPKS1_PKS3_PKPS1_EviT_T9_T10_S9_lSB_S9_lSA_T11_S9_li
    .private_segment_fixed_size: 0
    .sgpr_count:     46
    .sgpr_spill_count: 0
    .symbol:         _ZL29rocblas_internal_gemmt_kernelIlLi16ELi32ELi8ELc84ELc84ELc85ELb0ELb0E19rocblas_complex_numIfEPKS1_PKS3_PKPS1_EviT_T9_T10_S9_lSB_S9_lSA_T11_S9_li.kd
    .uniform_work_group_size: 1
    .uses_dynamic_stack: false
    .vgpr_count:     51
    .vgpr_spill_count: 0
    .wavefront_size: 64
  - .agpr_count:     0
    .args:
      - .offset:         0
        .size:           4
        .value_kind:     by_value
      - .offset:         8
        .size:           8
        .value_kind:     by_value
      - .address_space:  global
        .offset:         16
        .size:           8
        .value_kind:     global_buffer
      - .address_space:  global
        .offset:         24
        .size:           8
        .value_kind:     global_buffer
      - .offset:         32
        .size:           8
        .value_kind:     by_value
      - .offset:         40
        .size:           8
        .value_kind:     by_value
      - .address_space:  global
        .offset:         48
        .size:           8
        .value_kind:     global_buffer
      - .offset:         56
        .size:           8
        .value_kind:     by_value
      - .offset:         64
        .size:           8
        .value_kind:     by_value
      - .address_space:  global
        .offset:         72
        .size:           8
        .value_kind:     global_buffer
      - .address_space:  global
        .offset:         80
        .size:           8
        .value_kind:     global_buffer
      - .offset:         88
        .size:           8
        .value_kind:     by_value
      - .offset:         96
        .size:           8
        .value_kind:     by_value
      - .offset:         104
        .size:           4
        .value_kind:     by_value
    .group_segment_fixed_size: 4096
    .kernarg_segment_align: 8
    .kernarg_segment_size: 108
    .language:       OpenCL C
    .language_version:
      - 2
      - 0
    .max_flat_workgroup_size: 256
    .name:           _ZL29rocblas_internal_gemmt_kernelIlLi16ELi32ELi8ELc84ELc67ELc85ELb0ELb1E19rocblas_complex_numIfEPKS1_PKS3_PKPS1_EviT_T9_T10_S9_lSB_S9_lSA_T11_S9_li
    .private_segment_fixed_size: 0
    .sgpr_count:     46
    .sgpr_spill_count: 0
    .symbol:         _ZL29rocblas_internal_gemmt_kernelIlLi16ELi32ELi8ELc84ELc67ELc85ELb0ELb1E19rocblas_complex_numIfEPKS1_PKS3_PKPS1_EviT_T9_T10_S9_lSB_S9_lSA_T11_S9_li.kd
    .uniform_work_group_size: 1
    .uses_dynamic_stack: false
    .vgpr_count:     51
    .vgpr_spill_count: 0
    .wavefront_size: 64
  - .agpr_count:     0
    .args:
      - .offset:         0
        .size:           4
        .value_kind:     by_value
      - .offset:         8
        .size:           8
        .value_kind:     by_value
      - .address_space:  global
        .offset:         16
        .size:           8
        .value_kind:     global_buffer
      - .address_space:  global
        .offset:         24
        .size:           8
        .value_kind:     global_buffer
      - .offset:         32
        .size:           8
        .value_kind:     by_value
      - .offset:         40
        .size:           8
        .value_kind:     by_value
      - .address_space:  global
        .offset:         48
        .size:           8
        .value_kind:     global_buffer
      - .offset:         56
        .size:           8
        .value_kind:     by_value
      - .offset:         64
        .size:           8
        .value_kind:     by_value
      - .address_space:  global
        .offset:         72
        .size:           8
        .value_kind:     global_buffer
      - .address_space:  global
        .offset:         80
        .size:           8
        .value_kind:     global_buffer
      - .offset:         88
        .size:           8
        .value_kind:     by_value
      - .offset:         96
        .size:           8
        .value_kind:     by_value
      - .offset:         104
        .size:           4
        .value_kind:     by_value
    .group_segment_fixed_size: 4096
    .kernarg_segment_align: 8
    .kernarg_segment_size: 108
    .language:       OpenCL C
    .language_version:
      - 2
      - 0
    .max_flat_workgroup_size: 256
    .name:           _ZL29rocblas_internal_gemmt_kernelIlLi16ELi32ELi8ELc67ELc78ELc85ELb1ELb0E19rocblas_complex_numIfEPKS1_PKS3_PKPS1_EviT_T9_T10_S9_lSB_S9_lSA_T11_S9_li
    .private_segment_fixed_size: 0
    .sgpr_count:     46
    .sgpr_spill_count: 0
    .symbol:         _ZL29rocblas_internal_gemmt_kernelIlLi16ELi32ELi8ELc67ELc78ELc85ELb1ELb0E19rocblas_complex_numIfEPKS1_PKS3_PKPS1_EviT_T9_T10_S9_lSB_S9_lSA_T11_S9_li.kd
    .uniform_work_group_size: 1
    .uses_dynamic_stack: false
    .vgpr_count:     53
    .vgpr_spill_count: 0
    .wavefront_size: 64
  - .agpr_count:     0
    .args:
      - .offset:         0
        .size:           4
        .value_kind:     by_value
      - .offset:         8
        .size:           8
        .value_kind:     by_value
      - .address_space:  global
        .offset:         16
        .size:           8
        .value_kind:     global_buffer
      - .address_space:  global
        .offset:         24
        .size:           8
        .value_kind:     global_buffer
      - .offset:         32
        .size:           8
        .value_kind:     by_value
      - .offset:         40
        .size:           8
        .value_kind:     by_value
      - .address_space:  global
        .offset:         48
        .size:           8
        .value_kind:     global_buffer
      - .offset:         56
        .size:           8
        .value_kind:     by_value
      - .offset:         64
        .size:           8
        .value_kind:     by_value
      - .address_space:  global
        .offset:         72
        .size:           8
        .value_kind:     global_buffer
      - .address_space:  global
        .offset:         80
        .size:           8
        .value_kind:     global_buffer
      - .offset:         88
        .size:           8
        .value_kind:     by_value
      - .offset:         96
        .size:           8
        .value_kind:     by_value
      - .offset:         104
        .size:           4
        .value_kind:     by_value
    .group_segment_fixed_size: 4096
    .kernarg_segment_align: 8
    .kernarg_segment_size: 108
    .language:       OpenCL C
    .language_version:
      - 2
      - 0
    .max_flat_workgroup_size: 256
    .name:           _ZL29rocblas_internal_gemmt_kernelIlLi16ELi32ELi8ELc67ELc84ELc85ELb1ELb0E19rocblas_complex_numIfEPKS1_PKS3_PKPS1_EviT_T9_T10_S9_lSB_S9_lSA_T11_S9_li
    .private_segment_fixed_size: 0
    .sgpr_count:     46
    .sgpr_spill_count: 0
    .symbol:         _ZL29rocblas_internal_gemmt_kernelIlLi16ELi32ELi8ELc67ELc84ELc85ELb1ELb0E19rocblas_complex_numIfEPKS1_PKS3_PKPS1_EviT_T9_T10_S9_lSB_S9_lSA_T11_S9_li.kd
    .uniform_work_group_size: 1
    .uses_dynamic_stack: false
    .vgpr_count:     53
    .vgpr_spill_count: 0
    .wavefront_size: 64
  - .agpr_count:     0
    .args:
      - .offset:         0
        .size:           4
        .value_kind:     by_value
      - .offset:         8
        .size:           8
        .value_kind:     by_value
      - .address_space:  global
        .offset:         16
        .size:           8
        .value_kind:     global_buffer
      - .address_space:  global
        .offset:         24
        .size:           8
        .value_kind:     global_buffer
      - .offset:         32
        .size:           8
        .value_kind:     by_value
      - .offset:         40
        .size:           8
        .value_kind:     by_value
      - .address_space:  global
        .offset:         48
        .size:           8
        .value_kind:     global_buffer
      - .offset:         56
        .size:           8
        .value_kind:     by_value
      - .offset:         64
        .size:           8
        .value_kind:     by_value
      - .address_space:  global
        .offset:         72
        .size:           8
        .value_kind:     global_buffer
      - .address_space:  global
        .offset:         80
        .size:           8
        .value_kind:     global_buffer
      - .offset:         88
        .size:           8
        .value_kind:     by_value
      - .offset:         96
        .size:           8
        .value_kind:     by_value
      - .offset:         104
        .size:           4
        .value_kind:     by_value
    .group_segment_fixed_size: 4096
    .kernarg_segment_align: 8
    .kernarg_segment_size: 108
    .language:       OpenCL C
    .language_version:
      - 2
      - 0
    .max_flat_workgroup_size: 256
    .name:           _ZL29rocblas_internal_gemmt_kernelIlLi16ELi32ELi8ELc67ELc67ELc85ELb1ELb1E19rocblas_complex_numIfEPKS1_PKS3_PKPS1_EviT_T9_T10_S9_lSB_S9_lSA_T11_S9_li
    .private_segment_fixed_size: 0
    .sgpr_count:     46
    .sgpr_spill_count: 0
    .symbol:         _ZL29rocblas_internal_gemmt_kernelIlLi16ELi32ELi8ELc67ELc67ELc85ELb1ELb1E19rocblas_complex_numIfEPKS1_PKS3_PKPS1_EviT_T9_T10_S9_lSB_S9_lSA_T11_S9_li.kd
    .uniform_work_group_size: 1
    .uses_dynamic_stack: false
    .vgpr_count:     53
    .vgpr_spill_count: 0
    .wavefront_size: 64
  - .agpr_count:     0
    .args:
      - .offset:         0
        .size:           4
        .value_kind:     by_value
      - .offset:         8
        .size:           8
        .value_kind:     by_value
      - .address_space:  global
        .offset:         16
        .size:           8
        .value_kind:     global_buffer
      - .address_space:  global
        .offset:         24
        .size:           8
        .value_kind:     global_buffer
      - .offset:         32
        .size:           8
        .value_kind:     by_value
      - .offset:         40
        .size:           8
        .value_kind:     by_value
      - .address_space:  global
        .offset:         48
        .size:           8
        .value_kind:     global_buffer
      - .offset:         56
        .size:           8
        .value_kind:     by_value
      - .offset:         64
        .size:           8
        .value_kind:     by_value
      - .address_space:  global
        .offset:         72
        .size:           8
        .value_kind:     global_buffer
      - .address_space:  global
        .offset:         80
        .size:           8
        .value_kind:     global_buffer
      - .offset:         88
        .size:           8
        .value_kind:     by_value
      - .offset:         96
        .size:           8
        .value_kind:     by_value
      - .offset:         104
        .size:           4
        .value_kind:     by_value
    .group_segment_fixed_size: 4096
    .kernarg_segment_align: 8
    .kernarg_segment_size: 108
    .language:       OpenCL C
    .language_version:
      - 2
      - 0
    .max_flat_workgroup_size: 256
    .name:           _ZL29rocblas_internal_gemmt_kernelIlLi16ELi32ELi8ELc78ELc78ELc76ELb0ELb0E19rocblas_complex_numIfEPKS1_PKS3_PKPS1_EviT_T9_T10_S9_lSB_S9_lSA_T11_S9_li
    .private_segment_fixed_size: 0
    .sgpr_count:     46
    .sgpr_spill_count: 0
    .symbol:         _ZL29rocblas_internal_gemmt_kernelIlLi16ELi32ELi8ELc78ELc78ELc76ELb0ELb0E19rocblas_complex_numIfEPKS1_PKS3_PKPS1_EviT_T9_T10_S9_lSB_S9_lSA_T11_S9_li.kd
    .uniform_work_group_size: 1
    .uses_dynamic_stack: false
    .vgpr_count:     51
    .vgpr_spill_count: 0
    .wavefront_size: 64
  - .agpr_count:     0
    .args:
      - .offset:         0
        .size:           4
        .value_kind:     by_value
      - .offset:         8
        .size:           8
        .value_kind:     by_value
      - .address_space:  global
        .offset:         16
        .size:           8
        .value_kind:     global_buffer
      - .address_space:  global
        .offset:         24
        .size:           8
        .value_kind:     global_buffer
      - .offset:         32
        .size:           8
        .value_kind:     by_value
      - .offset:         40
        .size:           8
        .value_kind:     by_value
      - .address_space:  global
        .offset:         48
        .size:           8
        .value_kind:     global_buffer
      - .offset:         56
        .size:           8
        .value_kind:     by_value
      - .offset:         64
        .size:           8
        .value_kind:     by_value
      - .address_space:  global
        .offset:         72
        .size:           8
        .value_kind:     global_buffer
      - .address_space:  global
        .offset:         80
        .size:           8
        .value_kind:     global_buffer
      - .offset:         88
        .size:           8
        .value_kind:     by_value
      - .offset:         96
        .size:           8
        .value_kind:     by_value
      - .offset:         104
        .size:           4
        .value_kind:     by_value
    .group_segment_fixed_size: 4096
    .kernarg_segment_align: 8
    .kernarg_segment_size: 108
    .language:       OpenCL C
    .language_version:
      - 2
      - 0
    .max_flat_workgroup_size: 256
    .name:           _ZL29rocblas_internal_gemmt_kernelIlLi16ELi32ELi8ELc78ELc84ELc76ELb0ELb0E19rocblas_complex_numIfEPKS1_PKS3_PKPS1_EviT_T9_T10_S9_lSB_S9_lSA_T11_S9_li
    .private_segment_fixed_size: 0
    .sgpr_count:     46
    .sgpr_spill_count: 0
    .symbol:         _ZL29rocblas_internal_gemmt_kernelIlLi16ELi32ELi8ELc78ELc84ELc76ELb0ELb0E19rocblas_complex_numIfEPKS1_PKS3_PKPS1_EviT_T9_T10_S9_lSB_S9_lSA_T11_S9_li.kd
    .uniform_work_group_size: 1
    .uses_dynamic_stack: false
    .vgpr_count:     51
    .vgpr_spill_count: 0
    .wavefront_size: 64
  - .agpr_count:     0
    .args:
      - .offset:         0
        .size:           4
        .value_kind:     by_value
      - .offset:         8
        .size:           8
        .value_kind:     by_value
      - .address_space:  global
        .offset:         16
        .size:           8
        .value_kind:     global_buffer
      - .address_space:  global
        .offset:         24
        .size:           8
        .value_kind:     global_buffer
      - .offset:         32
        .size:           8
        .value_kind:     by_value
      - .offset:         40
        .size:           8
        .value_kind:     by_value
      - .address_space:  global
        .offset:         48
        .size:           8
        .value_kind:     global_buffer
      - .offset:         56
        .size:           8
        .value_kind:     by_value
      - .offset:         64
        .size:           8
        .value_kind:     by_value
      - .address_space:  global
        .offset:         72
        .size:           8
        .value_kind:     global_buffer
      - .address_space:  global
        .offset:         80
        .size:           8
        .value_kind:     global_buffer
      - .offset:         88
        .size:           8
        .value_kind:     by_value
      - .offset:         96
        .size:           8
        .value_kind:     by_value
      - .offset:         104
        .size:           4
        .value_kind:     by_value
    .group_segment_fixed_size: 4096
    .kernarg_segment_align: 8
    .kernarg_segment_size: 108
    .language:       OpenCL C
    .language_version:
      - 2
      - 0
    .max_flat_workgroup_size: 256
    .name:           _ZL29rocblas_internal_gemmt_kernelIlLi16ELi32ELi8ELc78ELc67ELc76ELb0ELb1E19rocblas_complex_numIfEPKS1_PKS3_PKPS1_EviT_T9_T10_S9_lSB_S9_lSA_T11_S9_li
    .private_segment_fixed_size: 0
    .sgpr_count:     46
    .sgpr_spill_count: 0
    .symbol:         _ZL29rocblas_internal_gemmt_kernelIlLi16ELi32ELi8ELc78ELc67ELc76ELb0ELb1E19rocblas_complex_numIfEPKS1_PKS3_PKPS1_EviT_T9_T10_S9_lSB_S9_lSA_T11_S9_li.kd
    .uniform_work_group_size: 1
    .uses_dynamic_stack: false
    .vgpr_count:     51
    .vgpr_spill_count: 0
    .wavefront_size: 64
  - .agpr_count:     0
    .args:
      - .offset:         0
        .size:           4
        .value_kind:     by_value
      - .offset:         8
        .size:           8
        .value_kind:     by_value
      - .address_space:  global
        .offset:         16
        .size:           8
        .value_kind:     global_buffer
      - .address_space:  global
        .offset:         24
        .size:           8
        .value_kind:     global_buffer
      - .offset:         32
        .size:           8
        .value_kind:     by_value
      - .offset:         40
        .size:           8
        .value_kind:     by_value
      - .address_space:  global
        .offset:         48
        .size:           8
        .value_kind:     global_buffer
      - .offset:         56
        .size:           8
        .value_kind:     by_value
      - .offset:         64
        .size:           8
        .value_kind:     by_value
      - .address_space:  global
        .offset:         72
        .size:           8
        .value_kind:     global_buffer
      - .address_space:  global
        .offset:         80
        .size:           8
        .value_kind:     global_buffer
      - .offset:         88
        .size:           8
        .value_kind:     by_value
      - .offset:         96
        .size:           8
        .value_kind:     by_value
      - .offset:         104
        .size:           4
        .value_kind:     by_value
    .group_segment_fixed_size: 4096
    .kernarg_segment_align: 8
    .kernarg_segment_size: 108
    .language:       OpenCL C
    .language_version:
      - 2
      - 0
    .max_flat_workgroup_size: 256
    .name:           _ZL29rocblas_internal_gemmt_kernelIlLi16ELi32ELi8ELc84ELc78ELc76ELb0ELb0E19rocblas_complex_numIfEPKS1_PKS3_PKPS1_EviT_T9_T10_S9_lSB_S9_lSA_T11_S9_li
    .private_segment_fixed_size: 0
    .sgpr_count:     46
    .sgpr_spill_count: 0
    .symbol:         _ZL29rocblas_internal_gemmt_kernelIlLi16ELi32ELi8ELc84ELc78ELc76ELb0ELb0E19rocblas_complex_numIfEPKS1_PKS3_PKPS1_EviT_T9_T10_S9_lSB_S9_lSA_T11_S9_li.kd
    .uniform_work_group_size: 1
    .uses_dynamic_stack: false
    .vgpr_count:     51
    .vgpr_spill_count: 0
    .wavefront_size: 64
  - .agpr_count:     0
    .args:
      - .offset:         0
        .size:           4
        .value_kind:     by_value
      - .offset:         8
        .size:           8
        .value_kind:     by_value
      - .address_space:  global
        .offset:         16
        .size:           8
        .value_kind:     global_buffer
      - .address_space:  global
        .offset:         24
        .size:           8
        .value_kind:     global_buffer
      - .offset:         32
        .size:           8
        .value_kind:     by_value
      - .offset:         40
        .size:           8
        .value_kind:     by_value
      - .address_space:  global
        .offset:         48
        .size:           8
        .value_kind:     global_buffer
      - .offset:         56
        .size:           8
        .value_kind:     by_value
      - .offset:         64
        .size:           8
        .value_kind:     by_value
      - .address_space:  global
        .offset:         72
        .size:           8
        .value_kind:     global_buffer
      - .address_space:  global
        .offset:         80
        .size:           8
        .value_kind:     global_buffer
      - .offset:         88
        .size:           8
        .value_kind:     by_value
      - .offset:         96
        .size:           8
        .value_kind:     by_value
      - .offset:         104
        .size:           4
        .value_kind:     by_value
    .group_segment_fixed_size: 4096
    .kernarg_segment_align: 8
    .kernarg_segment_size: 108
    .language:       OpenCL C
    .language_version:
      - 2
      - 0
    .max_flat_workgroup_size: 256
    .name:           _ZL29rocblas_internal_gemmt_kernelIlLi16ELi32ELi8ELc84ELc84ELc76ELb0ELb0E19rocblas_complex_numIfEPKS1_PKS3_PKPS1_EviT_T9_T10_S9_lSB_S9_lSA_T11_S9_li
    .private_segment_fixed_size: 0
    .sgpr_count:     46
    .sgpr_spill_count: 0
    .symbol:         _ZL29rocblas_internal_gemmt_kernelIlLi16ELi32ELi8ELc84ELc84ELc76ELb0ELb0E19rocblas_complex_numIfEPKS1_PKS3_PKPS1_EviT_T9_T10_S9_lSB_S9_lSA_T11_S9_li.kd
    .uniform_work_group_size: 1
    .uses_dynamic_stack: false
    .vgpr_count:     51
    .vgpr_spill_count: 0
    .wavefront_size: 64
  - .agpr_count:     0
    .args:
      - .offset:         0
        .size:           4
        .value_kind:     by_value
      - .offset:         8
        .size:           8
        .value_kind:     by_value
      - .address_space:  global
        .offset:         16
        .size:           8
        .value_kind:     global_buffer
      - .address_space:  global
        .offset:         24
        .size:           8
        .value_kind:     global_buffer
      - .offset:         32
        .size:           8
        .value_kind:     by_value
      - .offset:         40
        .size:           8
        .value_kind:     by_value
      - .address_space:  global
        .offset:         48
        .size:           8
        .value_kind:     global_buffer
      - .offset:         56
        .size:           8
        .value_kind:     by_value
      - .offset:         64
        .size:           8
        .value_kind:     by_value
      - .address_space:  global
        .offset:         72
        .size:           8
        .value_kind:     global_buffer
      - .address_space:  global
        .offset:         80
        .size:           8
        .value_kind:     global_buffer
      - .offset:         88
        .size:           8
        .value_kind:     by_value
      - .offset:         96
        .size:           8
        .value_kind:     by_value
      - .offset:         104
        .size:           4
        .value_kind:     by_value
    .group_segment_fixed_size: 4096
    .kernarg_segment_align: 8
    .kernarg_segment_size: 108
    .language:       OpenCL C
    .language_version:
      - 2
      - 0
    .max_flat_workgroup_size: 256
    .name:           _ZL29rocblas_internal_gemmt_kernelIlLi16ELi32ELi8ELc84ELc67ELc76ELb0ELb1E19rocblas_complex_numIfEPKS1_PKS3_PKPS1_EviT_T9_T10_S9_lSB_S9_lSA_T11_S9_li
    .private_segment_fixed_size: 0
    .sgpr_count:     46
    .sgpr_spill_count: 0
    .symbol:         _ZL29rocblas_internal_gemmt_kernelIlLi16ELi32ELi8ELc84ELc67ELc76ELb0ELb1E19rocblas_complex_numIfEPKS1_PKS3_PKPS1_EviT_T9_T10_S9_lSB_S9_lSA_T11_S9_li.kd
    .uniform_work_group_size: 1
    .uses_dynamic_stack: false
    .vgpr_count:     51
    .vgpr_spill_count: 0
    .wavefront_size: 64
  - .agpr_count:     0
    .args:
      - .offset:         0
        .size:           4
        .value_kind:     by_value
      - .offset:         8
        .size:           8
        .value_kind:     by_value
      - .address_space:  global
        .offset:         16
        .size:           8
        .value_kind:     global_buffer
      - .address_space:  global
        .offset:         24
        .size:           8
        .value_kind:     global_buffer
      - .offset:         32
        .size:           8
        .value_kind:     by_value
      - .offset:         40
        .size:           8
        .value_kind:     by_value
      - .address_space:  global
        .offset:         48
        .size:           8
        .value_kind:     global_buffer
      - .offset:         56
        .size:           8
        .value_kind:     by_value
      - .offset:         64
        .size:           8
        .value_kind:     by_value
      - .address_space:  global
        .offset:         72
        .size:           8
        .value_kind:     global_buffer
      - .address_space:  global
        .offset:         80
        .size:           8
        .value_kind:     global_buffer
      - .offset:         88
        .size:           8
        .value_kind:     by_value
      - .offset:         96
        .size:           8
        .value_kind:     by_value
      - .offset:         104
        .size:           4
        .value_kind:     by_value
    .group_segment_fixed_size: 4096
    .kernarg_segment_align: 8
    .kernarg_segment_size: 108
    .language:       OpenCL C
    .language_version:
      - 2
      - 0
    .max_flat_workgroup_size: 256
    .name:           _ZL29rocblas_internal_gemmt_kernelIlLi16ELi32ELi8ELc67ELc78ELc76ELb1ELb0E19rocblas_complex_numIfEPKS1_PKS3_PKPS1_EviT_T9_T10_S9_lSB_S9_lSA_T11_S9_li
    .private_segment_fixed_size: 0
    .sgpr_count:     46
    .sgpr_spill_count: 0
    .symbol:         _ZL29rocblas_internal_gemmt_kernelIlLi16ELi32ELi8ELc67ELc78ELc76ELb1ELb0E19rocblas_complex_numIfEPKS1_PKS3_PKPS1_EviT_T9_T10_S9_lSB_S9_lSA_T11_S9_li.kd
    .uniform_work_group_size: 1
    .uses_dynamic_stack: false
    .vgpr_count:     53
    .vgpr_spill_count: 0
    .wavefront_size: 64
  - .agpr_count:     0
    .args:
      - .offset:         0
        .size:           4
        .value_kind:     by_value
      - .offset:         8
        .size:           8
        .value_kind:     by_value
      - .address_space:  global
        .offset:         16
        .size:           8
        .value_kind:     global_buffer
      - .address_space:  global
        .offset:         24
        .size:           8
        .value_kind:     global_buffer
      - .offset:         32
        .size:           8
        .value_kind:     by_value
      - .offset:         40
        .size:           8
        .value_kind:     by_value
      - .address_space:  global
        .offset:         48
        .size:           8
        .value_kind:     global_buffer
      - .offset:         56
        .size:           8
        .value_kind:     by_value
      - .offset:         64
        .size:           8
        .value_kind:     by_value
      - .address_space:  global
        .offset:         72
        .size:           8
        .value_kind:     global_buffer
      - .address_space:  global
        .offset:         80
        .size:           8
        .value_kind:     global_buffer
      - .offset:         88
        .size:           8
        .value_kind:     by_value
      - .offset:         96
        .size:           8
        .value_kind:     by_value
      - .offset:         104
        .size:           4
        .value_kind:     by_value
    .group_segment_fixed_size: 4096
    .kernarg_segment_align: 8
    .kernarg_segment_size: 108
    .language:       OpenCL C
    .language_version:
      - 2
      - 0
    .max_flat_workgroup_size: 256
    .name:           _ZL29rocblas_internal_gemmt_kernelIlLi16ELi32ELi8ELc67ELc84ELc76ELb1ELb0E19rocblas_complex_numIfEPKS1_PKS3_PKPS1_EviT_T9_T10_S9_lSB_S9_lSA_T11_S9_li
    .private_segment_fixed_size: 0
    .sgpr_count:     46
    .sgpr_spill_count: 0
    .symbol:         _ZL29rocblas_internal_gemmt_kernelIlLi16ELi32ELi8ELc67ELc84ELc76ELb1ELb0E19rocblas_complex_numIfEPKS1_PKS3_PKPS1_EviT_T9_T10_S9_lSB_S9_lSA_T11_S9_li.kd
    .uniform_work_group_size: 1
    .uses_dynamic_stack: false
    .vgpr_count:     53
    .vgpr_spill_count: 0
    .wavefront_size: 64
  - .agpr_count:     0
    .args:
      - .offset:         0
        .size:           4
        .value_kind:     by_value
      - .offset:         8
        .size:           8
        .value_kind:     by_value
      - .address_space:  global
        .offset:         16
        .size:           8
        .value_kind:     global_buffer
      - .address_space:  global
        .offset:         24
        .size:           8
        .value_kind:     global_buffer
      - .offset:         32
        .size:           8
        .value_kind:     by_value
      - .offset:         40
        .size:           8
        .value_kind:     by_value
      - .address_space:  global
        .offset:         48
        .size:           8
        .value_kind:     global_buffer
      - .offset:         56
        .size:           8
        .value_kind:     by_value
      - .offset:         64
        .size:           8
        .value_kind:     by_value
      - .address_space:  global
        .offset:         72
        .size:           8
        .value_kind:     global_buffer
      - .address_space:  global
        .offset:         80
        .size:           8
        .value_kind:     global_buffer
      - .offset:         88
        .size:           8
        .value_kind:     by_value
      - .offset:         96
        .size:           8
        .value_kind:     by_value
      - .offset:         104
        .size:           4
        .value_kind:     by_value
    .group_segment_fixed_size: 4096
    .kernarg_segment_align: 8
    .kernarg_segment_size: 108
    .language:       OpenCL C
    .language_version:
      - 2
      - 0
    .max_flat_workgroup_size: 256
    .name:           _ZL29rocblas_internal_gemmt_kernelIlLi16ELi32ELi8ELc67ELc67ELc76ELb1ELb1E19rocblas_complex_numIfEPKS1_PKS3_PKPS1_EviT_T9_T10_S9_lSB_S9_lSA_T11_S9_li
    .private_segment_fixed_size: 0
    .sgpr_count:     46
    .sgpr_spill_count: 0
    .symbol:         _ZL29rocblas_internal_gemmt_kernelIlLi16ELi32ELi8ELc67ELc67ELc76ELb1ELb1E19rocblas_complex_numIfEPKS1_PKS3_PKPS1_EviT_T9_T10_S9_lSB_S9_lSA_T11_S9_li.kd
    .uniform_work_group_size: 1
    .uses_dynamic_stack: false
    .vgpr_count:     53
    .vgpr_spill_count: 0
    .wavefront_size: 64
  - .agpr_count:     0
    .args:
      - .offset:         0
        .size:           4
        .value_kind:     by_value
      - .offset:         8
        .size:           8
        .value_kind:     by_value
      - .offset:         16
        .size:           8
        .value_kind:     by_value
      - .address_space:  global
        .offset:         24
        .size:           8
        .value_kind:     global_buffer
      - .offset:         32
        .size:           8
        .value_kind:     by_value
      - .offset:         40
        .size:           8
        .value_kind:     by_value
      - .address_space:  global
        .offset:         48
        .size:           8
        .value_kind:     global_buffer
      - .offset:         56
        .size:           8
        .value_kind:     by_value
      - .offset:         64
        .size:           8
        .value_kind:     by_value
      - .offset:         72
        .size:           8
        .value_kind:     by_value
      - .address_space:  global
        .offset:         80
        .size:           8
        .value_kind:     global_buffer
      - .offset:         88
        .size:           8
        .value_kind:     by_value
      - .offset:         96
        .size:           8
        .value_kind:     by_value
      - .offset:         104
        .size:           4
        .value_kind:     by_value
    .group_segment_fixed_size: 4096
    .kernarg_segment_align: 8
    .kernarg_segment_size: 108
    .language:       OpenCL C
    .language_version:
      - 2
      - 0
    .max_flat_workgroup_size: 256
    .name:           _ZL29rocblas_internal_gemmt_kernelIlLi16ELi32ELi8ELc78ELc78ELc85ELb0ELb0E19rocblas_complex_numIfES1_PKPKS1_PKPS1_EviT_T9_T10_S9_lSB_S9_lSA_T11_S9_li
    .private_segment_fixed_size: 0
    .sgpr_count:     42
    .sgpr_spill_count: 0
    .symbol:         _ZL29rocblas_internal_gemmt_kernelIlLi16ELi32ELi8ELc78ELc78ELc85ELb0ELb0E19rocblas_complex_numIfES1_PKPKS1_PKPS1_EviT_T9_T10_S9_lSB_S9_lSA_T11_S9_li.kd
    .uniform_work_group_size: 1
    .uses_dynamic_stack: false
    .vgpr_count:     51
    .vgpr_spill_count: 0
    .wavefront_size: 64
  - .agpr_count:     0
    .args:
      - .offset:         0
        .size:           4
        .value_kind:     by_value
      - .offset:         8
        .size:           8
        .value_kind:     by_value
      - .offset:         16
        .size:           8
        .value_kind:     by_value
      - .address_space:  global
        .offset:         24
        .size:           8
        .value_kind:     global_buffer
      - .offset:         32
        .size:           8
        .value_kind:     by_value
      - .offset:         40
        .size:           8
        .value_kind:     by_value
      - .address_space:  global
        .offset:         48
        .size:           8
        .value_kind:     global_buffer
      - .offset:         56
        .size:           8
        .value_kind:     by_value
      - .offset:         64
        .size:           8
        .value_kind:     by_value
      - .offset:         72
        .size:           8
        .value_kind:     by_value
      - .address_space:  global
        .offset:         80
        .size:           8
        .value_kind:     global_buffer
      - .offset:         88
        .size:           8
        .value_kind:     by_value
      - .offset:         96
        .size:           8
        .value_kind:     by_value
      - .offset:         104
        .size:           4
        .value_kind:     by_value
    .group_segment_fixed_size: 4096
    .kernarg_segment_align: 8
    .kernarg_segment_size: 108
    .language:       OpenCL C
    .language_version:
      - 2
      - 0
    .max_flat_workgroup_size: 256
    .name:           _ZL29rocblas_internal_gemmt_kernelIlLi16ELi32ELi8ELc78ELc84ELc85ELb0ELb0E19rocblas_complex_numIfES1_PKPKS1_PKPS1_EviT_T9_T10_S9_lSB_S9_lSA_T11_S9_li
    .private_segment_fixed_size: 0
    .sgpr_count:     42
    .sgpr_spill_count: 0
    .symbol:         _ZL29rocblas_internal_gemmt_kernelIlLi16ELi32ELi8ELc78ELc84ELc85ELb0ELb0E19rocblas_complex_numIfES1_PKPKS1_PKPS1_EviT_T9_T10_S9_lSB_S9_lSA_T11_S9_li.kd
    .uniform_work_group_size: 1
    .uses_dynamic_stack: false
    .vgpr_count:     51
    .vgpr_spill_count: 0
    .wavefront_size: 64
  - .agpr_count:     0
    .args:
      - .offset:         0
        .size:           4
        .value_kind:     by_value
      - .offset:         8
        .size:           8
        .value_kind:     by_value
      - .offset:         16
        .size:           8
        .value_kind:     by_value
      - .address_space:  global
        .offset:         24
        .size:           8
        .value_kind:     global_buffer
      - .offset:         32
        .size:           8
        .value_kind:     by_value
      - .offset:         40
        .size:           8
        .value_kind:     by_value
      - .address_space:  global
        .offset:         48
        .size:           8
        .value_kind:     global_buffer
      - .offset:         56
        .size:           8
        .value_kind:     by_value
      - .offset:         64
        .size:           8
        .value_kind:     by_value
      - .offset:         72
        .size:           8
        .value_kind:     by_value
      - .address_space:  global
        .offset:         80
        .size:           8
        .value_kind:     global_buffer
      - .offset:         88
        .size:           8
        .value_kind:     by_value
      - .offset:         96
        .size:           8
        .value_kind:     by_value
      - .offset:         104
        .size:           4
        .value_kind:     by_value
    .group_segment_fixed_size: 4096
    .kernarg_segment_align: 8
    .kernarg_segment_size: 108
    .language:       OpenCL C
    .language_version:
      - 2
      - 0
    .max_flat_workgroup_size: 256
    .name:           _ZL29rocblas_internal_gemmt_kernelIlLi16ELi32ELi8ELc78ELc67ELc85ELb0ELb1E19rocblas_complex_numIfES1_PKPKS1_PKPS1_EviT_T9_T10_S9_lSB_S9_lSA_T11_S9_li
    .private_segment_fixed_size: 0
    .sgpr_count:     42
    .sgpr_spill_count: 0
    .symbol:         _ZL29rocblas_internal_gemmt_kernelIlLi16ELi32ELi8ELc78ELc67ELc85ELb0ELb1E19rocblas_complex_numIfES1_PKPKS1_PKPS1_EviT_T9_T10_S9_lSB_S9_lSA_T11_S9_li.kd
    .uniform_work_group_size: 1
    .uses_dynamic_stack: false
    .vgpr_count:     51
    .vgpr_spill_count: 0
    .wavefront_size: 64
  - .agpr_count:     0
    .args:
      - .offset:         0
        .size:           4
        .value_kind:     by_value
      - .offset:         8
        .size:           8
        .value_kind:     by_value
      - .offset:         16
        .size:           8
        .value_kind:     by_value
      - .address_space:  global
        .offset:         24
        .size:           8
        .value_kind:     global_buffer
      - .offset:         32
        .size:           8
        .value_kind:     by_value
      - .offset:         40
        .size:           8
        .value_kind:     by_value
      - .address_space:  global
        .offset:         48
        .size:           8
        .value_kind:     global_buffer
      - .offset:         56
        .size:           8
        .value_kind:     by_value
      - .offset:         64
        .size:           8
        .value_kind:     by_value
      - .offset:         72
        .size:           8
        .value_kind:     by_value
      - .address_space:  global
        .offset:         80
        .size:           8
        .value_kind:     global_buffer
      - .offset:         88
        .size:           8
        .value_kind:     by_value
      - .offset:         96
        .size:           8
        .value_kind:     by_value
      - .offset:         104
        .size:           4
        .value_kind:     by_value
    .group_segment_fixed_size: 4096
    .kernarg_segment_align: 8
    .kernarg_segment_size: 108
    .language:       OpenCL C
    .language_version:
      - 2
      - 0
    .max_flat_workgroup_size: 256
    .name:           _ZL29rocblas_internal_gemmt_kernelIlLi16ELi32ELi8ELc84ELc78ELc85ELb0ELb0E19rocblas_complex_numIfES1_PKPKS1_PKPS1_EviT_T9_T10_S9_lSB_S9_lSA_T11_S9_li
    .private_segment_fixed_size: 0
    .sgpr_count:     42
    .sgpr_spill_count: 0
    .symbol:         _ZL29rocblas_internal_gemmt_kernelIlLi16ELi32ELi8ELc84ELc78ELc85ELb0ELb0E19rocblas_complex_numIfES1_PKPKS1_PKPS1_EviT_T9_T10_S9_lSB_S9_lSA_T11_S9_li.kd
    .uniform_work_group_size: 1
    .uses_dynamic_stack: false
    .vgpr_count:     51
    .vgpr_spill_count: 0
    .wavefront_size: 64
  - .agpr_count:     0
    .args:
      - .offset:         0
        .size:           4
        .value_kind:     by_value
      - .offset:         8
        .size:           8
        .value_kind:     by_value
      - .offset:         16
        .size:           8
        .value_kind:     by_value
      - .address_space:  global
        .offset:         24
        .size:           8
        .value_kind:     global_buffer
      - .offset:         32
        .size:           8
        .value_kind:     by_value
      - .offset:         40
        .size:           8
        .value_kind:     by_value
      - .address_space:  global
        .offset:         48
        .size:           8
        .value_kind:     global_buffer
      - .offset:         56
        .size:           8
        .value_kind:     by_value
      - .offset:         64
        .size:           8
        .value_kind:     by_value
      - .offset:         72
        .size:           8
        .value_kind:     by_value
      - .address_space:  global
        .offset:         80
        .size:           8
        .value_kind:     global_buffer
      - .offset:         88
        .size:           8
        .value_kind:     by_value
      - .offset:         96
        .size:           8
        .value_kind:     by_value
      - .offset:         104
        .size:           4
        .value_kind:     by_value
    .group_segment_fixed_size: 4096
    .kernarg_segment_align: 8
    .kernarg_segment_size: 108
    .language:       OpenCL C
    .language_version:
      - 2
      - 0
    .max_flat_workgroup_size: 256
    .name:           _ZL29rocblas_internal_gemmt_kernelIlLi16ELi32ELi8ELc84ELc84ELc85ELb0ELb0E19rocblas_complex_numIfES1_PKPKS1_PKPS1_EviT_T9_T10_S9_lSB_S9_lSA_T11_S9_li
    .private_segment_fixed_size: 0
    .sgpr_count:     42
    .sgpr_spill_count: 0
    .symbol:         _ZL29rocblas_internal_gemmt_kernelIlLi16ELi32ELi8ELc84ELc84ELc85ELb0ELb0E19rocblas_complex_numIfES1_PKPKS1_PKPS1_EviT_T9_T10_S9_lSB_S9_lSA_T11_S9_li.kd
    .uniform_work_group_size: 1
    .uses_dynamic_stack: false
    .vgpr_count:     51
    .vgpr_spill_count: 0
    .wavefront_size: 64
  - .agpr_count:     0
    .args:
      - .offset:         0
        .size:           4
        .value_kind:     by_value
      - .offset:         8
        .size:           8
        .value_kind:     by_value
      - .offset:         16
        .size:           8
        .value_kind:     by_value
      - .address_space:  global
        .offset:         24
        .size:           8
        .value_kind:     global_buffer
      - .offset:         32
        .size:           8
        .value_kind:     by_value
      - .offset:         40
        .size:           8
        .value_kind:     by_value
      - .address_space:  global
        .offset:         48
        .size:           8
        .value_kind:     global_buffer
      - .offset:         56
        .size:           8
        .value_kind:     by_value
      - .offset:         64
        .size:           8
        .value_kind:     by_value
      - .offset:         72
        .size:           8
        .value_kind:     by_value
      - .address_space:  global
        .offset:         80
        .size:           8
        .value_kind:     global_buffer
      - .offset:         88
        .size:           8
        .value_kind:     by_value
      - .offset:         96
        .size:           8
        .value_kind:     by_value
      - .offset:         104
        .size:           4
        .value_kind:     by_value
    .group_segment_fixed_size: 4096
    .kernarg_segment_align: 8
    .kernarg_segment_size: 108
    .language:       OpenCL C
    .language_version:
      - 2
      - 0
    .max_flat_workgroup_size: 256
    .name:           _ZL29rocblas_internal_gemmt_kernelIlLi16ELi32ELi8ELc84ELc67ELc85ELb0ELb1E19rocblas_complex_numIfES1_PKPKS1_PKPS1_EviT_T9_T10_S9_lSB_S9_lSA_T11_S9_li
    .private_segment_fixed_size: 0
    .sgpr_count:     42
    .sgpr_spill_count: 0
    .symbol:         _ZL29rocblas_internal_gemmt_kernelIlLi16ELi32ELi8ELc84ELc67ELc85ELb0ELb1E19rocblas_complex_numIfES1_PKPKS1_PKPS1_EviT_T9_T10_S9_lSB_S9_lSA_T11_S9_li.kd
    .uniform_work_group_size: 1
    .uses_dynamic_stack: false
    .vgpr_count:     51
    .vgpr_spill_count: 0
    .wavefront_size: 64
  - .agpr_count:     0
    .args:
      - .offset:         0
        .size:           4
        .value_kind:     by_value
      - .offset:         8
        .size:           8
        .value_kind:     by_value
      - .offset:         16
        .size:           8
        .value_kind:     by_value
      - .address_space:  global
        .offset:         24
        .size:           8
        .value_kind:     global_buffer
      - .offset:         32
        .size:           8
        .value_kind:     by_value
      - .offset:         40
        .size:           8
        .value_kind:     by_value
      - .address_space:  global
        .offset:         48
        .size:           8
        .value_kind:     global_buffer
      - .offset:         56
        .size:           8
        .value_kind:     by_value
      - .offset:         64
        .size:           8
        .value_kind:     by_value
      - .offset:         72
        .size:           8
        .value_kind:     by_value
      - .address_space:  global
        .offset:         80
        .size:           8
        .value_kind:     global_buffer
      - .offset:         88
        .size:           8
        .value_kind:     by_value
      - .offset:         96
        .size:           8
        .value_kind:     by_value
      - .offset:         104
        .size:           4
        .value_kind:     by_value
    .group_segment_fixed_size: 4096
    .kernarg_segment_align: 8
    .kernarg_segment_size: 108
    .language:       OpenCL C
    .language_version:
      - 2
      - 0
    .max_flat_workgroup_size: 256
    .name:           _ZL29rocblas_internal_gemmt_kernelIlLi16ELi32ELi8ELc67ELc78ELc85ELb1ELb0E19rocblas_complex_numIfES1_PKPKS1_PKPS1_EviT_T9_T10_S9_lSB_S9_lSA_T11_S9_li
    .private_segment_fixed_size: 0
    .sgpr_count:     42
    .sgpr_spill_count: 0
    .symbol:         _ZL29rocblas_internal_gemmt_kernelIlLi16ELi32ELi8ELc67ELc78ELc85ELb1ELb0E19rocblas_complex_numIfES1_PKPKS1_PKPS1_EviT_T9_T10_S9_lSB_S9_lSA_T11_S9_li.kd
    .uniform_work_group_size: 1
    .uses_dynamic_stack: false
    .vgpr_count:     53
    .vgpr_spill_count: 0
    .wavefront_size: 64
  - .agpr_count:     0
    .args:
      - .offset:         0
        .size:           4
        .value_kind:     by_value
      - .offset:         8
        .size:           8
        .value_kind:     by_value
      - .offset:         16
        .size:           8
        .value_kind:     by_value
      - .address_space:  global
        .offset:         24
        .size:           8
        .value_kind:     global_buffer
      - .offset:         32
        .size:           8
        .value_kind:     by_value
      - .offset:         40
        .size:           8
        .value_kind:     by_value
      - .address_space:  global
        .offset:         48
        .size:           8
        .value_kind:     global_buffer
      - .offset:         56
        .size:           8
        .value_kind:     by_value
      - .offset:         64
        .size:           8
        .value_kind:     by_value
      - .offset:         72
        .size:           8
        .value_kind:     by_value
      - .address_space:  global
        .offset:         80
        .size:           8
        .value_kind:     global_buffer
      - .offset:         88
        .size:           8
        .value_kind:     by_value
      - .offset:         96
        .size:           8
        .value_kind:     by_value
      - .offset:         104
        .size:           4
        .value_kind:     by_value
    .group_segment_fixed_size: 4096
    .kernarg_segment_align: 8
    .kernarg_segment_size: 108
    .language:       OpenCL C
    .language_version:
      - 2
      - 0
    .max_flat_workgroup_size: 256
    .name:           _ZL29rocblas_internal_gemmt_kernelIlLi16ELi32ELi8ELc67ELc84ELc85ELb1ELb0E19rocblas_complex_numIfES1_PKPKS1_PKPS1_EviT_T9_T10_S9_lSB_S9_lSA_T11_S9_li
    .private_segment_fixed_size: 0
    .sgpr_count:     42
    .sgpr_spill_count: 0
    .symbol:         _ZL29rocblas_internal_gemmt_kernelIlLi16ELi32ELi8ELc67ELc84ELc85ELb1ELb0E19rocblas_complex_numIfES1_PKPKS1_PKPS1_EviT_T9_T10_S9_lSB_S9_lSA_T11_S9_li.kd
    .uniform_work_group_size: 1
    .uses_dynamic_stack: false
    .vgpr_count:     53
    .vgpr_spill_count: 0
    .wavefront_size: 64
  - .agpr_count:     0
    .args:
      - .offset:         0
        .size:           4
        .value_kind:     by_value
      - .offset:         8
        .size:           8
        .value_kind:     by_value
      - .offset:         16
        .size:           8
        .value_kind:     by_value
      - .address_space:  global
        .offset:         24
        .size:           8
        .value_kind:     global_buffer
      - .offset:         32
        .size:           8
        .value_kind:     by_value
      - .offset:         40
        .size:           8
        .value_kind:     by_value
      - .address_space:  global
        .offset:         48
        .size:           8
        .value_kind:     global_buffer
      - .offset:         56
        .size:           8
        .value_kind:     by_value
      - .offset:         64
        .size:           8
        .value_kind:     by_value
      - .offset:         72
        .size:           8
        .value_kind:     by_value
      - .address_space:  global
        .offset:         80
        .size:           8
        .value_kind:     global_buffer
      - .offset:         88
        .size:           8
        .value_kind:     by_value
      - .offset:         96
        .size:           8
        .value_kind:     by_value
      - .offset:         104
        .size:           4
        .value_kind:     by_value
    .group_segment_fixed_size: 4096
    .kernarg_segment_align: 8
    .kernarg_segment_size: 108
    .language:       OpenCL C
    .language_version:
      - 2
      - 0
    .max_flat_workgroup_size: 256
    .name:           _ZL29rocblas_internal_gemmt_kernelIlLi16ELi32ELi8ELc67ELc67ELc85ELb1ELb1E19rocblas_complex_numIfES1_PKPKS1_PKPS1_EviT_T9_T10_S9_lSB_S9_lSA_T11_S9_li
    .private_segment_fixed_size: 0
    .sgpr_count:     42
    .sgpr_spill_count: 0
    .symbol:         _ZL29rocblas_internal_gemmt_kernelIlLi16ELi32ELi8ELc67ELc67ELc85ELb1ELb1E19rocblas_complex_numIfES1_PKPKS1_PKPS1_EviT_T9_T10_S9_lSB_S9_lSA_T11_S9_li.kd
    .uniform_work_group_size: 1
    .uses_dynamic_stack: false
    .vgpr_count:     53
    .vgpr_spill_count: 0
    .wavefront_size: 64
  - .agpr_count:     0
    .args:
      - .offset:         0
        .size:           4
        .value_kind:     by_value
      - .offset:         8
        .size:           8
        .value_kind:     by_value
      - .offset:         16
        .size:           8
        .value_kind:     by_value
      - .address_space:  global
        .offset:         24
        .size:           8
        .value_kind:     global_buffer
      - .offset:         32
        .size:           8
        .value_kind:     by_value
      - .offset:         40
        .size:           8
        .value_kind:     by_value
      - .address_space:  global
        .offset:         48
        .size:           8
        .value_kind:     global_buffer
      - .offset:         56
        .size:           8
        .value_kind:     by_value
      - .offset:         64
        .size:           8
        .value_kind:     by_value
      - .offset:         72
        .size:           8
        .value_kind:     by_value
      - .address_space:  global
        .offset:         80
        .size:           8
        .value_kind:     global_buffer
      - .offset:         88
        .size:           8
        .value_kind:     by_value
      - .offset:         96
        .size:           8
        .value_kind:     by_value
      - .offset:         104
        .size:           4
        .value_kind:     by_value
    .group_segment_fixed_size: 4096
    .kernarg_segment_align: 8
    .kernarg_segment_size: 108
    .language:       OpenCL C
    .language_version:
      - 2
      - 0
    .max_flat_workgroup_size: 256
    .name:           _ZL29rocblas_internal_gemmt_kernelIlLi16ELi32ELi8ELc78ELc78ELc76ELb0ELb0E19rocblas_complex_numIfES1_PKPKS1_PKPS1_EviT_T9_T10_S9_lSB_S9_lSA_T11_S9_li
    .private_segment_fixed_size: 0
    .sgpr_count:     42
    .sgpr_spill_count: 0
    .symbol:         _ZL29rocblas_internal_gemmt_kernelIlLi16ELi32ELi8ELc78ELc78ELc76ELb0ELb0E19rocblas_complex_numIfES1_PKPKS1_PKPS1_EviT_T9_T10_S9_lSB_S9_lSA_T11_S9_li.kd
    .uniform_work_group_size: 1
    .uses_dynamic_stack: false
    .vgpr_count:     51
    .vgpr_spill_count: 0
    .wavefront_size: 64
  - .agpr_count:     0
    .args:
      - .offset:         0
        .size:           4
        .value_kind:     by_value
      - .offset:         8
        .size:           8
        .value_kind:     by_value
      - .offset:         16
        .size:           8
        .value_kind:     by_value
      - .address_space:  global
        .offset:         24
        .size:           8
        .value_kind:     global_buffer
      - .offset:         32
        .size:           8
        .value_kind:     by_value
      - .offset:         40
        .size:           8
        .value_kind:     by_value
      - .address_space:  global
        .offset:         48
        .size:           8
        .value_kind:     global_buffer
      - .offset:         56
        .size:           8
        .value_kind:     by_value
      - .offset:         64
        .size:           8
        .value_kind:     by_value
      - .offset:         72
        .size:           8
        .value_kind:     by_value
      - .address_space:  global
        .offset:         80
        .size:           8
        .value_kind:     global_buffer
      - .offset:         88
        .size:           8
        .value_kind:     by_value
      - .offset:         96
        .size:           8
        .value_kind:     by_value
      - .offset:         104
        .size:           4
        .value_kind:     by_value
    .group_segment_fixed_size: 4096
    .kernarg_segment_align: 8
    .kernarg_segment_size: 108
    .language:       OpenCL C
    .language_version:
      - 2
      - 0
    .max_flat_workgroup_size: 256
    .name:           _ZL29rocblas_internal_gemmt_kernelIlLi16ELi32ELi8ELc78ELc84ELc76ELb0ELb0E19rocblas_complex_numIfES1_PKPKS1_PKPS1_EviT_T9_T10_S9_lSB_S9_lSA_T11_S9_li
    .private_segment_fixed_size: 0
    .sgpr_count:     42
    .sgpr_spill_count: 0
    .symbol:         _ZL29rocblas_internal_gemmt_kernelIlLi16ELi32ELi8ELc78ELc84ELc76ELb0ELb0E19rocblas_complex_numIfES1_PKPKS1_PKPS1_EviT_T9_T10_S9_lSB_S9_lSA_T11_S9_li.kd
    .uniform_work_group_size: 1
    .uses_dynamic_stack: false
    .vgpr_count:     51
    .vgpr_spill_count: 0
    .wavefront_size: 64
  - .agpr_count:     0
    .args:
      - .offset:         0
        .size:           4
        .value_kind:     by_value
      - .offset:         8
        .size:           8
        .value_kind:     by_value
      - .offset:         16
        .size:           8
        .value_kind:     by_value
      - .address_space:  global
        .offset:         24
        .size:           8
        .value_kind:     global_buffer
      - .offset:         32
        .size:           8
        .value_kind:     by_value
      - .offset:         40
        .size:           8
        .value_kind:     by_value
      - .address_space:  global
        .offset:         48
        .size:           8
        .value_kind:     global_buffer
      - .offset:         56
        .size:           8
        .value_kind:     by_value
      - .offset:         64
        .size:           8
        .value_kind:     by_value
      - .offset:         72
        .size:           8
        .value_kind:     by_value
      - .address_space:  global
        .offset:         80
        .size:           8
        .value_kind:     global_buffer
      - .offset:         88
        .size:           8
        .value_kind:     by_value
      - .offset:         96
        .size:           8
        .value_kind:     by_value
      - .offset:         104
        .size:           4
        .value_kind:     by_value
    .group_segment_fixed_size: 4096
    .kernarg_segment_align: 8
    .kernarg_segment_size: 108
    .language:       OpenCL C
    .language_version:
      - 2
      - 0
    .max_flat_workgroup_size: 256
    .name:           _ZL29rocblas_internal_gemmt_kernelIlLi16ELi32ELi8ELc78ELc67ELc76ELb0ELb1E19rocblas_complex_numIfES1_PKPKS1_PKPS1_EviT_T9_T10_S9_lSB_S9_lSA_T11_S9_li
    .private_segment_fixed_size: 0
    .sgpr_count:     42
    .sgpr_spill_count: 0
    .symbol:         _ZL29rocblas_internal_gemmt_kernelIlLi16ELi32ELi8ELc78ELc67ELc76ELb0ELb1E19rocblas_complex_numIfES1_PKPKS1_PKPS1_EviT_T9_T10_S9_lSB_S9_lSA_T11_S9_li.kd
    .uniform_work_group_size: 1
    .uses_dynamic_stack: false
    .vgpr_count:     51
    .vgpr_spill_count: 0
    .wavefront_size: 64
  - .agpr_count:     0
    .args:
      - .offset:         0
        .size:           4
        .value_kind:     by_value
      - .offset:         8
        .size:           8
        .value_kind:     by_value
      - .offset:         16
        .size:           8
        .value_kind:     by_value
      - .address_space:  global
        .offset:         24
        .size:           8
        .value_kind:     global_buffer
      - .offset:         32
        .size:           8
        .value_kind:     by_value
      - .offset:         40
        .size:           8
        .value_kind:     by_value
      - .address_space:  global
        .offset:         48
        .size:           8
        .value_kind:     global_buffer
      - .offset:         56
        .size:           8
        .value_kind:     by_value
      - .offset:         64
        .size:           8
        .value_kind:     by_value
      - .offset:         72
        .size:           8
        .value_kind:     by_value
      - .address_space:  global
        .offset:         80
        .size:           8
        .value_kind:     global_buffer
      - .offset:         88
        .size:           8
        .value_kind:     by_value
      - .offset:         96
        .size:           8
        .value_kind:     by_value
      - .offset:         104
        .size:           4
        .value_kind:     by_value
    .group_segment_fixed_size: 4096
    .kernarg_segment_align: 8
    .kernarg_segment_size: 108
    .language:       OpenCL C
    .language_version:
      - 2
      - 0
    .max_flat_workgroup_size: 256
    .name:           _ZL29rocblas_internal_gemmt_kernelIlLi16ELi32ELi8ELc84ELc78ELc76ELb0ELb0E19rocblas_complex_numIfES1_PKPKS1_PKPS1_EviT_T9_T10_S9_lSB_S9_lSA_T11_S9_li
    .private_segment_fixed_size: 0
    .sgpr_count:     42
    .sgpr_spill_count: 0
    .symbol:         _ZL29rocblas_internal_gemmt_kernelIlLi16ELi32ELi8ELc84ELc78ELc76ELb0ELb0E19rocblas_complex_numIfES1_PKPKS1_PKPS1_EviT_T9_T10_S9_lSB_S9_lSA_T11_S9_li.kd
    .uniform_work_group_size: 1
    .uses_dynamic_stack: false
    .vgpr_count:     51
    .vgpr_spill_count: 0
    .wavefront_size: 64
  - .agpr_count:     0
    .args:
      - .offset:         0
        .size:           4
        .value_kind:     by_value
      - .offset:         8
        .size:           8
        .value_kind:     by_value
      - .offset:         16
        .size:           8
        .value_kind:     by_value
      - .address_space:  global
        .offset:         24
        .size:           8
        .value_kind:     global_buffer
      - .offset:         32
        .size:           8
        .value_kind:     by_value
      - .offset:         40
        .size:           8
        .value_kind:     by_value
      - .address_space:  global
        .offset:         48
        .size:           8
        .value_kind:     global_buffer
      - .offset:         56
        .size:           8
        .value_kind:     by_value
      - .offset:         64
        .size:           8
        .value_kind:     by_value
      - .offset:         72
        .size:           8
        .value_kind:     by_value
      - .address_space:  global
        .offset:         80
        .size:           8
        .value_kind:     global_buffer
      - .offset:         88
        .size:           8
        .value_kind:     by_value
      - .offset:         96
        .size:           8
        .value_kind:     by_value
      - .offset:         104
        .size:           4
        .value_kind:     by_value
    .group_segment_fixed_size: 4096
    .kernarg_segment_align: 8
    .kernarg_segment_size: 108
    .language:       OpenCL C
    .language_version:
      - 2
      - 0
    .max_flat_workgroup_size: 256
    .name:           _ZL29rocblas_internal_gemmt_kernelIlLi16ELi32ELi8ELc84ELc84ELc76ELb0ELb0E19rocblas_complex_numIfES1_PKPKS1_PKPS1_EviT_T9_T10_S9_lSB_S9_lSA_T11_S9_li
    .private_segment_fixed_size: 0
    .sgpr_count:     42
    .sgpr_spill_count: 0
    .symbol:         _ZL29rocblas_internal_gemmt_kernelIlLi16ELi32ELi8ELc84ELc84ELc76ELb0ELb0E19rocblas_complex_numIfES1_PKPKS1_PKPS1_EviT_T9_T10_S9_lSB_S9_lSA_T11_S9_li.kd
    .uniform_work_group_size: 1
    .uses_dynamic_stack: false
    .vgpr_count:     51
    .vgpr_spill_count: 0
    .wavefront_size: 64
  - .agpr_count:     0
    .args:
      - .offset:         0
        .size:           4
        .value_kind:     by_value
      - .offset:         8
        .size:           8
        .value_kind:     by_value
      - .offset:         16
        .size:           8
        .value_kind:     by_value
      - .address_space:  global
        .offset:         24
        .size:           8
        .value_kind:     global_buffer
      - .offset:         32
        .size:           8
        .value_kind:     by_value
      - .offset:         40
        .size:           8
        .value_kind:     by_value
      - .address_space:  global
        .offset:         48
        .size:           8
        .value_kind:     global_buffer
      - .offset:         56
        .size:           8
        .value_kind:     by_value
      - .offset:         64
        .size:           8
        .value_kind:     by_value
      - .offset:         72
        .size:           8
        .value_kind:     by_value
      - .address_space:  global
        .offset:         80
        .size:           8
        .value_kind:     global_buffer
      - .offset:         88
        .size:           8
        .value_kind:     by_value
      - .offset:         96
        .size:           8
        .value_kind:     by_value
      - .offset:         104
        .size:           4
        .value_kind:     by_value
    .group_segment_fixed_size: 4096
    .kernarg_segment_align: 8
    .kernarg_segment_size: 108
    .language:       OpenCL C
    .language_version:
      - 2
      - 0
    .max_flat_workgroup_size: 256
    .name:           _ZL29rocblas_internal_gemmt_kernelIlLi16ELi32ELi8ELc84ELc67ELc76ELb0ELb1E19rocblas_complex_numIfES1_PKPKS1_PKPS1_EviT_T9_T10_S9_lSB_S9_lSA_T11_S9_li
    .private_segment_fixed_size: 0
    .sgpr_count:     42
    .sgpr_spill_count: 0
    .symbol:         _ZL29rocblas_internal_gemmt_kernelIlLi16ELi32ELi8ELc84ELc67ELc76ELb0ELb1E19rocblas_complex_numIfES1_PKPKS1_PKPS1_EviT_T9_T10_S9_lSB_S9_lSA_T11_S9_li.kd
    .uniform_work_group_size: 1
    .uses_dynamic_stack: false
    .vgpr_count:     51
    .vgpr_spill_count: 0
    .wavefront_size: 64
  - .agpr_count:     0
    .args:
      - .offset:         0
        .size:           4
        .value_kind:     by_value
      - .offset:         8
        .size:           8
        .value_kind:     by_value
      - .offset:         16
        .size:           8
        .value_kind:     by_value
      - .address_space:  global
        .offset:         24
        .size:           8
        .value_kind:     global_buffer
      - .offset:         32
        .size:           8
        .value_kind:     by_value
      - .offset:         40
        .size:           8
        .value_kind:     by_value
      - .address_space:  global
        .offset:         48
        .size:           8
        .value_kind:     global_buffer
      - .offset:         56
        .size:           8
        .value_kind:     by_value
      - .offset:         64
        .size:           8
        .value_kind:     by_value
      - .offset:         72
        .size:           8
        .value_kind:     by_value
      - .address_space:  global
        .offset:         80
        .size:           8
        .value_kind:     global_buffer
      - .offset:         88
        .size:           8
        .value_kind:     by_value
      - .offset:         96
        .size:           8
        .value_kind:     by_value
      - .offset:         104
        .size:           4
        .value_kind:     by_value
    .group_segment_fixed_size: 4096
    .kernarg_segment_align: 8
    .kernarg_segment_size: 108
    .language:       OpenCL C
    .language_version:
      - 2
      - 0
    .max_flat_workgroup_size: 256
    .name:           _ZL29rocblas_internal_gemmt_kernelIlLi16ELi32ELi8ELc67ELc78ELc76ELb1ELb0E19rocblas_complex_numIfES1_PKPKS1_PKPS1_EviT_T9_T10_S9_lSB_S9_lSA_T11_S9_li
    .private_segment_fixed_size: 0
    .sgpr_count:     42
    .sgpr_spill_count: 0
    .symbol:         _ZL29rocblas_internal_gemmt_kernelIlLi16ELi32ELi8ELc67ELc78ELc76ELb1ELb0E19rocblas_complex_numIfES1_PKPKS1_PKPS1_EviT_T9_T10_S9_lSB_S9_lSA_T11_S9_li.kd
    .uniform_work_group_size: 1
    .uses_dynamic_stack: false
    .vgpr_count:     53
    .vgpr_spill_count: 0
    .wavefront_size: 64
  - .agpr_count:     0
    .args:
      - .offset:         0
        .size:           4
        .value_kind:     by_value
      - .offset:         8
        .size:           8
        .value_kind:     by_value
      - .offset:         16
        .size:           8
        .value_kind:     by_value
      - .address_space:  global
        .offset:         24
        .size:           8
        .value_kind:     global_buffer
      - .offset:         32
        .size:           8
        .value_kind:     by_value
      - .offset:         40
        .size:           8
        .value_kind:     by_value
      - .address_space:  global
        .offset:         48
        .size:           8
        .value_kind:     global_buffer
      - .offset:         56
        .size:           8
        .value_kind:     by_value
      - .offset:         64
        .size:           8
        .value_kind:     by_value
      - .offset:         72
        .size:           8
        .value_kind:     by_value
      - .address_space:  global
        .offset:         80
        .size:           8
        .value_kind:     global_buffer
      - .offset:         88
        .size:           8
        .value_kind:     by_value
      - .offset:         96
        .size:           8
        .value_kind:     by_value
      - .offset:         104
        .size:           4
        .value_kind:     by_value
    .group_segment_fixed_size: 4096
    .kernarg_segment_align: 8
    .kernarg_segment_size: 108
    .language:       OpenCL C
    .language_version:
      - 2
      - 0
    .max_flat_workgroup_size: 256
    .name:           _ZL29rocblas_internal_gemmt_kernelIlLi16ELi32ELi8ELc67ELc84ELc76ELb1ELb0E19rocblas_complex_numIfES1_PKPKS1_PKPS1_EviT_T9_T10_S9_lSB_S9_lSA_T11_S9_li
    .private_segment_fixed_size: 0
    .sgpr_count:     42
    .sgpr_spill_count: 0
    .symbol:         _ZL29rocblas_internal_gemmt_kernelIlLi16ELi32ELi8ELc67ELc84ELc76ELb1ELb0E19rocblas_complex_numIfES1_PKPKS1_PKPS1_EviT_T9_T10_S9_lSB_S9_lSA_T11_S9_li.kd
    .uniform_work_group_size: 1
    .uses_dynamic_stack: false
    .vgpr_count:     53
    .vgpr_spill_count: 0
    .wavefront_size: 64
  - .agpr_count:     0
    .args:
      - .offset:         0
        .size:           4
        .value_kind:     by_value
      - .offset:         8
        .size:           8
        .value_kind:     by_value
      - .offset:         16
        .size:           8
        .value_kind:     by_value
      - .address_space:  global
        .offset:         24
        .size:           8
        .value_kind:     global_buffer
      - .offset:         32
        .size:           8
        .value_kind:     by_value
      - .offset:         40
        .size:           8
        .value_kind:     by_value
      - .address_space:  global
        .offset:         48
        .size:           8
        .value_kind:     global_buffer
      - .offset:         56
        .size:           8
        .value_kind:     by_value
      - .offset:         64
        .size:           8
        .value_kind:     by_value
      - .offset:         72
        .size:           8
        .value_kind:     by_value
      - .address_space:  global
        .offset:         80
        .size:           8
        .value_kind:     global_buffer
      - .offset:         88
        .size:           8
        .value_kind:     by_value
      - .offset:         96
        .size:           8
        .value_kind:     by_value
      - .offset:         104
        .size:           4
        .value_kind:     by_value
    .group_segment_fixed_size: 4096
    .kernarg_segment_align: 8
    .kernarg_segment_size: 108
    .language:       OpenCL C
    .language_version:
      - 2
      - 0
    .max_flat_workgroup_size: 256
    .name:           _ZL29rocblas_internal_gemmt_kernelIlLi16ELi32ELi8ELc67ELc67ELc76ELb1ELb1E19rocblas_complex_numIfES1_PKPKS1_PKPS1_EviT_T9_T10_S9_lSB_S9_lSA_T11_S9_li
    .private_segment_fixed_size: 0
    .sgpr_count:     42
    .sgpr_spill_count: 0
    .symbol:         _ZL29rocblas_internal_gemmt_kernelIlLi16ELi32ELi8ELc67ELc67ELc76ELb1ELb1E19rocblas_complex_numIfES1_PKPKS1_PKPS1_EviT_T9_T10_S9_lSB_S9_lSA_T11_S9_li.kd
    .uniform_work_group_size: 1
    .uses_dynamic_stack: false
    .vgpr_count:     53
    .vgpr_spill_count: 0
    .wavefront_size: 64
  - .agpr_count:     0
    .args:
      - .offset:         0
        .size:           4
        .value_kind:     by_value
      - .offset:         8
        .size:           8
        .value_kind:     by_value
      - .address_space:  global
        .offset:         16
        .size:           8
        .value_kind:     global_buffer
      - .address_space:  global
        .offset:         24
        .size:           8
        .value_kind:     global_buffer
      - .offset:         32
        .size:           8
        .value_kind:     by_value
      - .offset:         40
        .size:           8
        .value_kind:     by_value
      - .address_space:  global
        .offset:         48
        .size:           8
        .value_kind:     global_buffer
      - .offset:         56
        .size:           8
        .value_kind:     by_value
      - .offset:         64
        .size:           8
        .value_kind:     by_value
      - .address_space:  global
        .offset:         72
        .size:           8
        .value_kind:     global_buffer
      - .address_space:  global
        .offset:         80
        .size:           8
        .value_kind:     global_buffer
      - .offset:         88
        .size:           8
        .value_kind:     by_value
      - .offset:         96
        .size:           8
        .value_kind:     by_value
      - .offset:         104
        .size:           4
        .value_kind:     by_value
    .group_segment_fixed_size: 8192
    .kernarg_segment_align: 8
    .kernarg_segment_size: 108
    .language:       OpenCL C
    .language_version:
      - 2
      - 0
    .max_flat_workgroup_size: 256
    .name:           _ZL29rocblas_internal_gemmt_kernelIlLi16ELi32ELi8ELc78ELc78ELc85ELb0ELb0E19rocblas_complex_numIdEPKS1_PKS3_PKPS1_EviT_T9_T10_S9_lSB_S9_lSA_T11_S9_li
    .private_segment_fixed_size: 0
    .sgpr_count:     50
    .sgpr_spill_count: 0
    .symbol:         _ZL29rocblas_internal_gemmt_kernelIlLi16ELi32ELi8ELc78ELc78ELc85ELb0ELb0E19rocblas_complex_numIdEPKS1_PKS3_PKPS1_EviT_T9_T10_S9_lSB_S9_lSA_T11_S9_li.kd
    .uniform_work_group_size: 1
    .uses_dynamic_stack: false
    .vgpr_count:     66
    .vgpr_spill_count: 0
    .wavefront_size: 64
  - .agpr_count:     0
    .args:
      - .offset:         0
        .size:           4
        .value_kind:     by_value
      - .offset:         8
        .size:           8
        .value_kind:     by_value
      - .address_space:  global
        .offset:         16
        .size:           8
        .value_kind:     global_buffer
      - .address_space:  global
        .offset:         24
        .size:           8
        .value_kind:     global_buffer
      - .offset:         32
        .size:           8
        .value_kind:     by_value
      - .offset:         40
        .size:           8
        .value_kind:     by_value
      - .address_space:  global
        .offset:         48
        .size:           8
        .value_kind:     global_buffer
      - .offset:         56
        .size:           8
        .value_kind:     by_value
      - .offset:         64
        .size:           8
        .value_kind:     by_value
      - .address_space:  global
        .offset:         72
        .size:           8
        .value_kind:     global_buffer
      - .address_space:  global
        .offset:         80
        .size:           8
        .value_kind:     global_buffer
      - .offset:         88
        .size:           8
        .value_kind:     by_value
      - .offset:         96
        .size:           8
        .value_kind:     by_value
      - .offset:         104
        .size:           4
        .value_kind:     by_value
    .group_segment_fixed_size: 8192
    .kernarg_segment_align: 8
    .kernarg_segment_size: 108
    .language:       OpenCL C
    .language_version:
      - 2
      - 0
    .max_flat_workgroup_size: 256
    .name:           _ZL29rocblas_internal_gemmt_kernelIlLi16ELi32ELi8ELc78ELc84ELc85ELb0ELb0E19rocblas_complex_numIdEPKS1_PKS3_PKPS1_EviT_T9_T10_S9_lSB_S9_lSA_T11_S9_li
    .private_segment_fixed_size: 0
    .sgpr_count:     50
    .sgpr_spill_count: 0
    .symbol:         _ZL29rocblas_internal_gemmt_kernelIlLi16ELi32ELi8ELc78ELc84ELc85ELb0ELb0E19rocblas_complex_numIdEPKS1_PKS3_PKPS1_EviT_T9_T10_S9_lSB_S9_lSA_T11_S9_li.kd
    .uniform_work_group_size: 1
    .uses_dynamic_stack: false
    .vgpr_count:     66
    .vgpr_spill_count: 0
    .wavefront_size: 64
  - .agpr_count:     0
    .args:
      - .offset:         0
        .size:           4
        .value_kind:     by_value
      - .offset:         8
        .size:           8
        .value_kind:     by_value
      - .address_space:  global
        .offset:         16
        .size:           8
        .value_kind:     global_buffer
      - .address_space:  global
        .offset:         24
        .size:           8
        .value_kind:     global_buffer
      - .offset:         32
        .size:           8
        .value_kind:     by_value
      - .offset:         40
        .size:           8
        .value_kind:     by_value
      - .address_space:  global
        .offset:         48
        .size:           8
        .value_kind:     global_buffer
      - .offset:         56
        .size:           8
        .value_kind:     by_value
      - .offset:         64
        .size:           8
        .value_kind:     by_value
      - .address_space:  global
        .offset:         72
        .size:           8
        .value_kind:     global_buffer
      - .address_space:  global
        .offset:         80
        .size:           8
        .value_kind:     global_buffer
      - .offset:         88
        .size:           8
        .value_kind:     by_value
      - .offset:         96
        .size:           8
        .value_kind:     by_value
      - .offset:         104
        .size:           4
        .value_kind:     by_value
    .group_segment_fixed_size: 8192
    .kernarg_segment_align: 8
    .kernarg_segment_size: 108
    .language:       OpenCL C
    .language_version:
      - 2
      - 0
    .max_flat_workgroup_size: 256
    .name:           _ZL29rocblas_internal_gemmt_kernelIlLi16ELi32ELi8ELc78ELc67ELc85ELb0ELb1E19rocblas_complex_numIdEPKS1_PKS3_PKPS1_EviT_T9_T10_S9_lSB_S9_lSA_T11_S9_li
    .private_segment_fixed_size: 0
    .sgpr_count:     50
    .sgpr_spill_count: 0
    .symbol:         _ZL29rocblas_internal_gemmt_kernelIlLi16ELi32ELi8ELc78ELc67ELc85ELb0ELb1E19rocblas_complex_numIdEPKS1_PKS3_PKPS1_EviT_T9_T10_S9_lSB_S9_lSA_T11_S9_li.kd
    .uniform_work_group_size: 1
    .uses_dynamic_stack: false
    .vgpr_count:     66
    .vgpr_spill_count: 0
    .wavefront_size: 64
  - .agpr_count:     0
    .args:
      - .offset:         0
        .size:           4
        .value_kind:     by_value
      - .offset:         8
        .size:           8
        .value_kind:     by_value
      - .address_space:  global
        .offset:         16
        .size:           8
        .value_kind:     global_buffer
      - .address_space:  global
        .offset:         24
        .size:           8
        .value_kind:     global_buffer
      - .offset:         32
        .size:           8
        .value_kind:     by_value
      - .offset:         40
        .size:           8
        .value_kind:     by_value
      - .address_space:  global
        .offset:         48
        .size:           8
        .value_kind:     global_buffer
      - .offset:         56
        .size:           8
        .value_kind:     by_value
      - .offset:         64
        .size:           8
        .value_kind:     by_value
      - .address_space:  global
        .offset:         72
        .size:           8
        .value_kind:     global_buffer
      - .address_space:  global
        .offset:         80
        .size:           8
        .value_kind:     global_buffer
      - .offset:         88
        .size:           8
        .value_kind:     by_value
      - .offset:         96
        .size:           8
        .value_kind:     by_value
      - .offset:         104
        .size:           4
        .value_kind:     by_value
    .group_segment_fixed_size: 8192
    .kernarg_segment_align: 8
    .kernarg_segment_size: 108
    .language:       OpenCL C
    .language_version:
      - 2
      - 0
    .max_flat_workgroup_size: 256
    .name:           _ZL29rocblas_internal_gemmt_kernelIlLi16ELi32ELi8ELc84ELc78ELc85ELb0ELb0E19rocblas_complex_numIdEPKS1_PKS3_PKPS1_EviT_T9_T10_S9_lSB_S9_lSA_T11_S9_li
    .private_segment_fixed_size: 0
    .sgpr_count:     50
    .sgpr_spill_count: 0
    .symbol:         _ZL29rocblas_internal_gemmt_kernelIlLi16ELi32ELi8ELc84ELc78ELc85ELb0ELb0E19rocblas_complex_numIdEPKS1_PKS3_PKPS1_EviT_T9_T10_S9_lSB_S9_lSA_T11_S9_li.kd
    .uniform_work_group_size: 1
    .uses_dynamic_stack: false
    .vgpr_count:     66
    .vgpr_spill_count: 0
    .wavefront_size: 64
  - .agpr_count:     0
    .args:
      - .offset:         0
        .size:           4
        .value_kind:     by_value
      - .offset:         8
        .size:           8
        .value_kind:     by_value
      - .address_space:  global
        .offset:         16
        .size:           8
        .value_kind:     global_buffer
      - .address_space:  global
        .offset:         24
        .size:           8
        .value_kind:     global_buffer
      - .offset:         32
        .size:           8
        .value_kind:     by_value
      - .offset:         40
        .size:           8
        .value_kind:     by_value
      - .address_space:  global
        .offset:         48
        .size:           8
        .value_kind:     global_buffer
      - .offset:         56
        .size:           8
        .value_kind:     by_value
      - .offset:         64
        .size:           8
        .value_kind:     by_value
      - .address_space:  global
        .offset:         72
        .size:           8
        .value_kind:     global_buffer
      - .address_space:  global
        .offset:         80
        .size:           8
        .value_kind:     global_buffer
      - .offset:         88
        .size:           8
        .value_kind:     by_value
      - .offset:         96
        .size:           8
        .value_kind:     by_value
      - .offset:         104
        .size:           4
        .value_kind:     by_value
    .group_segment_fixed_size: 8192
    .kernarg_segment_align: 8
    .kernarg_segment_size: 108
    .language:       OpenCL C
    .language_version:
      - 2
      - 0
    .max_flat_workgroup_size: 256
    .name:           _ZL29rocblas_internal_gemmt_kernelIlLi16ELi32ELi8ELc84ELc84ELc85ELb0ELb0E19rocblas_complex_numIdEPKS1_PKS3_PKPS1_EviT_T9_T10_S9_lSB_S9_lSA_T11_S9_li
    .private_segment_fixed_size: 0
    .sgpr_count:     50
    .sgpr_spill_count: 0
    .symbol:         _ZL29rocblas_internal_gemmt_kernelIlLi16ELi32ELi8ELc84ELc84ELc85ELb0ELb0E19rocblas_complex_numIdEPKS1_PKS3_PKPS1_EviT_T9_T10_S9_lSB_S9_lSA_T11_S9_li.kd
    .uniform_work_group_size: 1
    .uses_dynamic_stack: false
    .vgpr_count:     66
    .vgpr_spill_count: 0
    .wavefront_size: 64
  - .agpr_count:     0
    .args:
      - .offset:         0
        .size:           4
        .value_kind:     by_value
      - .offset:         8
        .size:           8
        .value_kind:     by_value
      - .address_space:  global
        .offset:         16
        .size:           8
        .value_kind:     global_buffer
      - .address_space:  global
        .offset:         24
        .size:           8
        .value_kind:     global_buffer
      - .offset:         32
        .size:           8
        .value_kind:     by_value
      - .offset:         40
        .size:           8
        .value_kind:     by_value
      - .address_space:  global
        .offset:         48
        .size:           8
        .value_kind:     global_buffer
      - .offset:         56
        .size:           8
        .value_kind:     by_value
      - .offset:         64
        .size:           8
        .value_kind:     by_value
      - .address_space:  global
        .offset:         72
        .size:           8
        .value_kind:     global_buffer
      - .address_space:  global
        .offset:         80
        .size:           8
        .value_kind:     global_buffer
      - .offset:         88
        .size:           8
        .value_kind:     by_value
      - .offset:         96
        .size:           8
        .value_kind:     by_value
      - .offset:         104
        .size:           4
        .value_kind:     by_value
    .group_segment_fixed_size: 8192
    .kernarg_segment_align: 8
    .kernarg_segment_size: 108
    .language:       OpenCL C
    .language_version:
      - 2
      - 0
    .max_flat_workgroup_size: 256
    .name:           _ZL29rocblas_internal_gemmt_kernelIlLi16ELi32ELi8ELc84ELc67ELc85ELb0ELb1E19rocblas_complex_numIdEPKS1_PKS3_PKPS1_EviT_T9_T10_S9_lSB_S9_lSA_T11_S9_li
    .private_segment_fixed_size: 0
    .sgpr_count:     50
    .sgpr_spill_count: 0
    .symbol:         _ZL29rocblas_internal_gemmt_kernelIlLi16ELi32ELi8ELc84ELc67ELc85ELb0ELb1E19rocblas_complex_numIdEPKS1_PKS3_PKPS1_EviT_T9_T10_S9_lSB_S9_lSA_T11_S9_li.kd
    .uniform_work_group_size: 1
    .uses_dynamic_stack: false
    .vgpr_count:     66
    .vgpr_spill_count: 0
    .wavefront_size: 64
  - .agpr_count:     0
    .args:
      - .offset:         0
        .size:           4
        .value_kind:     by_value
      - .offset:         8
        .size:           8
        .value_kind:     by_value
      - .address_space:  global
        .offset:         16
        .size:           8
        .value_kind:     global_buffer
      - .address_space:  global
        .offset:         24
        .size:           8
        .value_kind:     global_buffer
      - .offset:         32
        .size:           8
        .value_kind:     by_value
      - .offset:         40
        .size:           8
        .value_kind:     by_value
      - .address_space:  global
        .offset:         48
        .size:           8
        .value_kind:     global_buffer
      - .offset:         56
        .size:           8
        .value_kind:     by_value
      - .offset:         64
        .size:           8
        .value_kind:     by_value
      - .address_space:  global
        .offset:         72
        .size:           8
        .value_kind:     global_buffer
      - .address_space:  global
        .offset:         80
        .size:           8
        .value_kind:     global_buffer
      - .offset:         88
        .size:           8
        .value_kind:     by_value
      - .offset:         96
        .size:           8
        .value_kind:     by_value
      - .offset:         104
        .size:           4
        .value_kind:     by_value
    .group_segment_fixed_size: 8192
    .kernarg_segment_align: 8
    .kernarg_segment_size: 108
    .language:       OpenCL C
    .language_version:
      - 2
      - 0
    .max_flat_workgroup_size: 256
    .name:           _ZL29rocblas_internal_gemmt_kernelIlLi16ELi32ELi8ELc67ELc78ELc85ELb1ELb0E19rocblas_complex_numIdEPKS1_PKS3_PKPS1_EviT_T9_T10_S9_lSB_S9_lSA_T11_S9_li
    .private_segment_fixed_size: 0
    .sgpr_count:     50
    .sgpr_spill_count: 0
    .symbol:         _ZL29rocblas_internal_gemmt_kernelIlLi16ELi32ELi8ELc67ELc78ELc85ELb1ELb0E19rocblas_complex_numIdEPKS1_PKS3_PKPS1_EviT_T9_T10_S9_lSB_S9_lSA_T11_S9_li.kd
    .uniform_work_group_size: 1
    .uses_dynamic_stack: false
    .vgpr_count:     64
    .vgpr_spill_count: 0
    .wavefront_size: 64
  - .agpr_count:     0
    .args:
      - .offset:         0
        .size:           4
        .value_kind:     by_value
      - .offset:         8
        .size:           8
        .value_kind:     by_value
      - .address_space:  global
        .offset:         16
        .size:           8
        .value_kind:     global_buffer
      - .address_space:  global
        .offset:         24
        .size:           8
        .value_kind:     global_buffer
      - .offset:         32
        .size:           8
        .value_kind:     by_value
      - .offset:         40
        .size:           8
        .value_kind:     by_value
      - .address_space:  global
        .offset:         48
        .size:           8
        .value_kind:     global_buffer
      - .offset:         56
        .size:           8
        .value_kind:     by_value
      - .offset:         64
        .size:           8
        .value_kind:     by_value
      - .address_space:  global
        .offset:         72
        .size:           8
        .value_kind:     global_buffer
      - .address_space:  global
        .offset:         80
        .size:           8
        .value_kind:     global_buffer
      - .offset:         88
        .size:           8
        .value_kind:     by_value
      - .offset:         96
        .size:           8
        .value_kind:     by_value
      - .offset:         104
        .size:           4
        .value_kind:     by_value
    .group_segment_fixed_size: 8192
    .kernarg_segment_align: 8
    .kernarg_segment_size: 108
    .language:       OpenCL C
    .language_version:
      - 2
      - 0
    .max_flat_workgroup_size: 256
    .name:           _ZL29rocblas_internal_gemmt_kernelIlLi16ELi32ELi8ELc67ELc84ELc85ELb1ELb0E19rocblas_complex_numIdEPKS1_PKS3_PKPS1_EviT_T9_T10_S9_lSB_S9_lSA_T11_S9_li
    .private_segment_fixed_size: 0
    .sgpr_count:     50
    .sgpr_spill_count: 0
    .symbol:         _ZL29rocblas_internal_gemmt_kernelIlLi16ELi32ELi8ELc67ELc84ELc85ELb1ELb0E19rocblas_complex_numIdEPKS1_PKS3_PKPS1_EviT_T9_T10_S9_lSB_S9_lSA_T11_S9_li.kd
    .uniform_work_group_size: 1
    .uses_dynamic_stack: false
    .vgpr_count:     64
    .vgpr_spill_count: 0
    .wavefront_size: 64
  - .agpr_count:     0
    .args:
      - .offset:         0
        .size:           4
        .value_kind:     by_value
      - .offset:         8
        .size:           8
        .value_kind:     by_value
      - .address_space:  global
        .offset:         16
        .size:           8
        .value_kind:     global_buffer
      - .address_space:  global
        .offset:         24
        .size:           8
        .value_kind:     global_buffer
      - .offset:         32
        .size:           8
        .value_kind:     by_value
      - .offset:         40
        .size:           8
        .value_kind:     by_value
      - .address_space:  global
        .offset:         48
        .size:           8
        .value_kind:     global_buffer
      - .offset:         56
        .size:           8
        .value_kind:     by_value
      - .offset:         64
        .size:           8
        .value_kind:     by_value
      - .address_space:  global
        .offset:         72
        .size:           8
        .value_kind:     global_buffer
      - .address_space:  global
        .offset:         80
        .size:           8
        .value_kind:     global_buffer
      - .offset:         88
        .size:           8
        .value_kind:     by_value
      - .offset:         96
        .size:           8
        .value_kind:     by_value
      - .offset:         104
        .size:           4
        .value_kind:     by_value
    .group_segment_fixed_size: 8192
    .kernarg_segment_align: 8
    .kernarg_segment_size: 108
    .language:       OpenCL C
    .language_version:
      - 2
      - 0
    .max_flat_workgroup_size: 256
    .name:           _ZL29rocblas_internal_gemmt_kernelIlLi16ELi32ELi8ELc67ELc67ELc85ELb1ELb1E19rocblas_complex_numIdEPKS1_PKS3_PKPS1_EviT_T9_T10_S9_lSB_S9_lSA_T11_S9_li
    .private_segment_fixed_size: 0
    .sgpr_count:     50
    .sgpr_spill_count: 0
    .symbol:         _ZL29rocblas_internal_gemmt_kernelIlLi16ELi32ELi8ELc67ELc67ELc85ELb1ELb1E19rocblas_complex_numIdEPKS1_PKS3_PKPS1_EviT_T9_T10_S9_lSB_S9_lSA_T11_S9_li.kd
    .uniform_work_group_size: 1
    .uses_dynamic_stack: false
    .vgpr_count:     60
    .vgpr_spill_count: 0
    .wavefront_size: 64
  - .agpr_count:     0
    .args:
      - .offset:         0
        .size:           4
        .value_kind:     by_value
      - .offset:         8
        .size:           8
        .value_kind:     by_value
      - .address_space:  global
        .offset:         16
        .size:           8
        .value_kind:     global_buffer
      - .address_space:  global
        .offset:         24
        .size:           8
        .value_kind:     global_buffer
      - .offset:         32
        .size:           8
        .value_kind:     by_value
      - .offset:         40
        .size:           8
        .value_kind:     by_value
      - .address_space:  global
        .offset:         48
        .size:           8
        .value_kind:     global_buffer
      - .offset:         56
        .size:           8
        .value_kind:     by_value
      - .offset:         64
        .size:           8
        .value_kind:     by_value
      - .address_space:  global
        .offset:         72
        .size:           8
        .value_kind:     global_buffer
      - .address_space:  global
        .offset:         80
        .size:           8
        .value_kind:     global_buffer
      - .offset:         88
        .size:           8
        .value_kind:     by_value
      - .offset:         96
        .size:           8
        .value_kind:     by_value
      - .offset:         104
        .size:           4
        .value_kind:     by_value
    .group_segment_fixed_size: 8192
    .kernarg_segment_align: 8
    .kernarg_segment_size: 108
    .language:       OpenCL C
    .language_version:
      - 2
      - 0
    .max_flat_workgroup_size: 256
    .name:           _ZL29rocblas_internal_gemmt_kernelIlLi16ELi32ELi8ELc78ELc78ELc76ELb0ELb0E19rocblas_complex_numIdEPKS1_PKS3_PKPS1_EviT_T9_T10_S9_lSB_S9_lSA_T11_S9_li
    .private_segment_fixed_size: 0
    .sgpr_count:     50
    .sgpr_spill_count: 0
    .symbol:         _ZL29rocblas_internal_gemmt_kernelIlLi16ELi32ELi8ELc78ELc78ELc76ELb0ELb0E19rocblas_complex_numIdEPKS1_PKS3_PKPS1_EviT_T9_T10_S9_lSB_S9_lSA_T11_S9_li.kd
    .uniform_work_group_size: 1
    .uses_dynamic_stack: false
    .vgpr_count:     66
    .vgpr_spill_count: 0
    .wavefront_size: 64
  - .agpr_count:     0
    .args:
      - .offset:         0
        .size:           4
        .value_kind:     by_value
      - .offset:         8
        .size:           8
        .value_kind:     by_value
      - .address_space:  global
        .offset:         16
        .size:           8
        .value_kind:     global_buffer
      - .address_space:  global
        .offset:         24
        .size:           8
        .value_kind:     global_buffer
      - .offset:         32
        .size:           8
        .value_kind:     by_value
      - .offset:         40
        .size:           8
        .value_kind:     by_value
      - .address_space:  global
        .offset:         48
        .size:           8
        .value_kind:     global_buffer
      - .offset:         56
        .size:           8
        .value_kind:     by_value
      - .offset:         64
        .size:           8
        .value_kind:     by_value
      - .address_space:  global
        .offset:         72
        .size:           8
        .value_kind:     global_buffer
      - .address_space:  global
        .offset:         80
        .size:           8
        .value_kind:     global_buffer
      - .offset:         88
        .size:           8
        .value_kind:     by_value
      - .offset:         96
        .size:           8
        .value_kind:     by_value
      - .offset:         104
        .size:           4
        .value_kind:     by_value
    .group_segment_fixed_size: 8192
    .kernarg_segment_align: 8
    .kernarg_segment_size: 108
    .language:       OpenCL C
    .language_version:
      - 2
      - 0
    .max_flat_workgroup_size: 256
    .name:           _ZL29rocblas_internal_gemmt_kernelIlLi16ELi32ELi8ELc78ELc84ELc76ELb0ELb0E19rocblas_complex_numIdEPKS1_PKS3_PKPS1_EviT_T9_T10_S9_lSB_S9_lSA_T11_S9_li
    .private_segment_fixed_size: 0
    .sgpr_count:     50
    .sgpr_spill_count: 0
    .symbol:         _ZL29rocblas_internal_gemmt_kernelIlLi16ELi32ELi8ELc78ELc84ELc76ELb0ELb0E19rocblas_complex_numIdEPKS1_PKS3_PKPS1_EviT_T9_T10_S9_lSB_S9_lSA_T11_S9_li.kd
    .uniform_work_group_size: 1
    .uses_dynamic_stack: false
    .vgpr_count:     66
    .vgpr_spill_count: 0
    .wavefront_size: 64
  - .agpr_count:     0
    .args:
      - .offset:         0
        .size:           4
        .value_kind:     by_value
      - .offset:         8
        .size:           8
        .value_kind:     by_value
      - .address_space:  global
        .offset:         16
        .size:           8
        .value_kind:     global_buffer
      - .address_space:  global
        .offset:         24
        .size:           8
        .value_kind:     global_buffer
      - .offset:         32
        .size:           8
        .value_kind:     by_value
      - .offset:         40
        .size:           8
        .value_kind:     by_value
      - .address_space:  global
        .offset:         48
        .size:           8
        .value_kind:     global_buffer
      - .offset:         56
        .size:           8
        .value_kind:     by_value
      - .offset:         64
        .size:           8
        .value_kind:     by_value
      - .address_space:  global
        .offset:         72
        .size:           8
        .value_kind:     global_buffer
      - .address_space:  global
        .offset:         80
        .size:           8
        .value_kind:     global_buffer
      - .offset:         88
        .size:           8
        .value_kind:     by_value
      - .offset:         96
        .size:           8
        .value_kind:     by_value
      - .offset:         104
        .size:           4
        .value_kind:     by_value
    .group_segment_fixed_size: 8192
    .kernarg_segment_align: 8
    .kernarg_segment_size: 108
    .language:       OpenCL C
    .language_version:
      - 2
      - 0
    .max_flat_workgroup_size: 256
    .name:           _ZL29rocblas_internal_gemmt_kernelIlLi16ELi32ELi8ELc78ELc67ELc76ELb0ELb1E19rocblas_complex_numIdEPKS1_PKS3_PKPS1_EviT_T9_T10_S9_lSB_S9_lSA_T11_S9_li
    .private_segment_fixed_size: 0
    .sgpr_count:     50
    .sgpr_spill_count: 0
    .symbol:         _ZL29rocblas_internal_gemmt_kernelIlLi16ELi32ELi8ELc78ELc67ELc76ELb0ELb1E19rocblas_complex_numIdEPKS1_PKS3_PKPS1_EviT_T9_T10_S9_lSB_S9_lSA_T11_S9_li.kd
    .uniform_work_group_size: 1
    .uses_dynamic_stack: false
    .vgpr_count:     66
    .vgpr_spill_count: 0
    .wavefront_size: 64
  - .agpr_count:     0
    .args:
      - .offset:         0
        .size:           4
        .value_kind:     by_value
      - .offset:         8
        .size:           8
        .value_kind:     by_value
      - .address_space:  global
        .offset:         16
        .size:           8
        .value_kind:     global_buffer
      - .address_space:  global
        .offset:         24
        .size:           8
        .value_kind:     global_buffer
      - .offset:         32
        .size:           8
        .value_kind:     by_value
      - .offset:         40
        .size:           8
        .value_kind:     by_value
      - .address_space:  global
        .offset:         48
        .size:           8
        .value_kind:     global_buffer
      - .offset:         56
        .size:           8
        .value_kind:     by_value
      - .offset:         64
        .size:           8
        .value_kind:     by_value
      - .address_space:  global
        .offset:         72
        .size:           8
        .value_kind:     global_buffer
      - .address_space:  global
        .offset:         80
        .size:           8
        .value_kind:     global_buffer
      - .offset:         88
        .size:           8
        .value_kind:     by_value
      - .offset:         96
        .size:           8
        .value_kind:     by_value
      - .offset:         104
        .size:           4
        .value_kind:     by_value
    .group_segment_fixed_size: 8192
    .kernarg_segment_align: 8
    .kernarg_segment_size: 108
    .language:       OpenCL C
    .language_version:
      - 2
      - 0
    .max_flat_workgroup_size: 256
    .name:           _ZL29rocblas_internal_gemmt_kernelIlLi16ELi32ELi8ELc84ELc78ELc76ELb0ELb0E19rocblas_complex_numIdEPKS1_PKS3_PKPS1_EviT_T9_T10_S9_lSB_S9_lSA_T11_S9_li
    .private_segment_fixed_size: 0
    .sgpr_count:     50
    .sgpr_spill_count: 0
    .symbol:         _ZL29rocblas_internal_gemmt_kernelIlLi16ELi32ELi8ELc84ELc78ELc76ELb0ELb0E19rocblas_complex_numIdEPKS1_PKS3_PKPS1_EviT_T9_T10_S9_lSB_S9_lSA_T11_S9_li.kd
    .uniform_work_group_size: 1
    .uses_dynamic_stack: false
    .vgpr_count:     66
    .vgpr_spill_count: 0
    .wavefront_size: 64
  - .agpr_count:     0
    .args:
      - .offset:         0
        .size:           4
        .value_kind:     by_value
      - .offset:         8
        .size:           8
        .value_kind:     by_value
      - .address_space:  global
        .offset:         16
        .size:           8
        .value_kind:     global_buffer
      - .address_space:  global
        .offset:         24
        .size:           8
        .value_kind:     global_buffer
      - .offset:         32
        .size:           8
        .value_kind:     by_value
      - .offset:         40
        .size:           8
        .value_kind:     by_value
      - .address_space:  global
        .offset:         48
        .size:           8
        .value_kind:     global_buffer
      - .offset:         56
        .size:           8
        .value_kind:     by_value
      - .offset:         64
        .size:           8
        .value_kind:     by_value
      - .address_space:  global
        .offset:         72
        .size:           8
        .value_kind:     global_buffer
      - .address_space:  global
        .offset:         80
        .size:           8
        .value_kind:     global_buffer
      - .offset:         88
        .size:           8
        .value_kind:     by_value
      - .offset:         96
        .size:           8
        .value_kind:     by_value
      - .offset:         104
        .size:           4
        .value_kind:     by_value
    .group_segment_fixed_size: 8192
    .kernarg_segment_align: 8
    .kernarg_segment_size: 108
    .language:       OpenCL C
    .language_version:
      - 2
      - 0
    .max_flat_workgroup_size: 256
    .name:           _ZL29rocblas_internal_gemmt_kernelIlLi16ELi32ELi8ELc84ELc84ELc76ELb0ELb0E19rocblas_complex_numIdEPKS1_PKS3_PKPS1_EviT_T9_T10_S9_lSB_S9_lSA_T11_S9_li
    .private_segment_fixed_size: 0
    .sgpr_count:     50
    .sgpr_spill_count: 0
    .symbol:         _ZL29rocblas_internal_gemmt_kernelIlLi16ELi32ELi8ELc84ELc84ELc76ELb0ELb0E19rocblas_complex_numIdEPKS1_PKS3_PKPS1_EviT_T9_T10_S9_lSB_S9_lSA_T11_S9_li.kd
    .uniform_work_group_size: 1
    .uses_dynamic_stack: false
    .vgpr_count:     66
    .vgpr_spill_count: 0
    .wavefront_size: 64
  - .agpr_count:     0
    .args:
      - .offset:         0
        .size:           4
        .value_kind:     by_value
      - .offset:         8
        .size:           8
        .value_kind:     by_value
      - .address_space:  global
        .offset:         16
        .size:           8
        .value_kind:     global_buffer
      - .address_space:  global
        .offset:         24
        .size:           8
        .value_kind:     global_buffer
      - .offset:         32
        .size:           8
        .value_kind:     by_value
      - .offset:         40
        .size:           8
        .value_kind:     by_value
      - .address_space:  global
        .offset:         48
        .size:           8
        .value_kind:     global_buffer
      - .offset:         56
        .size:           8
        .value_kind:     by_value
      - .offset:         64
        .size:           8
        .value_kind:     by_value
      - .address_space:  global
        .offset:         72
        .size:           8
        .value_kind:     global_buffer
      - .address_space:  global
        .offset:         80
        .size:           8
        .value_kind:     global_buffer
      - .offset:         88
        .size:           8
        .value_kind:     by_value
      - .offset:         96
        .size:           8
        .value_kind:     by_value
      - .offset:         104
        .size:           4
        .value_kind:     by_value
    .group_segment_fixed_size: 8192
    .kernarg_segment_align: 8
    .kernarg_segment_size: 108
    .language:       OpenCL C
    .language_version:
      - 2
      - 0
    .max_flat_workgroup_size: 256
    .name:           _ZL29rocblas_internal_gemmt_kernelIlLi16ELi32ELi8ELc84ELc67ELc76ELb0ELb1E19rocblas_complex_numIdEPKS1_PKS3_PKPS1_EviT_T9_T10_S9_lSB_S9_lSA_T11_S9_li
    .private_segment_fixed_size: 0
    .sgpr_count:     50
    .sgpr_spill_count: 0
    .symbol:         _ZL29rocblas_internal_gemmt_kernelIlLi16ELi32ELi8ELc84ELc67ELc76ELb0ELb1E19rocblas_complex_numIdEPKS1_PKS3_PKPS1_EviT_T9_T10_S9_lSB_S9_lSA_T11_S9_li.kd
    .uniform_work_group_size: 1
    .uses_dynamic_stack: false
    .vgpr_count:     66
    .vgpr_spill_count: 0
    .wavefront_size: 64
  - .agpr_count:     0
    .args:
      - .offset:         0
        .size:           4
        .value_kind:     by_value
      - .offset:         8
        .size:           8
        .value_kind:     by_value
      - .address_space:  global
        .offset:         16
        .size:           8
        .value_kind:     global_buffer
      - .address_space:  global
        .offset:         24
        .size:           8
        .value_kind:     global_buffer
      - .offset:         32
        .size:           8
        .value_kind:     by_value
      - .offset:         40
        .size:           8
        .value_kind:     by_value
      - .address_space:  global
        .offset:         48
        .size:           8
        .value_kind:     global_buffer
      - .offset:         56
        .size:           8
        .value_kind:     by_value
      - .offset:         64
        .size:           8
        .value_kind:     by_value
      - .address_space:  global
        .offset:         72
        .size:           8
        .value_kind:     global_buffer
      - .address_space:  global
        .offset:         80
        .size:           8
        .value_kind:     global_buffer
      - .offset:         88
        .size:           8
        .value_kind:     by_value
      - .offset:         96
        .size:           8
        .value_kind:     by_value
      - .offset:         104
        .size:           4
        .value_kind:     by_value
    .group_segment_fixed_size: 8192
    .kernarg_segment_align: 8
    .kernarg_segment_size: 108
    .language:       OpenCL C
    .language_version:
      - 2
      - 0
    .max_flat_workgroup_size: 256
    .name:           _ZL29rocblas_internal_gemmt_kernelIlLi16ELi32ELi8ELc67ELc78ELc76ELb1ELb0E19rocblas_complex_numIdEPKS1_PKS3_PKPS1_EviT_T9_T10_S9_lSB_S9_lSA_T11_S9_li
    .private_segment_fixed_size: 0
    .sgpr_count:     50
    .sgpr_spill_count: 0
    .symbol:         _ZL29rocblas_internal_gemmt_kernelIlLi16ELi32ELi8ELc67ELc78ELc76ELb1ELb0E19rocblas_complex_numIdEPKS1_PKS3_PKPS1_EviT_T9_T10_S9_lSB_S9_lSA_T11_S9_li.kd
    .uniform_work_group_size: 1
    .uses_dynamic_stack: false
    .vgpr_count:     64
    .vgpr_spill_count: 0
    .wavefront_size: 64
  - .agpr_count:     0
    .args:
      - .offset:         0
        .size:           4
        .value_kind:     by_value
      - .offset:         8
        .size:           8
        .value_kind:     by_value
      - .address_space:  global
        .offset:         16
        .size:           8
        .value_kind:     global_buffer
      - .address_space:  global
        .offset:         24
        .size:           8
        .value_kind:     global_buffer
      - .offset:         32
        .size:           8
        .value_kind:     by_value
      - .offset:         40
        .size:           8
        .value_kind:     by_value
      - .address_space:  global
        .offset:         48
        .size:           8
        .value_kind:     global_buffer
      - .offset:         56
        .size:           8
        .value_kind:     by_value
      - .offset:         64
        .size:           8
        .value_kind:     by_value
      - .address_space:  global
        .offset:         72
        .size:           8
        .value_kind:     global_buffer
      - .address_space:  global
        .offset:         80
        .size:           8
        .value_kind:     global_buffer
      - .offset:         88
        .size:           8
        .value_kind:     by_value
      - .offset:         96
        .size:           8
        .value_kind:     by_value
      - .offset:         104
        .size:           4
        .value_kind:     by_value
    .group_segment_fixed_size: 8192
    .kernarg_segment_align: 8
    .kernarg_segment_size: 108
    .language:       OpenCL C
    .language_version:
      - 2
      - 0
    .max_flat_workgroup_size: 256
    .name:           _ZL29rocblas_internal_gemmt_kernelIlLi16ELi32ELi8ELc67ELc84ELc76ELb1ELb0E19rocblas_complex_numIdEPKS1_PKS3_PKPS1_EviT_T9_T10_S9_lSB_S9_lSA_T11_S9_li
    .private_segment_fixed_size: 0
    .sgpr_count:     50
    .sgpr_spill_count: 0
    .symbol:         _ZL29rocblas_internal_gemmt_kernelIlLi16ELi32ELi8ELc67ELc84ELc76ELb1ELb0E19rocblas_complex_numIdEPKS1_PKS3_PKPS1_EviT_T9_T10_S9_lSB_S9_lSA_T11_S9_li.kd
    .uniform_work_group_size: 1
    .uses_dynamic_stack: false
    .vgpr_count:     64
    .vgpr_spill_count: 0
    .wavefront_size: 64
  - .agpr_count:     0
    .args:
      - .offset:         0
        .size:           4
        .value_kind:     by_value
      - .offset:         8
        .size:           8
        .value_kind:     by_value
      - .address_space:  global
        .offset:         16
        .size:           8
        .value_kind:     global_buffer
      - .address_space:  global
        .offset:         24
        .size:           8
        .value_kind:     global_buffer
      - .offset:         32
        .size:           8
        .value_kind:     by_value
      - .offset:         40
        .size:           8
        .value_kind:     by_value
      - .address_space:  global
        .offset:         48
        .size:           8
        .value_kind:     global_buffer
      - .offset:         56
        .size:           8
        .value_kind:     by_value
      - .offset:         64
        .size:           8
        .value_kind:     by_value
      - .address_space:  global
        .offset:         72
        .size:           8
        .value_kind:     global_buffer
      - .address_space:  global
        .offset:         80
        .size:           8
        .value_kind:     global_buffer
      - .offset:         88
        .size:           8
        .value_kind:     by_value
      - .offset:         96
        .size:           8
        .value_kind:     by_value
      - .offset:         104
        .size:           4
        .value_kind:     by_value
    .group_segment_fixed_size: 8192
    .kernarg_segment_align: 8
    .kernarg_segment_size: 108
    .language:       OpenCL C
    .language_version:
      - 2
      - 0
    .max_flat_workgroup_size: 256
    .name:           _ZL29rocblas_internal_gemmt_kernelIlLi16ELi32ELi8ELc67ELc67ELc76ELb1ELb1E19rocblas_complex_numIdEPKS1_PKS3_PKPS1_EviT_T9_T10_S9_lSB_S9_lSA_T11_S9_li
    .private_segment_fixed_size: 0
    .sgpr_count:     50
    .sgpr_spill_count: 0
    .symbol:         _ZL29rocblas_internal_gemmt_kernelIlLi16ELi32ELi8ELc67ELc67ELc76ELb1ELb1E19rocblas_complex_numIdEPKS1_PKS3_PKPS1_EviT_T9_T10_S9_lSB_S9_lSA_T11_S9_li.kd
    .uniform_work_group_size: 1
    .uses_dynamic_stack: false
    .vgpr_count:     60
    .vgpr_spill_count: 0
    .wavefront_size: 64
  - .agpr_count:     0
    .args:
      - .offset:         0
        .size:           4
        .value_kind:     by_value
      - .offset:         8
        .size:           8
        .value_kind:     by_value
      - .offset:         16
        .size:           16
        .value_kind:     by_value
      - .address_space:  global
        .offset:         32
        .size:           8
        .value_kind:     global_buffer
      - .offset:         40
        .size:           8
        .value_kind:     by_value
      - .offset:         48
        .size:           8
        .value_kind:     by_value
      - .address_space:  global
        .offset:         56
        .size:           8
        .value_kind:     global_buffer
      - .offset:         64
        .size:           8
        .value_kind:     by_value
      - .offset:         72
        .size:           8
        .value_kind:     by_value
      - .offset:         80
        .size:           16
        .value_kind:     by_value
      - .address_space:  global
        .offset:         96
        .size:           8
        .value_kind:     global_buffer
      - .offset:         104
        .size:           8
        .value_kind:     by_value
      - .offset:         112
        .size:           8
        .value_kind:     by_value
      - .offset:         120
        .size:           4
        .value_kind:     by_value
    .group_segment_fixed_size: 8192
    .kernarg_segment_align: 8
    .kernarg_segment_size: 124
    .language:       OpenCL C
    .language_version:
      - 2
      - 0
    .max_flat_workgroup_size: 256
    .name:           _ZL29rocblas_internal_gemmt_kernelIlLi16ELi32ELi8ELc78ELc78ELc85ELb0ELb0E19rocblas_complex_numIdES1_PKPKS1_PKPS1_EviT_T9_T10_S9_lSB_S9_lSA_T11_S9_li
    .private_segment_fixed_size: 0
    .sgpr_count:     46
    .sgpr_spill_count: 0
    .symbol:         _ZL29rocblas_internal_gemmt_kernelIlLi16ELi32ELi8ELc78ELc78ELc85ELb0ELb0E19rocblas_complex_numIdES1_PKPKS1_PKPS1_EviT_T9_T10_S9_lSB_S9_lSA_T11_S9_li.kd
    .uniform_work_group_size: 1
    .uses_dynamic_stack: false
    .vgpr_count:     66
    .vgpr_spill_count: 0
    .wavefront_size: 64
  - .agpr_count:     0
    .args:
      - .offset:         0
        .size:           4
        .value_kind:     by_value
      - .offset:         8
        .size:           8
        .value_kind:     by_value
      - .offset:         16
        .size:           16
        .value_kind:     by_value
      - .address_space:  global
        .offset:         32
        .size:           8
        .value_kind:     global_buffer
      - .offset:         40
        .size:           8
        .value_kind:     by_value
      - .offset:         48
        .size:           8
        .value_kind:     by_value
      - .address_space:  global
        .offset:         56
        .size:           8
        .value_kind:     global_buffer
      - .offset:         64
        .size:           8
        .value_kind:     by_value
      - .offset:         72
        .size:           8
        .value_kind:     by_value
      - .offset:         80
        .size:           16
        .value_kind:     by_value
      - .address_space:  global
        .offset:         96
        .size:           8
        .value_kind:     global_buffer
      - .offset:         104
        .size:           8
        .value_kind:     by_value
      - .offset:         112
        .size:           8
        .value_kind:     by_value
      - .offset:         120
        .size:           4
        .value_kind:     by_value
    .group_segment_fixed_size: 8192
    .kernarg_segment_align: 8
    .kernarg_segment_size: 124
    .language:       OpenCL C
    .language_version:
      - 2
      - 0
    .max_flat_workgroup_size: 256
    .name:           _ZL29rocblas_internal_gemmt_kernelIlLi16ELi32ELi8ELc78ELc84ELc85ELb0ELb0E19rocblas_complex_numIdES1_PKPKS1_PKPS1_EviT_T9_T10_S9_lSB_S9_lSA_T11_S9_li
    .private_segment_fixed_size: 0
    .sgpr_count:     48
    .sgpr_spill_count: 0
    .symbol:         _ZL29rocblas_internal_gemmt_kernelIlLi16ELi32ELi8ELc78ELc84ELc85ELb0ELb0E19rocblas_complex_numIdES1_PKPKS1_PKPS1_EviT_T9_T10_S9_lSB_S9_lSA_T11_S9_li.kd
    .uniform_work_group_size: 1
    .uses_dynamic_stack: false
    .vgpr_count:     66
    .vgpr_spill_count: 0
    .wavefront_size: 64
  - .agpr_count:     0
    .args:
      - .offset:         0
        .size:           4
        .value_kind:     by_value
      - .offset:         8
        .size:           8
        .value_kind:     by_value
      - .offset:         16
        .size:           16
        .value_kind:     by_value
      - .address_space:  global
        .offset:         32
        .size:           8
        .value_kind:     global_buffer
      - .offset:         40
        .size:           8
        .value_kind:     by_value
      - .offset:         48
        .size:           8
        .value_kind:     by_value
      - .address_space:  global
        .offset:         56
        .size:           8
        .value_kind:     global_buffer
      - .offset:         64
        .size:           8
        .value_kind:     by_value
      - .offset:         72
        .size:           8
        .value_kind:     by_value
      - .offset:         80
        .size:           16
        .value_kind:     by_value
      - .address_space:  global
        .offset:         96
        .size:           8
        .value_kind:     global_buffer
      - .offset:         104
        .size:           8
        .value_kind:     by_value
      - .offset:         112
        .size:           8
        .value_kind:     by_value
      - .offset:         120
        .size:           4
        .value_kind:     by_value
    .group_segment_fixed_size: 8192
    .kernarg_segment_align: 8
    .kernarg_segment_size: 124
    .language:       OpenCL C
    .language_version:
      - 2
      - 0
    .max_flat_workgroup_size: 256
    .name:           _ZL29rocblas_internal_gemmt_kernelIlLi16ELi32ELi8ELc78ELc67ELc85ELb0ELb1E19rocblas_complex_numIdES1_PKPKS1_PKPS1_EviT_T9_T10_S9_lSB_S9_lSA_T11_S9_li
    .private_segment_fixed_size: 0
    .sgpr_count:     48
    .sgpr_spill_count: 0
    .symbol:         _ZL29rocblas_internal_gemmt_kernelIlLi16ELi32ELi8ELc78ELc67ELc85ELb0ELb1E19rocblas_complex_numIdES1_PKPKS1_PKPS1_EviT_T9_T10_S9_lSB_S9_lSA_T11_S9_li.kd
    .uniform_work_group_size: 1
    .uses_dynamic_stack: false
    .vgpr_count:     66
    .vgpr_spill_count: 0
    .wavefront_size: 64
  - .agpr_count:     0
    .args:
      - .offset:         0
        .size:           4
        .value_kind:     by_value
      - .offset:         8
        .size:           8
        .value_kind:     by_value
      - .offset:         16
        .size:           16
        .value_kind:     by_value
      - .address_space:  global
        .offset:         32
        .size:           8
        .value_kind:     global_buffer
      - .offset:         40
        .size:           8
        .value_kind:     by_value
      - .offset:         48
        .size:           8
        .value_kind:     by_value
      - .address_space:  global
        .offset:         56
        .size:           8
        .value_kind:     global_buffer
      - .offset:         64
        .size:           8
        .value_kind:     by_value
      - .offset:         72
        .size:           8
        .value_kind:     by_value
      - .offset:         80
        .size:           16
        .value_kind:     by_value
      - .address_space:  global
        .offset:         96
        .size:           8
        .value_kind:     global_buffer
      - .offset:         104
        .size:           8
        .value_kind:     by_value
      - .offset:         112
        .size:           8
        .value_kind:     by_value
      - .offset:         120
        .size:           4
        .value_kind:     by_value
    .group_segment_fixed_size: 8192
    .kernarg_segment_align: 8
    .kernarg_segment_size: 124
    .language:       OpenCL C
    .language_version:
      - 2
      - 0
    .max_flat_workgroup_size: 256
    .name:           _ZL29rocblas_internal_gemmt_kernelIlLi16ELi32ELi8ELc84ELc78ELc85ELb0ELb0E19rocblas_complex_numIdES1_PKPKS1_PKPS1_EviT_T9_T10_S9_lSB_S9_lSA_T11_S9_li
    .private_segment_fixed_size: 0
    .sgpr_count:     46
    .sgpr_spill_count: 0
    .symbol:         _ZL29rocblas_internal_gemmt_kernelIlLi16ELi32ELi8ELc84ELc78ELc85ELb0ELb0E19rocblas_complex_numIdES1_PKPKS1_PKPS1_EviT_T9_T10_S9_lSB_S9_lSA_T11_S9_li.kd
    .uniform_work_group_size: 1
    .uses_dynamic_stack: false
    .vgpr_count:     66
    .vgpr_spill_count: 0
    .wavefront_size: 64
  - .agpr_count:     0
    .args:
      - .offset:         0
        .size:           4
        .value_kind:     by_value
      - .offset:         8
        .size:           8
        .value_kind:     by_value
      - .offset:         16
        .size:           16
        .value_kind:     by_value
      - .address_space:  global
        .offset:         32
        .size:           8
        .value_kind:     global_buffer
      - .offset:         40
        .size:           8
        .value_kind:     by_value
      - .offset:         48
        .size:           8
        .value_kind:     by_value
      - .address_space:  global
        .offset:         56
        .size:           8
        .value_kind:     global_buffer
      - .offset:         64
        .size:           8
        .value_kind:     by_value
      - .offset:         72
        .size:           8
        .value_kind:     by_value
      - .offset:         80
        .size:           16
        .value_kind:     by_value
      - .address_space:  global
        .offset:         96
        .size:           8
        .value_kind:     global_buffer
      - .offset:         104
        .size:           8
        .value_kind:     by_value
      - .offset:         112
        .size:           8
        .value_kind:     by_value
      - .offset:         120
        .size:           4
        .value_kind:     by_value
    .group_segment_fixed_size: 8192
    .kernarg_segment_align: 8
    .kernarg_segment_size: 124
    .language:       OpenCL C
    .language_version:
      - 2
      - 0
    .max_flat_workgroup_size: 256
    .name:           _ZL29rocblas_internal_gemmt_kernelIlLi16ELi32ELi8ELc84ELc84ELc85ELb0ELb0E19rocblas_complex_numIdES1_PKPKS1_PKPS1_EviT_T9_T10_S9_lSB_S9_lSA_T11_S9_li
    .private_segment_fixed_size: 0
    .sgpr_count:     46
    .sgpr_spill_count: 0
    .symbol:         _ZL29rocblas_internal_gemmt_kernelIlLi16ELi32ELi8ELc84ELc84ELc85ELb0ELb0E19rocblas_complex_numIdES1_PKPKS1_PKPS1_EviT_T9_T10_S9_lSB_S9_lSA_T11_S9_li.kd
    .uniform_work_group_size: 1
    .uses_dynamic_stack: false
    .vgpr_count:     66
    .vgpr_spill_count: 0
    .wavefront_size: 64
  - .agpr_count:     0
    .args:
      - .offset:         0
        .size:           4
        .value_kind:     by_value
      - .offset:         8
        .size:           8
        .value_kind:     by_value
      - .offset:         16
        .size:           16
        .value_kind:     by_value
      - .address_space:  global
        .offset:         32
        .size:           8
        .value_kind:     global_buffer
      - .offset:         40
        .size:           8
        .value_kind:     by_value
      - .offset:         48
        .size:           8
        .value_kind:     by_value
      - .address_space:  global
        .offset:         56
        .size:           8
        .value_kind:     global_buffer
      - .offset:         64
        .size:           8
        .value_kind:     by_value
      - .offset:         72
        .size:           8
        .value_kind:     by_value
      - .offset:         80
        .size:           16
        .value_kind:     by_value
      - .address_space:  global
        .offset:         96
        .size:           8
        .value_kind:     global_buffer
      - .offset:         104
        .size:           8
        .value_kind:     by_value
      - .offset:         112
        .size:           8
        .value_kind:     by_value
      - .offset:         120
        .size:           4
        .value_kind:     by_value
    .group_segment_fixed_size: 8192
    .kernarg_segment_align: 8
    .kernarg_segment_size: 124
    .language:       OpenCL C
    .language_version:
      - 2
      - 0
    .max_flat_workgroup_size: 256
    .name:           _ZL29rocblas_internal_gemmt_kernelIlLi16ELi32ELi8ELc84ELc67ELc85ELb0ELb1E19rocblas_complex_numIdES1_PKPKS1_PKPS1_EviT_T9_T10_S9_lSB_S9_lSA_T11_S9_li
    .private_segment_fixed_size: 0
    .sgpr_count:     46
    .sgpr_spill_count: 0
    .symbol:         _ZL29rocblas_internal_gemmt_kernelIlLi16ELi32ELi8ELc84ELc67ELc85ELb0ELb1E19rocblas_complex_numIdES1_PKPKS1_PKPS1_EviT_T9_T10_S9_lSB_S9_lSA_T11_S9_li.kd
    .uniform_work_group_size: 1
    .uses_dynamic_stack: false
    .vgpr_count:     66
    .vgpr_spill_count: 0
    .wavefront_size: 64
  - .agpr_count:     0
    .args:
      - .offset:         0
        .size:           4
        .value_kind:     by_value
      - .offset:         8
        .size:           8
        .value_kind:     by_value
      - .offset:         16
        .size:           16
        .value_kind:     by_value
      - .address_space:  global
        .offset:         32
        .size:           8
        .value_kind:     global_buffer
      - .offset:         40
        .size:           8
        .value_kind:     by_value
      - .offset:         48
        .size:           8
        .value_kind:     by_value
      - .address_space:  global
        .offset:         56
        .size:           8
        .value_kind:     global_buffer
      - .offset:         64
        .size:           8
        .value_kind:     by_value
      - .offset:         72
        .size:           8
        .value_kind:     by_value
      - .offset:         80
        .size:           16
        .value_kind:     by_value
      - .address_space:  global
        .offset:         96
        .size:           8
        .value_kind:     global_buffer
      - .offset:         104
        .size:           8
        .value_kind:     by_value
      - .offset:         112
        .size:           8
        .value_kind:     by_value
      - .offset:         120
        .size:           4
        .value_kind:     by_value
    .group_segment_fixed_size: 8192
    .kernarg_segment_align: 8
    .kernarg_segment_size: 124
    .language:       OpenCL C
    .language_version:
      - 2
      - 0
    .max_flat_workgroup_size: 256
    .name:           _ZL29rocblas_internal_gemmt_kernelIlLi16ELi32ELi8ELc67ELc78ELc85ELb1ELb0E19rocblas_complex_numIdES1_PKPKS1_PKPS1_EviT_T9_T10_S9_lSB_S9_lSA_T11_S9_li
    .private_segment_fixed_size: 0
    .sgpr_count:     46
    .sgpr_spill_count: 0
    .symbol:         _ZL29rocblas_internal_gemmt_kernelIlLi16ELi32ELi8ELc67ELc78ELc85ELb1ELb0E19rocblas_complex_numIdES1_PKPKS1_PKPS1_EviT_T9_T10_S9_lSB_S9_lSA_T11_S9_li.kd
    .uniform_work_group_size: 1
    .uses_dynamic_stack: false
    .vgpr_count:     64
    .vgpr_spill_count: 0
    .wavefront_size: 64
  - .agpr_count:     0
    .args:
      - .offset:         0
        .size:           4
        .value_kind:     by_value
      - .offset:         8
        .size:           8
        .value_kind:     by_value
      - .offset:         16
        .size:           16
        .value_kind:     by_value
      - .address_space:  global
        .offset:         32
        .size:           8
        .value_kind:     global_buffer
      - .offset:         40
        .size:           8
        .value_kind:     by_value
      - .offset:         48
        .size:           8
        .value_kind:     by_value
      - .address_space:  global
        .offset:         56
        .size:           8
        .value_kind:     global_buffer
      - .offset:         64
        .size:           8
        .value_kind:     by_value
      - .offset:         72
        .size:           8
        .value_kind:     by_value
      - .offset:         80
        .size:           16
        .value_kind:     by_value
      - .address_space:  global
        .offset:         96
        .size:           8
        .value_kind:     global_buffer
      - .offset:         104
        .size:           8
        .value_kind:     by_value
      - .offset:         112
        .size:           8
        .value_kind:     by_value
      - .offset:         120
        .size:           4
        .value_kind:     by_value
    .group_segment_fixed_size: 8192
    .kernarg_segment_align: 8
    .kernarg_segment_size: 124
    .language:       OpenCL C
    .language_version:
      - 2
      - 0
    .max_flat_workgroup_size: 256
    .name:           _ZL29rocblas_internal_gemmt_kernelIlLi16ELi32ELi8ELc67ELc84ELc85ELb1ELb0E19rocblas_complex_numIdES1_PKPKS1_PKPS1_EviT_T9_T10_S9_lSB_S9_lSA_T11_S9_li
    .private_segment_fixed_size: 0
    .sgpr_count:     46
    .sgpr_spill_count: 0
    .symbol:         _ZL29rocblas_internal_gemmt_kernelIlLi16ELi32ELi8ELc67ELc84ELc85ELb1ELb0E19rocblas_complex_numIdES1_PKPKS1_PKPS1_EviT_T9_T10_S9_lSB_S9_lSA_T11_S9_li.kd
    .uniform_work_group_size: 1
    .uses_dynamic_stack: false
    .vgpr_count:     64
    .vgpr_spill_count: 0
    .wavefront_size: 64
  - .agpr_count:     0
    .args:
      - .offset:         0
        .size:           4
        .value_kind:     by_value
      - .offset:         8
        .size:           8
        .value_kind:     by_value
      - .offset:         16
        .size:           16
        .value_kind:     by_value
      - .address_space:  global
        .offset:         32
        .size:           8
        .value_kind:     global_buffer
      - .offset:         40
        .size:           8
        .value_kind:     by_value
      - .offset:         48
        .size:           8
        .value_kind:     by_value
      - .address_space:  global
        .offset:         56
        .size:           8
        .value_kind:     global_buffer
      - .offset:         64
        .size:           8
        .value_kind:     by_value
      - .offset:         72
        .size:           8
        .value_kind:     by_value
      - .offset:         80
        .size:           16
        .value_kind:     by_value
      - .address_space:  global
        .offset:         96
        .size:           8
        .value_kind:     global_buffer
      - .offset:         104
        .size:           8
        .value_kind:     by_value
      - .offset:         112
        .size:           8
        .value_kind:     by_value
      - .offset:         120
        .size:           4
        .value_kind:     by_value
    .group_segment_fixed_size: 8192
    .kernarg_segment_align: 8
    .kernarg_segment_size: 124
    .language:       OpenCL C
    .language_version:
      - 2
      - 0
    .max_flat_workgroup_size: 256
    .name:           _ZL29rocblas_internal_gemmt_kernelIlLi16ELi32ELi8ELc67ELc67ELc85ELb1ELb1E19rocblas_complex_numIdES1_PKPKS1_PKPS1_EviT_T9_T10_S9_lSB_S9_lSA_T11_S9_li
    .private_segment_fixed_size: 0
    .sgpr_count:     46
    .sgpr_spill_count: 0
    .symbol:         _ZL29rocblas_internal_gemmt_kernelIlLi16ELi32ELi8ELc67ELc67ELc85ELb1ELb1E19rocblas_complex_numIdES1_PKPKS1_PKPS1_EviT_T9_T10_S9_lSB_S9_lSA_T11_S9_li.kd
    .uniform_work_group_size: 1
    .uses_dynamic_stack: false
    .vgpr_count:     60
    .vgpr_spill_count: 0
    .wavefront_size: 64
  - .agpr_count:     0
    .args:
      - .offset:         0
        .size:           4
        .value_kind:     by_value
      - .offset:         8
        .size:           8
        .value_kind:     by_value
      - .offset:         16
        .size:           16
        .value_kind:     by_value
      - .address_space:  global
        .offset:         32
        .size:           8
        .value_kind:     global_buffer
      - .offset:         40
        .size:           8
        .value_kind:     by_value
      - .offset:         48
        .size:           8
        .value_kind:     by_value
      - .address_space:  global
        .offset:         56
        .size:           8
        .value_kind:     global_buffer
      - .offset:         64
        .size:           8
        .value_kind:     by_value
      - .offset:         72
        .size:           8
        .value_kind:     by_value
      - .offset:         80
        .size:           16
        .value_kind:     by_value
      - .address_space:  global
        .offset:         96
        .size:           8
        .value_kind:     global_buffer
      - .offset:         104
        .size:           8
        .value_kind:     by_value
      - .offset:         112
        .size:           8
        .value_kind:     by_value
      - .offset:         120
        .size:           4
        .value_kind:     by_value
    .group_segment_fixed_size: 8192
    .kernarg_segment_align: 8
    .kernarg_segment_size: 124
    .language:       OpenCL C
    .language_version:
      - 2
      - 0
    .max_flat_workgroup_size: 256
    .name:           _ZL29rocblas_internal_gemmt_kernelIlLi16ELi32ELi8ELc78ELc78ELc76ELb0ELb0E19rocblas_complex_numIdES1_PKPKS1_PKPS1_EviT_T9_T10_S9_lSB_S9_lSA_T11_S9_li
    .private_segment_fixed_size: 0
    .sgpr_count:     46
    .sgpr_spill_count: 0
    .symbol:         _ZL29rocblas_internal_gemmt_kernelIlLi16ELi32ELi8ELc78ELc78ELc76ELb0ELb0E19rocblas_complex_numIdES1_PKPKS1_PKPS1_EviT_T9_T10_S9_lSB_S9_lSA_T11_S9_li.kd
    .uniform_work_group_size: 1
    .uses_dynamic_stack: false
    .vgpr_count:     66
    .vgpr_spill_count: 0
    .wavefront_size: 64
  - .agpr_count:     0
    .args:
      - .offset:         0
        .size:           4
        .value_kind:     by_value
      - .offset:         8
        .size:           8
        .value_kind:     by_value
      - .offset:         16
        .size:           16
        .value_kind:     by_value
      - .address_space:  global
        .offset:         32
        .size:           8
        .value_kind:     global_buffer
      - .offset:         40
        .size:           8
        .value_kind:     by_value
      - .offset:         48
        .size:           8
        .value_kind:     by_value
      - .address_space:  global
        .offset:         56
        .size:           8
        .value_kind:     global_buffer
      - .offset:         64
        .size:           8
        .value_kind:     by_value
      - .offset:         72
        .size:           8
        .value_kind:     by_value
      - .offset:         80
        .size:           16
        .value_kind:     by_value
      - .address_space:  global
        .offset:         96
        .size:           8
        .value_kind:     global_buffer
      - .offset:         104
        .size:           8
        .value_kind:     by_value
      - .offset:         112
        .size:           8
        .value_kind:     by_value
      - .offset:         120
        .size:           4
        .value_kind:     by_value
    .group_segment_fixed_size: 8192
    .kernarg_segment_align: 8
    .kernarg_segment_size: 124
    .language:       OpenCL C
    .language_version:
      - 2
      - 0
    .max_flat_workgroup_size: 256
    .name:           _ZL29rocblas_internal_gemmt_kernelIlLi16ELi32ELi8ELc78ELc84ELc76ELb0ELb0E19rocblas_complex_numIdES1_PKPKS1_PKPS1_EviT_T9_T10_S9_lSB_S9_lSA_T11_S9_li
    .private_segment_fixed_size: 0
    .sgpr_count:     48
    .sgpr_spill_count: 0
    .symbol:         _ZL29rocblas_internal_gemmt_kernelIlLi16ELi32ELi8ELc78ELc84ELc76ELb0ELb0E19rocblas_complex_numIdES1_PKPKS1_PKPS1_EviT_T9_T10_S9_lSB_S9_lSA_T11_S9_li.kd
    .uniform_work_group_size: 1
    .uses_dynamic_stack: false
    .vgpr_count:     66
    .vgpr_spill_count: 0
    .wavefront_size: 64
  - .agpr_count:     0
    .args:
      - .offset:         0
        .size:           4
        .value_kind:     by_value
      - .offset:         8
        .size:           8
        .value_kind:     by_value
      - .offset:         16
        .size:           16
        .value_kind:     by_value
      - .address_space:  global
        .offset:         32
        .size:           8
        .value_kind:     global_buffer
      - .offset:         40
        .size:           8
        .value_kind:     by_value
      - .offset:         48
        .size:           8
        .value_kind:     by_value
      - .address_space:  global
        .offset:         56
        .size:           8
        .value_kind:     global_buffer
      - .offset:         64
        .size:           8
        .value_kind:     by_value
      - .offset:         72
        .size:           8
        .value_kind:     by_value
      - .offset:         80
        .size:           16
        .value_kind:     by_value
      - .address_space:  global
        .offset:         96
        .size:           8
        .value_kind:     global_buffer
      - .offset:         104
        .size:           8
        .value_kind:     by_value
      - .offset:         112
        .size:           8
        .value_kind:     by_value
      - .offset:         120
        .size:           4
        .value_kind:     by_value
    .group_segment_fixed_size: 8192
    .kernarg_segment_align: 8
    .kernarg_segment_size: 124
    .language:       OpenCL C
    .language_version:
      - 2
      - 0
    .max_flat_workgroup_size: 256
    .name:           _ZL29rocblas_internal_gemmt_kernelIlLi16ELi32ELi8ELc78ELc67ELc76ELb0ELb1E19rocblas_complex_numIdES1_PKPKS1_PKPS1_EviT_T9_T10_S9_lSB_S9_lSA_T11_S9_li
    .private_segment_fixed_size: 0
    .sgpr_count:     48
    .sgpr_spill_count: 0
    .symbol:         _ZL29rocblas_internal_gemmt_kernelIlLi16ELi32ELi8ELc78ELc67ELc76ELb0ELb1E19rocblas_complex_numIdES1_PKPKS1_PKPS1_EviT_T9_T10_S9_lSB_S9_lSA_T11_S9_li.kd
    .uniform_work_group_size: 1
    .uses_dynamic_stack: false
    .vgpr_count:     66
    .vgpr_spill_count: 0
    .wavefront_size: 64
  - .agpr_count:     0
    .args:
      - .offset:         0
        .size:           4
        .value_kind:     by_value
      - .offset:         8
        .size:           8
        .value_kind:     by_value
      - .offset:         16
        .size:           16
        .value_kind:     by_value
      - .address_space:  global
        .offset:         32
        .size:           8
        .value_kind:     global_buffer
      - .offset:         40
        .size:           8
        .value_kind:     by_value
      - .offset:         48
        .size:           8
        .value_kind:     by_value
      - .address_space:  global
        .offset:         56
        .size:           8
        .value_kind:     global_buffer
      - .offset:         64
        .size:           8
        .value_kind:     by_value
      - .offset:         72
        .size:           8
        .value_kind:     by_value
      - .offset:         80
        .size:           16
        .value_kind:     by_value
      - .address_space:  global
        .offset:         96
        .size:           8
        .value_kind:     global_buffer
      - .offset:         104
        .size:           8
        .value_kind:     by_value
      - .offset:         112
        .size:           8
        .value_kind:     by_value
      - .offset:         120
        .size:           4
        .value_kind:     by_value
    .group_segment_fixed_size: 8192
    .kernarg_segment_align: 8
    .kernarg_segment_size: 124
    .language:       OpenCL C
    .language_version:
      - 2
      - 0
    .max_flat_workgroup_size: 256
    .name:           _ZL29rocblas_internal_gemmt_kernelIlLi16ELi32ELi8ELc84ELc78ELc76ELb0ELb0E19rocblas_complex_numIdES1_PKPKS1_PKPS1_EviT_T9_T10_S9_lSB_S9_lSA_T11_S9_li
    .private_segment_fixed_size: 0
    .sgpr_count:     46
    .sgpr_spill_count: 0
    .symbol:         _ZL29rocblas_internal_gemmt_kernelIlLi16ELi32ELi8ELc84ELc78ELc76ELb0ELb0E19rocblas_complex_numIdES1_PKPKS1_PKPS1_EviT_T9_T10_S9_lSB_S9_lSA_T11_S9_li.kd
    .uniform_work_group_size: 1
    .uses_dynamic_stack: false
    .vgpr_count:     66
    .vgpr_spill_count: 0
    .wavefront_size: 64
  - .agpr_count:     0
    .args:
      - .offset:         0
        .size:           4
        .value_kind:     by_value
      - .offset:         8
        .size:           8
        .value_kind:     by_value
      - .offset:         16
        .size:           16
        .value_kind:     by_value
      - .address_space:  global
        .offset:         32
        .size:           8
        .value_kind:     global_buffer
      - .offset:         40
        .size:           8
        .value_kind:     by_value
      - .offset:         48
        .size:           8
        .value_kind:     by_value
      - .address_space:  global
        .offset:         56
        .size:           8
        .value_kind:     global_buffer
      - .offset:         64
        .size:           8
        .value_kind:     by_value
      - .offset:         72
        .size:           8
        .value_kind:     by_value
      - .offset:         80
        .size:           16
        .value_kind:     by_value
      - .address_space:  global
        .offset:         96
        .size:           8
        .value_kind:     global_buffer
      - .offset:         104
        .size:           8
        .value_kind:     by_value
      - .offset:         112
        .size:           8
        .value_kind:     by_value
      - .offset:         120
        .size:           4
        .value_kind:     by_value
    .group_segment_fixed_size: 8192
    .kernarg_segment_align: 8
    .kernarg_segment_size: 124
    .language:       OpenCL C
    .language_version:
      - 2
      - 0
    .max_flat_workgroup_size: 256
    .name:           _ZL29rocblas_internal_gemmt_kernelIlLi16ELi32ELi8ELc84ELc84ELc76ELb0ELb0E19rocblas_complex_numIdES1_PKPKS1_PKPS1_EviT_T9_T10_S9_lSB_S9_lSA_T11_S9_li
    .private_segment_fixed_size: 0
    .sgpr_count:     46
    .sgpr_spill_count: 0
    .symbol:         _ZL29rocblas_internal_gemmt_kernelIlLi16ELi32ELi8ELc84ELc84ELc76ELb0ELb0E19rocblas_complex_numIdES1_PKPKS1_PKPS1_EviT_T9_T10_S9_lSB_S9_lSA_T11_S9_li.kd
    .uniform_work_group_size: 1
    .uses_dynamic_stack: false
    .vgpr_count:     66
    .vgpr_spill_count: 0
    .wavefront_size: 64
  - .agpr_count:     0
    .args:
      - .offset:         0
        .size:           4
        .value_kind:     by_value
      - .offset:         8
        .size:           8
        .value_kind:     by_value
      - .offset:         16
        .size:           16
        .value_kind:     by_value
      - .address_space:  global
        .offset:         32
        .size:           8
        .value_kind:     global_buffer
      - .offset:         40
        .size:           8
        .value_kind:     by_value
      - .offset:         48
        .size:           8
        .value_kind:     by_value
      - .address_space:  global
        .offset:         56
        .size:           8
        .value_kind:     global_buffer
      - .offset:         64
        .size:           8
        .value_kind:     by_value
      - .offset:         72
        .size:           8
        .value_kind:     by_value
      - .offset:         80
        .size:           16
        .value_kind:     by_value
      - .address_space:  global
        .offset:         96
        .size:           8
        .value_kind:     global_buffer
      - .offset:         104
        .size:           8
        .value_kind:     by_value
      - .offset:         112
        .size:           8
        .value_kind:     by_value
      - .offset:         120
        .size:           4
        .value_kind:     by_value
    .group_segment_fixed_size: 8192
    .kernarg_segment_align: 8
    .kernarg_segment_size: 124
    .language:       OpenCL C
    .language_version:
      - 2
      - 0
    .max_flat_workgroup_size: 256
    .name:           _ZL29rocblas_internal_gemmt_kernelIlLi16ELi32ELi8ELc84ELc67ELc76ELb0ELb1E19rocblas_complex_numIdES1_PKPKS1_PKPS1_EviT_T9_T10_S9_lSB_S9_lSA_T11_S9_li
    .private_segment_fixed_size: 0
    .sgpr_count:     46
    .sgpr_spill_count: 0
    .symbol:         _ZL29rocblas_internal_gemmt_kernelIlLi16ELi32ELi8ELc84ELc67ELc76ELb0ELb1E19rocblas_complex_numIdES1_PKPKS1_PKPS1_EviT_T9_T10_S9_lSB_S9_lSA_T11_S9_li.kd
    .uniform_work_group_size: 1
    .uses_dynamic_stack: false
    .vgpr_count:     66
    .vgpr_spill_count: 0
    .wavefront_size: 64
  - .agpr_count:     0
    .args:
      - .offset:         0
        .size:           4
        .value_kind:     by_value
      - .offset:         8
        .size:           8
        .value_kind:     by_value
      - .offset:         16
        .size:           16
        .value_kind:     by_value
      - .address_space:  global
        .offset:         32
        .size:           8
        .value_kind:     global_buffer
      - .offset:         40
        .size:           8
        .value_kind:     by_value
      - .offset:         48
        .size:           8
        .value_kind:     by_value
      - .address_space:  global
        .offset:         56
        .size:           8
        .value_kind:     global_buffer
      - .offset:         64
        .size:           8
        .value_kind:     by_value
      - .offset:         72
        .size:           8
        .value_kind:     by_value
      - .offset:         80
        .size:           16
        .value_kind:     by_value
      - .address_space:  global
        .offset:         96
        .size:           8
        .value_kind:     global_buffer
      - .offset:         104
        .size:           8
        .value_kind:     by_value
      - .offset:         112
        .size:           8
        .value_kind:     by_value
      - .offset:         120
        .size:           4
        .value_kind:     by_value
    .group_segment_fixed_size: 8192
    .kernarg_segment_align: 8
    .kernarg_segment_size: 124
    .language:       OpenCL C
    .language_version:
      - 2
      - 0
    .max_flat_workgroup_size: 256
    .name:           _ZL29rocblas_internal_gemmt_kernelIlLi16ELi32ELi8ELc67ELc78ELc76ELb1ELb0E19rocblas_complex_numIdES1_PKPKS1_PKPS1_EviT_T9_T10_S9_lSB_S9_lSA_T11_S9_li
    .private_segment_fixed_size: 0
    .sgpr_count:     46
    .sgpr_spill_count: 0
    .symbol:         _ZL29rocblas_internal_gemmt_kernelIlLi16ELi32ELi8ELc67ELc78ELc76ELb1ELb0E19rocblas_complex_numIdES1_PKPKS1_PKPS1_EviT_T9_T10_S9_lSB_S9_lSA_T11_S9_li.kd
    .uniform_work_group_size: 1
    .uses_dynamic_stack: false
    .vgpr_count:     64
    .vgpr_spill_count: 0
    .wavefront_size: 64
  - .agpr_count:     0
    .args:
      - .offset:         0
        .size:           4
        .value_kind:     by_value
      - .offset:         8
        .size:           8
        .value_kind:     by_value
      - .offset:         16
        .size:           16
        .value_kind:     by_value
      - .address_space:  global
        .offset:         32
        .size:           8
        .value_kind:     global_buffer
      - .offset:         40
        .size:           8
        .value_kind:     by_value
      - .offset:         48
        .size:           8
        .value_kind:     by_value
      - .address_space:  global
        .offset:         56
        .size:           8
        .value_kind:     global_buffer
      - .offset:         64
        .size:           8
        .value_kind:     by_value
      - .offset:         72
        .size:           8
        .value_kind:     by_value
      - .offset:         80
        .size:           16
        .value_kind:     by_value
      - .address_space:  global
        .offset:         96
        .size:           8
        .value_kind:     global_buffer
      - .offset:         104
        .size:           8
        .value_kind:     by_value
      - .offset:         112
        .size:           8
        .value_kind:     by_value
      - .offset:         120
        .size:           4
        .value_kind:     by_value
    .group_segment_fixed_size: 8192
    .kernarg_segment_align: 8
    .kernarg_segment_size: 124
    .language:       OpenCL C
    .language_version:
      - 2
      - 0
    .max_flat_workgroup_size: 256
    .name:           _ZL29rocblas_internal_gemmt_kernelIlLi16ELi32ELi8ELc67ELc84ELc76ELb1ELb0E19rocblas_complex_numIdES1_PKPKS1_PKPS1_EviT_T9_T10_S9_lSB_S9_lSA_T11_S9_li
    .private_segment_fixed_size: 0
    .sgpr_count:     46
    .sgpr_spill_count: 0
    .symbol:         _ZL29rocblas_internal_gemmt_kernelIlLi16ELi32ELi8ELc67ELc84ELc76ELb1ELb0E19rocblas_complex_numIdES1_PKPKS1_PKPS1_EviT_T9_T10_S9_lSB_S9_lSA_T11_S9_li.kd
    .uniform_work_group_size: 1
    .uses_dynamic_stack: false
    .vgpr_count:     64
    .vgpr_spill_count: 0
    .wavefront_size: 64
  - .agpr_count:     0
    .args:
      - .offset:         0
        .size:           4
        .value_kind:     by_value
      - .offset:         8
        .size:           8
        .value_kind:     by_value
      - .offset:         16
        .size:           16
        .value_kind:     by_value
      - .address_space:  global
        .offset:         32
        .size:           8
        .value_kind:     global_buffer
      - .offset:         40
        .size:           8
        .value_kind:     by_value
      - .offset:         48
        .size:           8
        .value_kind:     by_value
      - .address_space:  global
        .offset:         56
        .size:           8
        .value_kind:     global_buffer
      - .offset:         64
        .size:           8
        .value_kind:     by_value
      - .offset:         72
        .size:           8
        .value_kind:     by_value
      - .offset:         80
        .size:           16
        .value_kind:     by_value
      - .address_space:  global
        .offset:         96
        .size:           8
        .value_kind:     global_buffer
      - .offset:         104
        .size:           8
        .value_kind:     by_value
      - .offset:         112
        .size:           8
        .value_kind:     by_value
      - .offset:         120
        .size:           4
        .value_kind:     by_value
    .group_segment_fixed_size: 8192
    .kernarg_segment_align: 8
    .kernarg_segment_size: 124
    .language:       OpenCL C
    .language_version:
      - 2
      - 0
    .max_flat_workgroup_size: 256
    .name:           _ZL29rocblas_internal_gemmt_kernelIlLi16ELi32ELi8ELc67ELc67ELc76ELb1ELb1E19rocblas_complex_numIdES1_PKPKS1_PKPS1_EviT_T9_T10_S9_lSB_S9_lSA_T11_S9_li
    .private_segment_fixed_size: 0
    .sgpr_count:     46
    .sgpr_spill_count: 0
    .symbol:         _ZL29rocblas_internal_gemmt_kernelIlLi16ELi32ELi8ELc67ELc67ELc76ELb1ELb1E19rocblas_complex_numIdES1_PKPKS1_PKPS1_EviT_T9_T10_S9_lSB_S9_lSA_T11_S9_li.kd
    .uniform_work_group_size: 1
    .uses_dynamic_stack: false
    .vgpr_count:     60
    .vgpr_spill_count: 0
    .wavefront_size: 64
amdhsa.target:   amdgcn-amd-amdhsa--gfx950
amdhsa.version:
  - 1
  - 2
...

	.end_amdgpu_metadata
